;; amdgpu-corpus repo=ROCm/aiter kind=compiled arch=gfx1100 opt=O3
	.text
	.amdgcn_target "amdgcn-amd-amdhsa--gfx1100"
	.amdhsa_code_object_version 6
	.section	.text._ZN7ck_tileL11flush_cacheEv,"axG",@progbits,_ZN7ck_tileL11flush_cacheEv,comdat
	.globl	_ZN7ck_tileL11flush_cacheEv     ; -- Begin function _ZN7ck_tileL11flush_cacheEv
	.p2align	8
	.type	_ZN7ck_tileL11flush_cacheEv,@function
_ZN7ck_tileL11flush_cacheEv:            ; @_ZN7ck_tileL11flush_cacheEv
; %bb.0:
	;;#ASMSTART
	s_icache_inv 
	s_nop 0 
	s_nop 0 
	;; [unrolled: 1-line block ×16, first 2 shown]
	
	;;#ASMEND
	s_endpgm
	.section	.rodata,"a",@progbits
	.p2align	6, 0x0
	.amdhsa_kernel _ZN7ck_tileL11flush_cacheEv
		.amdhsa_group_segment_fixed_size 0
		.amdhsa_private_segment_fixed_size 0
		.amdhsa_kernarg_size 0
		.amdhsa_user_sgpr_count 15
		.amdhsa_user_sgpr_dispatch_ptr 0
		.amdhsa_user_sgpr_queue_ptr 0
		.amdhsa_user_sgpr_kernarg_segment_ptr 0
		.amdhsa_user_sgpr_dispatch_id 0
		.amdhsa_user_sgpr_private_segment_size 0
		.amdhsa_wavefront_size32 1
		.amdhsa_uses_dynamic_stack 0
		.amdhsa_enable_private_segment 0
		.amdhsa_system_sgpr_workgroup_id_x 1
		.amdhsa_system_sgpr_workgroup_id_y 0
		.amdhsa_system_sgpr_workgroup_id_z 0
		.amdhsa_system_sgpr_workgroup_info 0
		.amdhsa_system_vgpr_workitem_id 0
		.amdhsa_next_free_vgpr 1
		.amdhsa_next_free_sgpr 1
		.amdhsa_reserve_vcc 0
		.amdhsa_float_round_mode_32 0
		.amdhsa_float_round_mode_16_64 0
		.amdhsa_float_denorm_mode_32 3
		.amdhsa_float_denorm_mode_16_64 3
		.amdhsa_dx10_clamp 1
		.amdhsa_ieee_mode 1
		.amdhsa_fp16_overflow 0
		.amdhsa_workgroup_processor_mode 1
		.amdhsa_memory_ordered 1
		.amdhsa_forward_progress 0
		.amdhsa_shared_vgpr_count 0
		.amdhsa_exception_fp_ieee_invalid_op 0
		.amdhsa_exception_fp_denorm_src 0
		.amdhsa_exception_fp_ieee_div_zero 0
		.amdhsa_exception_fp_ieee_overflow 0
		.amdhsa_exception_fp_ieee_underflow 0
		.amdhsa_exception_fp_ieee_inexact 0
		.amdhsa_exception_int_div_zero 0
	.end_amdhsa_kernel
	.section	.text._ZN7ck_tileL11flush_cacheEv,"axG",@progbits,_ZN7ck_tileL11flush_cacheEv,comdat
.Lfunc_end0:
	.size	_ZN7ck_tileL11flush_cacheEv, .Lfunc_end0-_ZN7ck_tileL11flush_cacheEv
                                        ; -- End function
	.section	.AMDGPU.csdata,"",@progbits
; Kernel info:
; codeLenInByte = 344
; NumSgprs: 0
; NumVgprs: 0
; ScratchSize: 0
; MemoryBound: 0
; FloatMode: 240
; IeeeMode: 1
; LDSByteSize: 0 bytes/workgroup (compile time only)
; SGPRBlocks: 0
; VGPRBlocks: 0
; NumSGPRsForWavesPerEU: 1
; NumVGPRsForWavesPerEU: 1
; Occupancy: 16
; WaveLimiterHint : 0
; COMPUTE_PGM_RSRC2:SCRATCH_EN: 0
; COMPUTE_PGM_RSRC2:USER_SGPR: 15
; COMPUTE_PGM_RSRC2:TRAP_HANDLER: 0
; COMPUTE_PGM_RSRC2:TGID_X_EN: 1
; COMPUTE_PGM_RSRC2:TGID_Y_EN: 0
; COMPUTE_PGM_RSRC2:TGID_Z_EN: 0
; COMPUTE_PGM_RSRC2:TIDIG_COMP_CNT: 0
	.section	.text._ZN5aiter2mb23radix_kernel_persistentIfiLi11ELi1024ELb1ELb0ELNS0_5PhaseE0EEEvPKT_PKT0_PS3_PS6_PNS0_7CounterIS3_S6_EESA_S6_S8_S8_S6_S6_b,"axG",@progbits,_ZN5aiter2mb23radix_kernel_persistentIfiLi11ELi1024ELb1ELb0ELNS0_5PhaseE0EEEvPKT_PKT0_PS3_PS6_PNS0_7CounterIS3_S6_EESA_S6_S8_S8_S6_S6_b,comdat
	.protected	_ZN5aiter2mb23radix_kernel_persistentIfiLi11ELi1024ELb1ELb0ELNS0_5PhaseE0EEEvPKT_PKT0_PS3_PS6_PNS0_7CounterIS3_S6_EESA_S6_S8_S8_S6_S6_b ; -- Begin function _ZN5aiter2mb23radix_kernel_persistentIfiLi11ELi1024ELb1ELb0ELNS0_5PhaseE0EEEvPKT_PKT0_PS3_PS6_PNS0_7CounterIS3_S6_EESA_S6_S8_S8_S6_S6_b
	.globl	_ZN5aiter2mb23radix_kernel_persistentIfiLi11ELi1024ELb1ELb0ELNS0_5PhaseE0EEEvPKT_PKT0_PS3_PS6_PNS0_7CounterIS3_S6_EESA_S6_S8_S8_S6_S6_b
	.p2align	8
	.type	_ZN5aiter2mb23radix_kernel_persistentIfiLi11ELi1024ELb1ELb0ELNS0_5PhaseE0EEEvPKT_PKT0_PS3_PS6_PNS0_7CounterIS3_S6_EESA_S6_S8_S8_S6_S6_b,@function
_ZN5aiter2mb23radix_kernel_persistentIfiLi11ELi1024ELb1ELb0ELNS0_5PhaseE0EEEvPKT_PKT0_PS3_PS6_PNS0_7CounterIS3_S6_EESA_S6_S8_S8_S6_S6_b: ; @_ZN5aiter2mb23radix_kernel_persistentIfiLi11ELi1024ELb1ELb0ELNS0_5PhaseE0EEEvPKT_PKT0_PS3_PS6_PNS0_7CounterIS3_S6_EESA_S6_S8_S8_S6_S6_b
; %bb.0:
	s_mov_b32 s12, s15
	s_clause 0x1
	s_load_b128 s[4:7], s[0:1], 0x38
	s_load_b32 s15, s[0:1], 0x30
	s_mov_b32 s13, 0
	s_waitcnt lgkmcnt(0)
	s_cmp_lg_u64 s[4:5], 0
	s_mov_b32 s36, s15
	s_cselect_b32 s2, -1, 0
	s_cmp_eq_u64 s[4:5], 0
	s_cselect_b32 s3, -1, 0
	s_cmp_eq_u64 s[6:7], 0
	s_cselect_b32 s8, -1, 0
	s_delay_alu instid0(SALU_CYCLE_1) | instskip(NEXT) | instid1(SALU_CYCLE_1)
	s_or_b32 s3, s3, s8
	s_and_b32 vcc_lo, exec_lo, s3
	s_cbranch_vccnz .LBB1_2
; %bb.1:
	s_lshl_b64 s[8:9], s[12:13], 2
	s_delay_alu instid0(SALU_CYCLE_1)
	s_add_u32 s10, s4, s8
	s_addc_u32 s11, s5, s9
	s_add_u32 s6, s6, s8
	s_addc_u32 s7, s7, s9
	s_load_b32 s3, s[6:7], 0x0
	s_load_b32 s6, s[10:11], 0x0
	s_waitcnt lgkmcnt(0)
	s_sub_i32 s36, s3, s6
.LBB1_2:
	s_and_not1_b32 vcc_lo, exec_lo, s2
	s_cbranch_vccnz .LBB1_4
; %bb.3:
	s_lshl_b64 s[2:3], s[12:13], 2
	s_delay_alu instid0(SALU_CYCLE_1)
	s_add_u32 s2, s4, s2
	s_addc_u32 s3, s5, s3
	s_load_b32 s13, s[2:3], 0x0
.LBB1_4:
	s_clause 0x1
	s_load_b32 s41, s[0:1], 0x48
	s_load_b32 s18, s[0:1], 0x64
	v_and_b32_e32 v26, 0x3ff, v0
	s_add_u32 s26, s0, 0x58
	s_addc_u32 s27, s1, 0
	s_delay_alu instid0(VALU_DEP_1) | instskip(SKIP_1) | instid1(VALU_DEP_1)
	v_cmp_ne_u32_e64 s2, 0, v26
	v_cmp_eq_u32_e64 s3, 0, v26
	s_and_saveexec_b32 s4, s3
	s_cbranch_execz .LBB1_6
; %bb.5:
	s_waitcnt lgkmcnt(0)
	v_dual_mov_b32 v1, 0 :: v_dual_mov_b32 v2, s41
	v_mov_b32_e32 v3, s36
	ds_store_b96 v1, v[1:3] offset:16896
.LBB1_6:
	s_or_b32 exec_lo, exec_lo, s4
	s_load_b256 s[4:11], s[0:1], 0x0
	s_ashr_i32 s16, s15, 31
	s_mul_hi_u32 s17, s15, s12
	s_mul_i32 s19, s16, s12
	s_mul_i32 s16, s15, s12
	s_add_i32 s17, s17, s19
	s_waitcnt lgkmcnt(0)
	s_mov_b32 s20, s13
	s_lshl_b64 s[16:17], s[16:17], 2
	s_load_b32 s47, s[0:1], 0x58
	s_waitcnt lgkmcnt(0)
	s_barrier
	buffer_gl0_inv
	s_add_u32 s4, s4, s16
	s_addc_u32 s15, s5, s17
	s_ashr_i32 s21, s13, 31
	s_delay_alu instid0(SALU_CYCLE_1) | instskip(NEXT) | instid1(SALU_CYCLE_1)
	s_lshl_b64 s[20:21], s[20:21], 2
	s_add_u32 s5, s4, s20
	s_addc_u32 s37, s15, s21
	s_add_u32 s4, s6, s16
	s_addc_u32 s15, s7, s17
	;; [unrolled: 2-line block ×3, first 2 shown]
	s_cmp_lg_u64 s[6:7], 0
	s_mul_hi_u32 s7, s41, s12
	s_cselect_b32 s17, s15, 0
	s_cselect_b32 s16, s4, 0
	s_ashr_i32 s4, s41, 31
	s_mul_i32 s6, s41, s12
	s_mul_i32 s4, s4, s12
	s_delay_alu instid0(SALU_CYCLE_1) | instskip(NEXT) | instid1(SALU_CYCLE_1)
	s_add_i32 s7, s7, s4
	s_lshl_b64 s[6:7], s[6:7], 2
	s_delay_alu instid0(SALU_CYCLE_1)
	s_add_u32 s31, s8, s6
	s_addc_u32 s33, s9, s7
	s_add_u32 s15, s10, s6
	s_addc_u32 s30, s11, s7
	s_and_b32 s42, 0xffff, s18
	s_cmp_le_i32 s36, s41
	s_mov_b32 s6, -1
	s_cbranch_scc0 .LBB1_18
; %bb.7:
	v_cmp_gt_i32_e32 vcc_lo, s41, v26
	s_cmp_eq_u32 s14, 0
	s_mov_b32 s6, 0
	s_cselect_b32 s4, -1, 0
	s_delay_alu instid0(SALU_CYCLE_1) | instskip(NEXT) | instid1(SALU_CYCLE_1)
	s_and_b32 s4, s4, vcc_lo
	s_and_saveexec_b32 s7, s4
	s_cbranch_execz .LBB1_17
; %bb.8:
	v_mov_b32_e32 v1, v26
	s_cmp_lg_u64 s[16:17], 0
	s_mov_b32 s9, 0
	s_cselect_b32 s8, -1, 0
	s_branch .LBB1_10
.LBB1_9:                                ;   in Loop: Header=BB1_10 Depth=1
	s_or_b32 exec_lo, exec_lo, s10
	v_add_nc_u32_e32 v1, s42, v1
	v_add_co_u32 v2, s4, s31, v2
	s_delay_alu instid0(VALU_DEP_1) | instskip(NEXT) | instid1(VALU_DEP_3)
	v_add_co_ci_u32_e64 v3, s4, s33, v3, s4
	v_cmp_le_i32_e32 vcc_lo, s41, v1
	s_waitcnt vmcnt(0)
	global_store_b32 v[2:3], v5, off
	s_or_b32 s9, vcc_lo, s9
	s_delay_alu instid0(SALU_CYCLE_1)
	s_and_not1_b32 exec_lo, exec_lo, s9
	s_cbranch_execz .LBB1_17
.LBB1_10:                               ; =>This Inner Loop Header: Depth=1
	v_cmp_gt_i32_e64 s4, s36, v1
	v_mov_b32_e32 v4, -1
	s_delay_alu instid0(VALU_DEP_2)
	s_and_saveexec_b32 s10, s4
	s_cbranch_execz .LBB1_14
; %bb.11:                               ;   in Loop: Header=BB1_10 Depth=1
	s_and_not1_b32 vcc_lo, exec_lo, s8
	s_cbranch_vccnz .LBB1_16
; %bb.12:                               ;   in Loop: Header=BB1_10 Depth=1
	v_ashrrev_i32_e32 v2, 31, v1
	s_delay_alu instid0(VALU_DEP_1) | instskip(NEXT) | instid1(VALU_DEP_1)
	v_lshlrev_b64 v[2:3], 2, v[1:2]
	v_add_co_u32 v2, vcc_lo, s16, v2
	s_delay_alu instid0(VALU_DEP_2)
	v_add_co_ci_u32_e32 v3, vcc_lo, s17, v3, vcc_lo
	global_load_b32 v4, v[2:3], off
	s_cbranch_execnz .LBB1_14
.LBB1_13:                               ;   in Loop: Header=BB1_10 Depth=1
	s_waitcnt vmcnt(0)
	v_add_nc_u32_e32 v4, s13, v1
.LBB1_14:                               ;   in Loop: Header=BB1_10 Depth=1
	s_or_b32 exec_lo, exec_lo, s10
	v_ashrrev_i32_e32 v2, 31, v1
	v_mov_b32_e32 v5, 0
	s_delay_alu instid0(VALU_DEP_2) | instskip(NEXT) | instid1(VALU_DEP_1)
	v_lshlrev_b64 v[2:3], 2, v[1:2]
	v_add_co_u32 v6, vcc_lo, s15, v2
	s_delay_alu instid0(VALU_DEP_2)
	v_add_co_ci_u32_e32 v7, vcc_lo, s30, v3, vcc_lo
	s_waitcnt vmcnt(0)
	global_store_b32 v[6:7], v4, off
	s_and_saveexec_b32 s10, s4
	s_cbranch_execz .LBB1_9
; %bb.15:                               ;   in Loop: Header=BB1_10 Depth=1
	v_add_co_u32 v4, vcc_lo, s5, v2
	v_add_co_ci_u32_e32 v5, vcc_lo, s37, v3, vcc_lo
	global_load_b32 v5, v[4:5], off
	s_branch .LBB1_9
.LBB1_16:                               ;   in Loop: Header=BB1_10 Depth=1
                                        ; implicit-def: $vgpr4
	s_branch .LBB1_13
.LBB1_17:
	s_or_b32 exec_lo, exec_lo, s7
.LBB1_18:
	s_delay_alu instid0(SALU_CYCLE_1)
	s_and_not1_b32 vcc_lo, exec_lo, s6
	s_cbranch_vccnz .LBB1_803
; %bb.19:
	s_load_b128 s[8:11], s[0:1], 0x20
	s_mul_i32 s1, s12, 0x300
	s_mul_hi_u32 s0, s12, 0x300
	s_mov_b32 s29, 0
	v_dual_mov_b32 v27, 0 :: v_dual_lshlrev_b32 v6, 2, v26
	s_mul_hi_u32 s19, s42, s47
	s_mul_i32 s18, s42, s47
	s_mov_b64 s[6:7], src_shared_base
	s_mul_i32 s4, s19, 3
	v_mad_u64_u32 v[24:25], null, s42, s14, v[26:27]
	s_mul_hi_u32 s6, s18, 3
	s_mul_i32 s39, s18, 3
	v_mov_b32_e32 v29, s7
	v_or_b32_e32 v7, 0x400, v26
	v_dual_mov_b32 v51, 0x4204 :: v_dual_add_nc_u32 v8, -1, v26
	s_delay_alu instid0(VALU_DEP_4)
	v_mov_b32_e32 v20, v24
	v_ashrrev_i32_e32 v21, 31, v24
	s_waitcnt lgkmcnt(0)
	s_add_u32 s8, s8, s1
	s_addc_u32 s9, s9, s0
	s_and_b32 s28, s5, 15
	v_lshlrev_b64 v[2:3], 2, v[24:25]
	s_sub_i32 s0, 16, s28
	v_add_co_u32 v22, vcc_lo, v20, s39
	s_lshr_b32 s0, s0, 2
	s_cmp_lg_u64 s[28:29], 0
	v_bfe_u32 v45, v0, 20, 10
	s_cselect_b32 s0, s0, 0
	v_bfe_u32 v46, v0, 10, 10
	s_min_i32 s22, s0, s36
	v_dual_mov_b32 v0, v27 :: v_dual_mov_b32 v1, v24
	s_ashr_i32 s23, s22, 31
	v_lshrrev_b32_e32 v7, 3, v7
	s_lshl_b64 s[0:1], s[22:23], 2
	s_mul_hi_u32 s51, s12, 0x6000
	s_add_u32 s28, s5, s0
	s_addc_u32 s34, s37, s1
	s_sub_i32 s0, s36, s22
	s_lshl_b64 s[24:25], s[18:19], 4
	s_ashr_i32 s1, s0, 31
	s_lshl_b32 s35, s18, 2
	s_lshr_b32 s1, s1, 30
	s_add_i32 s40, s6, s4
	s_add_i32 s0, s0, s1
	v_add_co_ci_u32_e32 v23, vcc_lo, s40, v21, vcc_lo
	s_ashr_i32 s20, s0, 2
	v_add_co_u32 v18, vcc_lo, s5, v2
	s_ashr_i32 s21, s20, 31
	s_add_u32 s43, s28, s24
	s_addc_u32 s44, s34, s25
	s_add_u32 s45, s43, s24
	s_addc_u32 s46, s44, s25
	s_and_b32 s0, s0, -4
	v_add_co_ci_u32_e32 v19, vcc_lo, s37, v3, vcc_lo
	v_add3_u32 v4, s0, s22, v24
	v_cmp_gt_u64_e64 s1, s[22:23], v[24:25]
	s_add_i32 s47, s47, -1
	s_lshl_b32 s48, s42, 8
	s_cmp_eq_u64 s[16:17], 0
	v_ashrrev_i32_e32 v5, 31, v4
	s_cselect_b32 s49, -1, 0
	v_mov_b32_e32 v52, 1
	s_cmp_lg_u64 s[16:17], 0
	v_ashrrev_i64 v[0:1], 30, v[0:1]
	v_lshlrev_b64 v[2:3], 2, v[4:5]
	v_lshrrev_b32_e32 v5, 3, v26
	s_mul_i32 s52, s12, 0x6000
	v_and_b32_e32 v7, 0xfc, v7
	s_cselect_b32 s12, -1, 0
	v_cmp_gt_i32_e64 s0, s36, v4
	v_and_b32_e32 v5, 0x7c, v5
	v_add_co_u32 v14, vcc_lo, s5, v2
	v_add_co_ci_u32_e32 v15, vcc_lo, s37, v3, vcc_lo
	s_delay_alu instid0(VALU_DEP_3)
	v_add_nc_u32_e32 v25, v6, v5
	v_lshrrev_b32_e32 v5, 5, v8
	v_lshlrev_b32_e32 v9, 1, v26
	v_lshrrev_b32_e32 v10, 4, v26
	v_add_nc_u32_e32 v47, v6, v7
	v_lshlrev_b32_e32 v7, 7, v26
	v_add_lshl_u32 v49, v5, v8, 2
	v_or_b32_e32 v5, s14, v26
	s_add_u32 s14, s16, 4
	s_addc_u32 s19, s17, 0
	s_add_u32 s23, s16, 8
	s_addc_u32 s36, s17, 0
	s_add_u32 s37, s16, 12
	v_add_co_u32 v16, vcc_lo, s16, v0
	s_addc_u32 s38, s17, 0
	s_lshl_b32 s50, s42, 2
	v_dual_mov_b32 v31, s7 :: v_dual_add_nc_u32 v28, 0x2100, v6
	s_add_u32 s7, s10, s52
	v_add_co_ci_u32_e32 v17, vcc_lo, s17, v1, vcc_lo
	v_add_co_u32 v12, vcc_lo, s16, v2
	s_addc_u32 s10, s11, s51
	v_add_co_u32 v32, s7, s7, v6
	v_cmp_gt_u64_e64 s4, s[20:21], v[22:23]
	v_add_nc_u32_e32 v30, 0x3100, v6
	v_add_lshl_u32 v48, v10, v9, 2
	v_cmp_gt_u32_e64 s5, 32, v26
	v_cmp_eq_u32_e64 s6, 0, v5
	v_add_nc_u32_e32 v44, s13, v24
	v_add_co_ci_u32_e32 v13, vcc_lo, s17, v3, vcc_lo
	v_add_nc_u32_e32 v43, s13, v4
	v_add_co_ci_u32_e64 v33, null, s10, 0, s7
	v_add_nc_u32_e32 v50, 0x20fc, v6
	v_add_nc_u32_e32 v53, v6, v7
	v_mbcnt_lo_u32_b32 v54, -1, 0
	s_branch .LBB1_22
.LBB1_20:                               ;   in Loop: Header=BB1_22 Depth=1
	s_mov_b32 s7, -1
	s_mov_b32 s11, -1
                                        ; implicit-def: $sgpr29
                                        ; implicit-def: $vgpr32_vgpr33
                                        ; implicit-def: $sgpr10
.LBB1_21:                               ;   in Loop: Header=BB1_22 Depth=1
	s_delay_alu instid0(SALU_CYCLE_1)
	s_and_b32 vcc_lo, exec_lo, s11
	s_cbranch_vccnz .LBB1_621
.LBB1_22:                               ; =>This Loop Header: Depth=1
                                        ;     Child Loop BB1_24 Depth 2
                                        ;     Child Loop BB1_30 Depth 2
	;; [unrolled: 1-line block ×12, first 2 shown]
	s_waitcnt lgkmcnt(0)
	ds_load_2addr_b32 v[34:35], v51 offset1:1
	s_waitcnt lgkmcnt(0)
	v_cmp_eq_u32_e32 vcc_lo, 0, v35
	s_cbranch_vccnz .LBB1_20
; %bb.23:                               ;   in Loop: Header=BB1_22 Depth=1
	v_dual_mov_b32 v0, v28 :: v_dual_mov_b32 v1, v26
	s_mov_b32 s7, 0
.LBB1_24:                               ;   Parent Loop BB1_22 Depth=1
                                        ; =>  This Inner Loop Header: Depth=2
	s_delay_alu instid0(VALU_DEP_1) | instskip(SKIP_4) | instid1(SALU_CYCLE_1)
	v_add_nc_u32_e32 v1, s42, v1
	ds_store_b32 v0, v27
	v_add_nc_u32_e32 v0, s50, v0
	v_cmp_lt_u32_e32 vcc_lo, 0x7ff, v1
	s_or_b32 s7, vcc_lo, s7
	s_and_not1_b32 exec_lo, exec_lo, s7
	s_cbranch_execnz .LBB1_24
; %bb.25:                               ;   in Loop: Header=BB1_22 Depth=1
	s_or_b32 exec_lo, exec_lo, s7
	v_cmp_ne_u32_e32 vcc_lo, v35, v34
	s_mul_i32 s10, s29, -11
	s_waitcnt vmcnt(0) lgkmcnt(0)
	s_waitcnt_vscnt null, 0x0
	s_barrier
	buffer_gl0_inv
	s_cbranch_vccz .LBB1_62
; %bb.26:                               ;   in Loop: Header=BB1_22 Depth=1
	s_max_i32 s11, s10, 0xffffffeb
	s_delay_alu instid0(SALU_CYCLE_1)
	s_add_i32 s11, s11, 21
	s_cmp_lg_u32 s29, 0
	s_cbranch_scc0 .LBB1_63
; %bb.27:                               ;   in Loop: Header=BB1_22 Depth=1
	ds_load_b32 v37, v27 offset:16896
	v_mov_b32_e32 v35, v24
	s_add_i32 s7, s10, 32
	s_and_saveexec_b32 s51, s4
	s_cbranch_execz .LBB1_65
; %bb.28:                               ;   in Loop: Header=BB1_22 Depth=1
	v_dual_mov_b32 v8, v22 :: v_dual_mov_b32 v9, v23
	v_dual_mov_b32 v36, v21 :: v_dual_mov_b32 v35, v20
	s_lshl_b32 s53, -1, s7
	s_mov_b32 s52, 0
	s_branch .LBB1_30
.LBB1_29:                               ;   in Loop: Header=BB1_30 Depth=2
	s_or_b32 exec_lo, exec_lo, s54
	v_add_nc_u32_e32 v35, s35, v35
	s_delay_alu instid0(VALU_DEP_1) | instskip(SKIP_1) | instid1(VALU_DEP_2)
	v_ashrrev_i32_e32 v36, 31, v35
	v_add_co_u32 v8, vcc_lo, s39, v35
	v_add_co_ci_u32_e32 v9, vcc_lo, s40, v36, vcc_lo
	s_delay_alu instid0(VALU_DEP_1) | instskip(SKIP_1) | instid1(SALU_CYCLE_1)
	v_cmp_le_u64_e32 vcc_lo, s[20:21], v[8:9]
	s_or_b32 s52, vcc_lo, s52
	s_and_not1_b32 exec_lo, exec_lo, s52
	s_cbranch_execz .LBB1_64
.LBB1_30:                               ;   Parent Loop BB1_22 Depth=1
                                        ; =>  This Inner Loop Header: Depth=2
	s_delay_alu instid0(VALU_DEP_1) | instskip(SKIP_1) | instid1(VALU_DEP_1)
	v_lshlrev_b64 v[10:11], 4, v[35:36]
	s_mov_b32 s54, exec_lo
	v_add_co_u32 v0, vcc_lo, s28, v10
	s_delay_alu instid0(VALU_DEP_2)
	v_add_co_ci_u32_e32 v1, vcc_lo, s34, v11, vcc_lo
	v_add_co_u32 v4, vcc_lo, s43, v10
	v_add_co_ci_u32_e32 v5, vcc_lo, s44, v11, vcc_lo
	s_clause 0x1
	global_load_b128 v[0:3], v[0:1], off
	global_load_b128 v[4:7], v[4:5], off
	s_waitcnt vmcnt(1)
	v_cmp_gt_i32_e32 vcc_lo, 0, v0
	v_cndmask_b32_e64 v36, 0x7fffffff, 0, vcc_lo
	s_delay_alu instid0(VALU_DEP_1) | instskip(NEXT) | instid1(VALU_DEP_1)
	v_xor_b32_e32 v0, v36, v0
	v_and_b32_e32 v36, s53, v0
	s_waitcnt lgkmcnt(0)
	s_delay_alu instid0(VALU_DEP_1)
	v_cmpx_eq_u32_e64 v36, v37
	s_cbranch_execz .LBB1_32
; %bb.31:                               ;   in Loop: Header=BB1_30 Depth=2
	v_bfe_u32 v0, v0, s11, 11
	s_delay_alu instid0(VALU_DEP_1)
	v_lshlrev_b32_e32 v0, 2, v0
	ds_add_u32 v0, v52 offset:8448
.LBB1_32:                               ;   in Loop: Header=BB1_30 Depth=2
	s_or_b32 exec_lo, exec_lo, s54
	v_cmp_gt_i32_e32 vcc_lo, 0, v1
	s_mov_b32 s54, exec_lo
	v_cndmask_b32_e64 v0, 0x7fffffff, 0, vcc_lo
	s_delay_alu instid0(VALU_DEP_1) | instskip(NEXT) | instid1(VALU_DEP_1)
	v_xor_b32_e32 v0, v0, v1
	v_and_b32_e32 v1, s53, v0
	s_delay_alu instid0(VALU_DEP_1)
	v_cmpx_eq_u32_e64 v1, v37
	s_cbranch_execz .LBB1_34
; %bb.33:                               ;   in Loop: Header=BB1_30 Depth=2
	v_bfe_u32 v0, v0, s11, 11
	s_delay_alu instid0(VALU_DEP_1)
	v_lshlrev_b32_e32 v0, 2, v0
	ds_add_u32 v0, v52 offset:8448
.LBB1_34:                               ;   in Loop: Header=BB1_30 Depth=2
	s_or_b32 exec_lo, exec_lo, s54
	v_cmp_gt_i32_e32 vcc_lo, 0, v2
	s_mov_b32 s54, exec_lo
	v_cndmask_b32_e64 v0, 0x7fffffff, 0, vcc_lo
	s_delay_alu instid0(VALU_DEP_1) | instskip(NEXT) | instid1(VALU_DEP_1)
	v_xor_b32_e32 v0, v0, v2
	v_and_b32_e32 v1, s53, v0
	;; [unrolled: 16-line block ×3, first 2 shown]
	s_delay_alu instid0(VALU_DEP_1)
	v_cmpx_eq_u32_e64 v1, v37
	s_cbranch_execz .LBB1_38
; %bb.37:                               ;   in Loop: Header=BB1_30 Depth=2
	v_bfe_u32 v0, v0, s11, 11
	s_delay_alu instid0(VALU_DEP_1)
	v_lshlrev_b32_e32 v0, 2, v0
	ds_add_u32 v0, v52 offset:8448
.LBB1_38:                               ;   in Loop: Header=BB1_30 Depth=2
	s_or_b32 exec_lo, exec_lo, s54
	v_lshlrev_b64 v[0:1], 4, v[8:9]
	v_add_co_u32 v2, vcc_lo, s45, v10
	v_add_co_ci_u32_e32 v3, vcc_lo, s46, v11, vcc_lo
	s_mov_b32 s54, exec_lo
	s_delay_alu instid0(VALU_DEP_3) | instskip(NEXT) | instid1(VALU_DEP_4)
	v_add_co_u32 v0, vcc_lo, s28, v0
	v_add_co_ci_u32_e32 v1, vcc_lo, s34, v1, vcc_lo
	s_waitcnt vmcnt(0)
	v_cmp_gt_i32_e32 vcc_lo, 0, v4
	s_clause 0x1
	global_load_b128 v[8:11], v[2:3], off
	global_load_b128 v[0:3], v[0:1], off
	v_cndmask_b32_e64 v36, 0x7fffffff, 0, vcc_lo
	s_delay_alu instid0(VALU_DEP_1) | instskip(NEXT) | instid1(VALU_DEP_1)
	v_xor_b32_e32 v4, v36, v4
	v_and_b32_e32 v36, s53, v4
	s_delay_alu instid0(VALU_DEP_1)
	v_cmpx_eq_u32_e64 v36, v37
	s_cbranch_execz .LBB1_40
; %bb.39:                               ;   in Loop: Header=BB1_30 Depth=2
	v_bfe_u32 v4, v4, s11, 11
	s_delay_alu instid0(VALU_DEP_1)
	v_lshlrev_b32_e32 v4, 2, v4
	ds_add_u32 v4, v52 offset:8448
.LBB1_40:                               ;   in Loop: Header=BB1_30 Depth=2
	s_or_b32 exec_lo, exec_lo, s54
	v_cmp_gt_i32_e32 vcc_lo, 0, v5
	s_mov_b32 s54, exec_lo
	v_cndmask_b32_e64 v4, 0x7fffffff, 0, vcc_lo
	s_delay_alu instid0(VALU_DEP_1) | instskip(NEXT) | instid1(VALU_DEP_1)
	v_xor_b32_e32 v4, v4, v5
	v_and_b32_e32 v5, s53, v4
	s_delay_alu instid0(VALU_DEP_1)
	v_cmpx_eq_u32_e64 v5, v37
	s_cbranch_execz .LBB1_42
; %bb.41:                               ;   in Loop: Header=BB1_30 Depth=2
	v_bfe_u32 v4, v4, s11, 11
	s_delay_alu instid0(VALU_DEP_1)
	v_lshlrev_b32_e32 v4, 2, v4
	ds_add_u32 v4, v52 offset:8448
.LBB1_42:                               ;   in Loop: Header=BB1_30 Depth=2
	s_or_b32 exec_lo, exec_lo, s54
	v_cmp_gt_i32_e32 vcc_lo, 0, v6
	s_mov_b32 s54, exec_lo
	;; [unrolled: 16-line block ×3, first 2 shown]
	v_cndmask_b32_e64 v4, 0x7fffffff, 0, vcc_lo
	s_delay_alu instid0(VALU_DEP_1) | instskip(NEXT) | instid1(VALU_DEP_1)
	v_xor_b32_e32 v4, v4, v7
	v_and_b32_e32 v5, s53, v4
	s_delay_alu instid0(VALU_DEP_1)
	v_cmpx_eq_u32_e64 v5, v37
	s_cbranch_execz .LBB1_46
; %bb.45:                               ;   in Loop: Header=BB1_30 Depth=2
	v_bfe_u32 v4, v4, s11, 11
	s_delay_alu instid0(VALU_DEP_1)
	v_lshlrev_b32_e32 v4, 2, v4
	ds_add_u32 v4, v52 offset:8448
.LBB1_46:                               ;   in Loop: Header=BB1_30 Depth=2
	s_or_b32 exec_lo, exec_lo, s54
	s_waitcnt vmcnt(1)
	v_cmp_gt_i32_e32 vcc_lo, 0, v8
	s_mov_b32 s54, exec_lo
	v_cndmask_b32_e64 v4, 0x7fffffff, 0, vcc_lo
	s_delay_alu instid0(VALU_DEP_1) | instskip(NEXT) | instid1(VALU_DEP_1)
	v_xor_b32_e32 v4, v4, v8
	v_and_b32_e32 v5, s53, v4
	s_delay_alu instid0(VALU_DEP_1)
	v_cmpx_eq_u32_e64 v5, v37
	s_cbranch_execz .LBB1_48
; %bb.47:                               ;   in Loop: Header=BB1_30 Depth=2
	v_bfe_u32 v4, v4, s11, 11
	s_delay_alu instid0(VALU_DEP_1)
	v_lshlrev_b32_e32 v4, 2, v4
	ds_add_u32 v4, v52 offset:8448
.LBB1_48:                               ;   in Loop: Header=BB1_30 Depth=2
	s_or_b32 exec_lo, exec_lo, s54
	v_cmp_gt_i32_e32 vcc_lo, 0, v9
	s_mov_b32 s54, exec_lo
	v_cndmask_b32_e64 v4, 0x7fffffff, 0, vcc_lo
	s_delay_alu instid0(VALU_DEP_1) | instskip(NEXT) | instid1(VALU_DEP_1)
	v_xor_b32_e32 v4, v4, v9
	v_and_b32_e32 v5, s53, v4
	s_delay_alu instid0(VALU_DEP_1)
	v_cmpx_eq_u32_e64 v5, v37
	s_cbranch_execz .LBB1_50
; %bb.49:                               ;   in Loop: Header=BB1_30 Depth=2
	v_bfe_u32 v4, v4, s11, 11
	s_delay_alu instid0(VALU_DEP_1)
	v_lshlrev_b32_e32 v4, 2, v4
	ds_add_u32 v4, v52 offset:8448
.LBB1_50:                               ;   in Loop: Header=BB1_30 Depth=2
	s_or_b32 exec_lo, exec_lo, s54
	;; [unrolled: 16-line block ×4, first 2 shown]
	s_waitcnt vmcnt(0)
	v_cmp_gt_i32_e32 vcc_lo, 0, v0
	s_mov_b32 s54, exec_lo
	v_cndmask_b32_e64 v4, 0x7fffffff, 0, vcc_lo
	s_delay_alu instid0(VALU_DEP_1) | instskip(NEXT) | instid1(VALU_DEP_1)
	v_xor_b32_e32 v0, v4, v0
	v_and_b32_e32 v4, s53, v0
	s_delay_alu instid0(VALU_DEP_1)
	v_cmpx_eq_u32_e64 v4, v37
	s_cbranch_execz .LBB1_56
; %bb.55:                               ;   in Loop: Header=BB1_30 Depth=2
	v_bfe_u32 v0, v0, s11, 11
	s_delay_alu instid0(VALU_DEP_1)
	v_lshlrev_b32_e32 v0, 2, v0
	ds_add_u32 v0, v52 offset:8448
.LBB1_56:                               ;   in Loop: Header=BB1_30 Depth=2
	s_or_b32 exec_lo, exec_lo, s54
	v_cmp_gt_i32_e32 vcc_lo, 0, v1
	s_mov_b32 s54, exec_lo
	v_cndmask_b32_e64 v0, 0x7fffffff, 0, vcc_lo
	s_delay_alu instid0(VALU_DEP_1) | instskip(NEXT) | instid1(VALU_DEP_1)
	v_xor_b32_e32 v0, v0, v1
	v_and_b32_e32 v1, s53, v0
	s_delay_alu instid0(VALU_DEP_1)
	v_cmpx_eq_u32_e64 v1, v37
	s_cbranch_execz .LBB1_58
; %bb.57:                               ;   in Loop: Header=BB1_30 Depth=2
	v_bfe_u32 v0, v0, s11, 11
	s_delay_alu instid0(VALU_DEP_1)
	v_lshlrev_b32_e32 v0, 2, v0
	ds_add_u32 v0, v52 offset:8448
.LBB1_58:                               ;   in Loop: Header=BB1_30 Depth=2
	s_or_b32 exec_lo, exec_lo, s54
	;; [unrolled: 16-line block ×3, first 2 shown]
	v_cmp_gt_i32_e32 vcc_lo, 0, v3
	s_mov_b32 s54, exec_lo
	v_cndmask_b32_e64 v0, 0x7fffffff, 0, vcc_lo
	s_delay_alu instid0(VALU_DEP_1) | instskip(NEXT) | instid1(VALU_DEP_1)
	v_xor_b32_e32 v0, v0, v3
	v_and_b32_e32 v1, s53, v0
	s_delay_alu instid0(VALU_DEP_1)
	v_cmpx_eq_u32_e64 v1, v37
	s_cbranch_execz .LBB1_29
; %bb.61:                               ;   in Loop: Header=BB1_30 Depth=2
	v_bfe_u32 v0, v0, s11, 11
	s_delay_alu instid0(VALU_DEP_1)
	v_lshlrev_b32_e32 v0, 2, v0
	ds_add_u32 v0, v52 offset:8448
	s_branch .LBB1_29
.LBB1_62:                               ;   in Loop: Header=BB1_22 Depth=1
	s_mov_b32 s11, -1
	s_mov_b32 s7, 0
                                        ; implicit-def: $sgpr29
                                        ; implicit-def: $vgpr32_vgpr33
	s_branch .LBB1_21
.LBB1_63:                               ;   in Loop: Header=BB1_22 Depth=1
	s_mov_b32 s51, 0
                                        ; implicit-def: $vgpr0
	s_cbranch_execnz .LBB1_84
	s_branch .LBB1_96
.LBB1_64:                               ;   in Loop: Header=BB1_22 Depth=1
	s_or_b32 exec_lo, exec_lo, s52
.LBB1_65:                               ;   in Loop: Header=BB1_22 Depth=1
	s_delay_alu instid0(SALU_CYCLE_1) | instskip(NEXT) | instid1(SALU_CYCLE_1)
	s_or_b32 exec_lo, exec_lo, s51
	s_mov_b32 s51, exec_lo
	v_cmpx_gt_i32_e64 s20, v35
	s_cbranch_execz .LBB1_76
; %bb.66:                               ;   in Loop: Header=BB1_22 Depth=1
	s_lshl_b32 s52, -1, s7
	s_mov_b32 s53, 0
	s_branch .LBB1_68
.LBB1_67:                               ;   in Loop: Header=BB1_68 Depth=2
	s_or_b32 exec_lo, exec_lo, s54
	v_add_nc_u32_e32 v35, s18, v35
	s_delay_alu instid0(VALU_DEP_1) | instskip(SKIP_1) | instid1(SALU_CYCLE_1)
	v_cmp_le_i32_e32 vcc_lo, s20, v35
	s_or_b32 s53, vcc_lo, s53
	s_and_not1_b32 exec_lo, exec_lo, s53
	s_cbranch_execz .LBB1_76
.LBB1_68:                               ;   Parent Loop BB1_22 Depth=1
                                        ; =>  This Inner Loop Header: Depth=2
	v_ashrrev_i32_e32 v36, 31, v35
	s_mov_b32 s54, exec_lo
	s_delay_alu instid0(VALU_DEP_1) | instskip(NEXT) | instid1(VALU_DEP_1)
	v_lshlrev_b64 v[0:1], 4, v[35:36]
	v_add_co_u32 v0, vcc_lo, s28, v0
	s_delay_alu instid0(VALU_DEP_2) | instskip(SKIP_4) | instid1(VALU_DEP_1)
	v_add_co_ci_u32_e32 v1, vcc_lo, s34, v1, vcc_lo
	global_load_b128 v[0:3], v[0:1], off
	s_waitcnt vmcnt(0)
	v_cmp_gt_i32_e32 vcc_lo, 0, v0
	v_cndmask_b32_e64 v4, 0x7fffffff, 0, vcc_lo
	v_xor_b32_e32 v0, v4, v0
	s_delay_alu instid0(VALU_DEP_1) | instskip(SKIP_1) | instid1(VALU_DEP_1)
	v_and_b32_e32 v4, s52, v0
	s_waitcnt lgkmcnt(0)
	v_cmpx_eq_u32_e64 v4, v37
	s_cbranch_execz .LBB1_70
; %bb.69:                               ;   in Loop: Header=BB1_68 Depth=2
	v_bfe_u32 v0, v0, s11, 11
	s_delay_alu instid0(VALU_DEP_1)
	v_lshlrev_b32_e32 v0, 2, v0
	ds_add_u32 v0, v52 offset:8448
.LBB1_70:                               ;   in Loop: Header=BB1_68 Depth=2
	s_or_b32 exec_lo, exec_lo, s54
	v_cmp_gt_i32_e32 vcc_lo, 0, v1
	s_mov_b32 s54, exec_lo
	v_cndmask_b32_e64 v0, 0x7fffffff, 0, vcc_lo
	s_delay_alu instid0(VALU_DEP_1) | instskip(NEXT) | instid1(VALU_DEP_1)
	v_xor_b32_e32 v0, v0, v1
	v_and_b32_e32 v1, s52, v0
	s_delay_alu instid0(VALU_DEP_1)
	v_cmpx_eq_u32_e64 v1, v37
	s_cbranch_execz .LBB1_72
; %bb.71:                               ;   in Loop: Header=BB1_68 Depth=2
	v_bfe_u32 v0, v0, s11, 11
	s_delay_alu instid0(VALU_DEP_1)
	v_lshlrev_b32_e32 v0, 2, v0
	ds_add_u32 v0, v52 offset:8448
.LBB1_72:                               ;   in Loop: Header=BB1_68 Depth=2
	s_or_b32 exec_lo, exec_lo, s54
	v_cmp_gt_i32_e32 vcc_lo, 0, v2
	s_mov_b32 s54, exec_lo
	v_cndmask_b32_e64 v0, 0x7fffffff, 0, vcc_lo
	s_delay_alu instid0(VALU_DEP_1) | instskip(NEXT) | instid1(VALU_DEP_1)
	v_xor_b32_e32 v0, v0, v2
	v_and_b32_e32 v1, s52, v0
	s_delay_alu instid0(VALU_DEP_1)
	;; [unrolled: 16-line block ×3, first 2 shown]
	v_cmpx_eq_u32_e64 v1, v37
	s_cbranch_execz .LBB1_67
; %bb.75:                               ;   in Loop: Header=BB1_68 Depth=2
	v_bfe_u32 v0, v0, s11, 11
	s_delay_alu instid0(VALU_DEP_1)
	v_lshlrev_b32_e32 v0, 2, v0
	ds_add_u32 v0, v52 offset:8448
	s_branch .LBB1_67
.LBB1_76:                               ;   in Loop: Header=BB1_22 Depth=1
	s_or_b32 exec_lo, exec_lo, s51
	s_and_saveexec_b32 s51, s1
	s_cbranch_execz .LBB1_79
; %bb.77:                               ;   in Loop: Header=BB1_22 Depth=1
	global_load_b32 v0, v[18:19], off
	s_lshl_b32 s52, -1, s7
	s_waitcnt vmcnt(0)
	v_cmp_gt_i32_e32 vcc_lo, 0, v0
	v_cndmask_b32_e64 v1, 0x7fffffff, 0, vcc_lo
	s_delay_alu instid0(VALU_DEP_1) | instskip(NEXT) | instid1(VALU_DEP_1)
	v_xor_b32_e32 v0, v1, v0
	v_and_b32_e32 v1, s52, v0
	s_waitcnt lgkmcnt(0)
	s_delay_alu instid0(VALU_DEP_1)
	v_cmp_eq_u32_e32 vcc_lo, v1, v37
	s_and_b32 exec_lo, exec_lo, vcc_lo
	s_cbranch_execz .LBB1_79
; %bb.78:                               ;   in Loop: Header=BB1_22 Depth=1
	v_bfe_u32 v0, v0, s11, 11
	s_delay_alu instid0(VALU_DEP_1)
	v_lshlrev_b32_e32 v0, 2, v0
	ds_add_u32 v0, v52 offset:8448
.LBB1_79:                               ;   in Loop: Header=BB1_22 Depth=1
	s_or_b32 exec_lo, exec_lo, s51
	s_mov_b32 s52, 0
	s_mov_b32 s51, 0
                                        ; implicit-def: $vgpr0
	s_and_saveexec_b32 s53, s0
	s_cbranch_execz .LBB1_83
; %bb.80:                               ;   in Loop: Header=BB1_22 Depth=1
	global_load_b32 v0, v[14:15], off
	s_lshl_b32 s7, -1, s7
	s_waitcnt vmcnt(0)
	v_cmp_gt_i32_e32 vcc_lo, 0, v0
	v_cndmask_b32_e64 v1, 0x7fffffff, 0, vcc_lo
	s_delay_alu instid0(VALU_DEP_1) | instskip(NEXT) | instid1(VALU_DEP_1)
	v_xor_b32_e32 v1, v1, v0
	v_and_b32_e32 v0, s7, v1
	s_mov_b32 s7, 0
	s_waitcnt lgkmcnt(0)
	s_delay_alu instid0(VALU_DEP_1) | instskip(SKIP_1) | instid1(SALU_CYCLE_1)
	v_cmp_eq_u32_e32 vcc_lo, v0, v37
                                        ; implicit-def: $vgpr0
	s_and_saveexec_b32 s51, vcc_lo
	s_xor_b32 s51, exec_lo, s51
; %bb.81:                               ;   in Loop: Header=BB1_22 Depth=1
	s_mov_b32 s7, exec_lo
	v_bfe_u32 v0, v1, s11, 11
; %bb.82:                               ;   in Loop: Header=BB1_22 Depth=1
	s_or_b32 exec_lo, exec_lo, s51
	s_delay_alu instid0(SALU_CYCLE_1)
	s_and_b32 s51, s7, exec_lo
.LBB1_83:                               ;   in Loop: Header=BB1_22 Depth=1
	s_or_b32 exec_lo, exec_lo, s53
	s_delay_alu instid0(SALU_CYCLE_1)
	s_and_b32 vcc_lo, exec_lo, s52
	s_cbranch_vccz .LBB1_96
.LBB1_84:                               ;   in Loop: Header=BB1_22 Depth=1
	v_mov_b32_e32 v0, v24
	s_and_saveexec_b32 s7, s4
	s_cbranch_execz .LBB1_88
; %bb.85:                               ;   in Loop: Header=BB1_22 Depth=1
	v_dual_mov_b32 v2, v22 :: v_dual_mov_b32 v3, v23
	v_dual_mov_b32 v0, v20 :: v_dual_mov_b32 v1, v21
	s_mov_b32 s52, 0
.LBB1_86:                               ;   Parent Loop BB1_22 Depth=1
                                        ; =>  This Inner Loop Header: Depth=2
	s_delay_alu instid0(VALU_DEP_1) | instskip(NEXT) | instid1(VALU_DEP_3)
	v_lshlrev_b64 v[8:9], 4, v[0:1]
	v_lshlrev_b64 v[1:2], 4, v[2:3]
	v_add_nc_u32_e32 v0, s35, v0
	s_delay_alu instid0(VALU_DEP_3) | instskip(NEXT) | instid1(VALU_DEP_4)
	v_add_co_u32 v4, vcc_lo, s28, v8
	v_add_co_ci_u32_e32 v5, vcc_lo, s34, v9, vcc_lo
	v_add_co_u32 v10, vcc_lo, s43, v8
	v_add_co_ci_u32_e32 v11, vcc_lo, s44, v9, vcc_lo
	global_load_b128 v[4:7], v[4:5], off
	v_add_co_u32 v35, vcc_lo, s45, v8
	v_add_co_ci_u32_e32 v36, vcc_lo, s46, v9, vcc_lo
	global_load_b128 v[8:11], v[10:11], off
	s_waitcnt lgkmcnt(0)
	v_add_co_u32 v37, vcc_lo, s28, v1
	v_add_co_ci_u32_e32 v38, vcc_lo, s34, v2, vcc_lo
	s_waitcnt vmcnt(1)
	v_cmp_gt_i32_e32 vcc_lo, 0, v4
	v_cndmask_b32_e64 v1, 0x7fffffff, 0, vcc_lo
	v_cmp_gt_i32_e32 vcc_lo, 0, v5
	s_delay_alu instid0(VALU_DEP_2) | instskip(SKIP_2) | instid1(VALU_DEP_3)
	v_xor_b32_e32 v1, v1, v4
	v_cndmask_b32_e64 v2, 0x7fffffff, 0, vcc_lo
	v_cmp_gt_i32_e32 vcc_lo, 0, v6
	v_bfe_u32 v1, v1, s11, 11
	s_delay_alu instid0(VALU_DEP_3) | instskip(SKIP_2) | instid1(VALU_DEP_4)
	v_xor_b32_e32 v2, v2, v5
	v_cndmask_b32_e64 v3, 0x7fffffff, 0, vcc_lo
	v_cmp_gt_i32_e32 vcc_lo, 0, v7
	v_lshlrev_b32_e32 v1, 2, v1
	s_delay_alu instid0(VALU_DEP_4) | instskip(NEXT) | instid1(VALU_DEP_4)
	v_bfe_u32 v2, v2, s11, 11
	v_xor_b32_e32 v3, v3, v6
	v_cndmask_b32_e64 v39, 0x7fffffff, 0, vcc_lo
	s_waitcnt vmcnt(0)
	v_cmp_gt_i32_e32 vcc_lo, 0, v8
	v_lshlrev_b32_e32 v2, 2, v2
	v_bfe_u32 v3, v3, s11, 11
	v_xor_b32_e32 v4, v39, v7
	v_cndmask_b32_e64 v5, 0x7fffffff, 0, vcc_lo
	v_cmp_gt_i32_e32 vcc_lo, 0, v9
	s_delay_alu instid0(VALU_DEP_4) | instskip(NEXT) | instid1(VALU_DEP_4)
	v_lshlrev_b32_e32 v3, 2, v3
	v_bfe_u32 v4, v4, s11, 11
	s_delay_alu instid0(VALU_DEP_4) | instskip(SKIP_2) | instid1(VALU_DEP_4)
	v_xor_b32_e32 v5, v5, v8
	v_cndmask_b32_e64 v6, 0x7fffffff, 0, vcc_lo
	v_cmp_gt_i32_e32 vcc_lo, 0, v10
	v_lshlrev_b32_e32 v4, 2, v4
	ds_add_u32 v1, v52 offset:8448
	ds_add_u32 v2, v52 offset:8448
	;; [unrolled: 1-line block ×4, first 2 shown]
	s_clause 0x1
	global_load_b128 v[1:4], v[35:36], off
	global_load_b128 v[35:38], v[37:38], off
	v_cndmask_b32_e64 v7, 0x7fffffff, 0, vcc_lo
	v_cmp_gt_i32_e32 vcc_lo, 0, v11
	v_xor_b32_e32 v6, v6, v9
	v_bfe_u32 v5, v5, s11, 11
	s_delay_alu instid0(VALU_DEP_4) | instskip(SKIP_1) | instid1(VALU_DEP_4)
	v_xor_b32_e32 v7, v7, v10
	v_cndmask_b32_e64 v39, 0x7fffffff, 0, vcc_lo
	v_bfe_u32 v6, v6, s11, 11
	s_delay_alu instid0(VALU_DEP_4) | instskip(NEXT) | instid1(VALU_DEP_4)
	v_lshlrev_b32_e32 v5, 2, v5
	v_bfe_u32 v7, v7, s11, 11
	s_delay_alu instid0(VALU_DEP_4) | instskip(NEXT) | instid1(VALU_DEP_4)
	v_xor_b32_e32 v8, v39, v11
	v_lshlrev_b32_e32 v6, 2, v6
	s_delay_alu instid0(VALU_DEP_3) | instskip(NEXT) | instid1(VALU_DEP_3)
	v_lshlrev_b32_e32 v7, 2, v7
	v_bfe_u32 v8, v8, s11, 11
	s_delay_alu instid0(VALU_DEP_1)
	v_lshlrev_b32_e32 v8, 2, v8
	ds_add_u32 v5, v52 offset:8448
	ds_add_u32 v6, v52 offset:8448
	;; [unrolled: 1-line block ×4, first 2 shown]
	s_waitcnt vmcnt(1)
	v_cmp_gt_i32_e32 vcc_lo, 0, v1
	v_cndmask_b32_e64 v5, 0x7fffffff, 0, vcc_lo
	v_cmp_gt_i32_e32 vcc_lo, 0, v2
	s_delay_alu instid0(VALU_DEP_2) | instskip(SKIP_2) | instid1(VALU_DEP_3)
	v_xor_b32_e32 v1, v5, v1
	v_cndmask_b32_e64 v6, 0x7fffffff, 0, vcc_lo
	v_cmp_gt_i32_e32 vcc_lo, 0, v3
	v_bfe_u32 v1, v1, s11, 11
	s_delay_alu instid0(VALU_DEP_3) | instskip(SKIP_2) | instid1(VALU_DEP_4)
	v_xor_b32_e32 v2, v6, v2
	v_cndmask_b32_e64 v7, 0x7fffffff, 0, vcc_lo
	v_cmp_gt_i32_e32 vcc_lo, 0, v4
	v_lshlrev_b32_e32 v1, 2, v1
	s_delay_alu instid0(VALU_DEP_4) | instskip(NEXT) | instid1(VALU_DEP_4)
	v_bfe_u32 v2, v2, s11, 11
	v_xor_b32_e32 v3, v7, v3
	v_cndmask_b32_e64 v8, 0x7fffffff, 0, vcc_lo
	s_waitcnt vmcnt(0)
	v_cmp_gt_i32_e32 vcc_lo, 0, v35
	v_lshlrev_b32_e32 v2, 2, v2
	v_bfe_u32 v3, v3, s11, 11
	v_xor_b32_e32 v4, v8, v4
	v_cndmask_b32_e64 v9, 0x7fffffff, 0, vcc_lo
	v_cmp_gt_i32_e32 vcc_lo, 0, v36
	s_delay_alu instid0(VALU_DEP_4) | instskip(NEXT) | instid1(VALU_DEP_4)
	v_lshlrev_b32_e32 v3, 2, v3
	v_bfe_u32 v4, v4, s11, 11
	s_delay_alu instid0(VALU_DEP_4) | instskip(SKIP_2) | instid1(VALU_DEP_4)
	v_xor_b32_e32 v5, v9, v35
	v_cndmask_b32_e64 v10, 0x7fffffff, 0, vcc_lo
	v_cmp_gt_i32_e32 vcc_lo, 0, v37
	v_lshlrev_b32_e32 v4, 2, v4
	s_delay_alu instid0(VALU_DEP_4) | instskip(NEXT) | instid1(VALU_DEP_4)
	v_bfe_u32 v5, v5, s11, 11
	v_xor_b32_e32 v6, v10, v36
	v_cndmask_b32_e64 v11, 0x7fffffff, 0, vcc_lo
	v_cmp_gt_i32_e32 vcc_lo, 0, v38
	s_delay_alu instid0(VALU_DEP_4) | instskip(NEXT) | instid1(VALU_DEP_4)
	v_lshlrev_b32_e32 v5, 2, v5
	v_bfe_u32 v6, v6, s11, 11
	s_delay_alu instid0(VALU_DEP_4) | instskip(SKIP_1) | instid1(VALU_DEP_3)
	v_xor_b32_e32 v7, v11, v37
	v_cndmask_b32_e64 v39, 0x7fffffff, 0, vcc_lo
	v_lshlrev_b32_e32 v6, 2, v6
	s_delay_alu instid0(VALU_DEP_3) | instskip(NEXT) | instid1(VALU_DEP_3)
	v_bfe_u32 v7, v7, s11, 11
	v_xor_b32_e32 v8, v39, v38
	s_delay_alu instid0(VALU_DEP_2) | instskip(NEXT) | instid1(VALU_DEP_2)
	v_lshlrev_b32_e32 v7, 2, v7
	v_bfe_u32 v8, v8, s11, 11
	s_delay_alu instid0(VALU_DEP_1)
	v_lshlrev_b32_e32 v8, 2, v8
	ds_add_u32 v1, v52 offset:8448
	ds_add_u32 v2, v52 offset:8448
	;; [unrolled: 1-line block ×8, first 2 shown]
	v_ashrrev_i32_e32 v1, 31, v0
	v_add_co_u32 v2, vcc_lo, s39, v0
	s_delay_alu instid0(VALU_DEP_2) | instskip(NEXT) | instid1(VALU_DEP_1)
	v_add_co_ci_u32_e32 v3, vcc_lo, s40, v1, vcc_lo
	v_cmp_le_u64_e32 vcc_lo, s[20:21], v[2:3]
	s_or_b32 s52, vcc_lo, s52
	s_delay_alu instid0(SALU_CYCLE_1)
	s_and_not1_b32 exec_lo, exec_lo, s52
	s_cbranch_execnz .LBB1_86
; %bb.87:                               ;   in Loop: Header=BB1_22 Depth=1
	s_or_b32 exec_lo, exec_lo, s52
.LBB1_88:                               ;   in Loop: Header=BB1_22 Depth=1
	s_delay_alu instid0(SALU_CYCLE_1) | instskip(NEXT) | instid1(SALU_CYCLE_1)
	s_or_b32 exec_lo, exec_lo, s7
	s_mov_b32 s7, exec_lo
	v_cmpx_gt_i32_e64 s20, v0
	s_cbranch_execz .LBB1_91
; %bb.89:                               ;   in Loop: Header=BB1_22 Depth=1
	s_mov_b32 s52, 0
.LBB1_90:                               ;   Parent Loop BB1_22 Depth=1
                                        ; =>  This Inner Loop Header: Depth=2
	v_ashrrev_i32_e32 v1, 31, v0
	s_delay_alu instid0(VALU_DEP_1) | instskip(SKIP_1) | instid1(VALU_DEP_2)
	v_lshlrev_b64 v[1:2], 4, v[0:1]
	v_add_nc_u32_e32 v0, s18, v0
	v_add_co_u32 v1, vcc_lo, s28, v1
	s_delay_alu instid0(VALU_DEP_3)
	v_add_co_ci_u32_e32 v2, vcc_lo, s34, v2, vcc_lo
	global_load_b128 v[1:4], v[1:2], off
	s_waitcnt vmcnt(0)
	v_cmp_gt_i32_e32 vcc_lo, 0, v1
	v_cndmask_b32_e64 v5, 0x7fffffff, 0, vcc_lo
	v_cmp_gt_i32_e32 vcc_lo, 0, v2
	s_delay_alu instid0(VALU_DEP_2) | instskip(SKIP_2) | instid1(VALU_DEP_3)
	v_xor_b32_e32 v1, v5, v1
	v_cndmask_b32_e64 v6, 0x7fffffff, 0, vcc_lo
	v_cmp_gt_i32_e32 vcc_lo, 0, v3
	v_bfe_u32 v1, v1, s11, 11
	s_delay_alu instid0(VALU_DEP_3) | instskip(SKIP_2) | instid1(VALU_DEP_4)
	v_xor_b32_e32 v2, v6, v2
	v_cndmask_b32_e64 v7, 0x7fffffff, 0, vcc_lo
	v_cmp_gt_i32_e32 vcc_lo, 0, v4
	v_lshlrev_b32_e32 v1, 2, v1
	s_delay_alu instid0(VALU_DEP_4) | instskip(NEXT) | instid1(VALU_DEP_4)
	v_bfe_u32 v2, v2, s11, 11
	v_xor_b32_e32 v3, v7, v3
	v_cndmask_b32_e64 v8, 0x7fffffff, 0, vcc_lo
	v_cmp_le_i32_e32 vcc_lo, s20, v0
	s_delay_alu instid0(VALU_DEP_4) | instskip(NEXT) | instid1(VALU_DEP_4)
	v_lshlrev_b32_e32 v2, 2, v2
	v_bfe_u32 v3, v3, s11, 11
	s_delay_alu instid0(VALU_DEP_4) | instskip(SKIP_1) | instid1(VALU_DEP_2)
	v_xor_b32_e32 v4, v8, v4
	s_or_b32 s52, vcc_lo, s52
	v_lshlrev_b32_e32 v3, 2, v3
	s_delay_alu instid0(VALU_DEP_2) | instskip(NEXT) | instid1(VALU_DEP_1)
	v_bfe_u32 v4, v4, s11, 11
	v_lshlrev_b32_e32 v4, 2, v4
	ds_add_u32 v1, v52 offset:8448
	ds_add_u32 v2, v52 offset:8448
	;; [unrolled: 1-line block ×4, first 2 shown]
	s_and_not1_b32 exec_lo, exec_lo, s52
	s_cbranch_execnz .LBB1_90
.LBB1_91:                               ;   in Loop: Header=BB1_22 Depth=1
	s_or_b32 exec_lo, exec_lo, s7
	s_and_saveexec_b32 s7, s1
	s_cbranch_execz .LBB1_93
; %bb.92:                               ;   in Loop: Header=BB1_22 Depth=1
	global_load_b32 v0, v[18:19], off
	s_waitcnt vmcnt(0)
	v_cmp_gt_i32_e32 vcc_lo, 0, v0
	v_cndmask_b32_e64 v1, 0x7fffffff, 0, vcc_lo
	s_delay_alu instid0(VALU_DEP_1) | instskip(NEXT) | instid1(VALU_DEP_1)
	v_xor_b32_e32 v0, v1, v0
	v_bfe_u32 v0, v0, s11, 11
	s_delay_alu instid0(VALU_DEP_1)
	v_lshlrev_b32_e32 v0, 2, v0
	ds_add_u32 v0, v52 offset:8448
.LBB1_93:                               ;   in Loop: Header=BB1_22 Depth=1
	s_or_b32 exec_lo, exec_lo, s7
                                        ; implicit-def: $vgpr0
	s_and_saveexec_b32 s7, s0
	s_cbranch_execz .LBB1_95
; %bb.94:                               ;   in Loop: Header=BB1_22 Depth=1
	global_load_b32 v0, v[14:15], off
	s_or_b32 s51, s51, exec_lo
	s_waitcnt vmcnt(0)
	v_cmp_gt_i32_e32 vcc_lo, 0, v0
	v_cndmask_b32_e64 v1, 0x7fffffff, 0, vcc_lo
	s_delay_alu instid0(VALU_DEP_1) | instskip(NEXT) | instid1(VALU_DEP_1)
	v_xor_b32_e32 v0, v1, v0
	v_bfe_u32 v0, v0, s11, 11
.LBB1_95:                               ;   in Loop: Header=BB1_22 Depth=1
	s_or_b32 exec_lo, exec_lo, s7
.LBB1_96:                               ;   in Loop: Header=BB1_22 Depth=1
	s_and_saveexec_b32 s7, s51
	s_cbranch_execz .LBB1_98
; %bb.97:                               ;   in Loop: Header=BB1_22 Depth=1
	s_delay_alu instid0(VALU_DEP_1)
	v_lshlrev_b32_e32 v0, 2, v0
	ds_add_u32 v0, v52 offset:8448
.LBB1_98:                               ;   in Loop: Header=BB1_22 Depth=1
	s_or_b32 exec_lo, exec_lo, s7
	v_dual_mov_b32 v0, v32 :: v_dual_mov_b32 v3, v26
	v_dual_mov_b32 v2, v28 :: v_dual_mov_b32 v1, v33
	s_mov_b32 s51, 0
	s_waitcnt lgkmcnt(0)
	s_barrier
	buffer_gl0_inv
	s_branch .LBB1_100
	.p2align	6
.LBB1_99:                               ;   in Loop: Header=BB1_100 Depth=2
	s_or_b32 exec_lo, exec_lo, s7
	v_add_nc_u32_e32 v3, s42, v3
	v_add_co_u32 v0, s7, v0, s50
	s_delay_alu instid0(VALU_DEP_1) | instskip(NEXT) | instid1(VALU_DEP_3)
	v_add_co_ci_u32_e64 v1, s7, 0, v1, s7
	v_cmp_lt_u32_e32 vcc_lo, 0x7ff, v3
	v_add_nc_u32_e32 v2, s50, v2
	s_or_b32 s51, vcc_lo, s51
	s_delay_alu instid0(SALU_CYCLE_1)
	s_and_not1_b32 exec_lo, exec_lo, s51
	s_cbranch_execz .LBB1_102
.LBB1_100:                              ;   Parent Loop BB1_22 Depth=1
                                        ; =>  This Inner Loop Header: Depth=2
	ds_load_b32 v4, v2
	s_mov_b32 s7, exec_lo
	s_waitcnt lgkmcnt(0)
	v_cmpx_ne_u32_e32 0, v4
	s_cbranch_execz .LBB1_99
; %bb.101:                              ;   in Loop: Header=BB1_100 Depth=2
	global_atomic_add_u32 v[0:1], v4, off
	s_branch .LBB1_99
.LBB1_102:                              ;   in Loop: Header=BB1_22 Depth=1
	s_or_b32 exec_lo, exec_lo, s51
	s_mov_b32 s7, 0
	s_waitcnt_vscnt null, 0x0
	s_barrier
	buffer_gl0_inv
	s_and_saveexec_b32 s51, s3
	s_cbranch_execz .LBB1_104
; %bb.103:                              ;   in Loop: Header=BB1_22 Depth=1
	v_mov_b32_e32 v0, s47
	global_atomic_inc_u32 v0, v27, v0, s[8:9] offset:256 glc
	s_waitcnt vmcnt(0)
	v_cmp_eq_u32_e32 vcc_lo, s47, v0
	s_and_b32 s7, vcc_lo, exec_lo
.LBB1_104:                              ;   in Loop: Header=BB1_22 Depth=1
	s_or_b32 exec_lo, exec_lo, s51
	global_load_b32 v0, v27, s[26:27] offset:14
	v_cndmask_b32_e64 v1, 0, 1, s7
	s_delay_alu instid0(VALU_DEP_1) | instskip(NEXT) | instid1(VALU_DEP_1)
	v_or_b32_dpp v1, v1, v1 row_shl:1 row_mask:0xf bank_mask:0xf bound_ctrl:1
	v_or_b32_dpp v1, v1, v1 row_shl:2 row_mask:0xf bank_mask:0xf bound_ctrl:1
	s_delay_alu instid0(VALU_DEP_1) | instskip(NEXT) | instid1(VALU_DEP_1)
	v_or_b32_dpp v1, v1, v1 row_shl:4 row_mask:0xf bank_mask:0xf bound_ctrl:1
	v_or_b32_dpp v1, v1, v1 row_shl:8 row_mask:0xf bank_mask:0xf bound_ctrl:1
	s_waitcnt vmcnt(0)
	v_readfirstlane_b32 s51, v0
	s_delay_alu instid0(VALU_DEP_2) | instskip(NEXT) | instid1(VALU_DEP_2)
	v_mov_b32_dpp v0, v1 row_share:0 row_mask:0xf bank_mask:0xf bound_ctrl:1
	s_and_b32 s7, s51, 0xffff
	s_lshr_b32 s51, s51, 16
	s_mul_i32 s52, s48, s7
	s_delay_alu instid0(VALU_DEP_1) | instskip(SKIP_1) | instid1(SALU_CYCLE_1)
	v_permlanex16_b32 v1, v0, 0, 0 op_sel:[0,1]
	s_ashr_i32 s52, s52, 8
	s_mul_i32 s51, s52, s51
	s_delay_alu instid0(VALU_DEP_1) | instskip(SKIP_1) | instid1(SALU_CYCLE_1)
	v_or_b32_e32 v2, v1, v0
	s_add_i32 s51, s51, 31
	s_and_not1_b32 s51, s51, 31
	s_delay_alu instid0(SALU_CYCLE_1)
	s_cmp_eq_u32 s51, 32
	s_cbranch_scc1 .LBB1_113
; %bb.105:                              ;   in Loop: Header=BB1_22 Depth=1
	v_mad_u32_u24 v3, v45, s7, v46
	s_mov_b32 s7, exec_lo
	s_delay_alu instid0(VALU_DEP_1) | instskip(NEXT) | instid1(VALU_DEP_1)
	v_mad_u64_u32 v[0:1], null, v3, s42, v[26:27]
	v_lshrrev_b32_e32 v1, 5, v0
	s_delay_alu instid0(VALU_DEP_1) | instskip(NEXT) | instid1(VALU_DEP_1)
	v_or_b32_e32 v1, v54, v1
	v_cmpx_eq_u32_e32 0, v1
	s_cbranch_execz .LBB1_107
; %bb.106:                              ;   in Loop: Header=BB1_22 Depth=1
	ds_store_b32 v27, v2 offset:16640
.LBB1_107:                              ;   in Loop: Header=BB1_22 Depth=1
	s_or_b32 exec_lo, exec_lo, s7
	v_cmp_eq_u32_e32 vcc_lo, 0, v54
	v_cmp_lt_u32_e64 s7, 31, v0
	s_waitcnt lgkmcnt(0)
	s_barrier
	buffer_gl0_inv
	s_and_b32 s51, s7, vcc_lo
	s_delay_alu instid0(SALU_CYCLE_1)
	s_and_saveexec_b32 s7, s51
	s_cbranch_execz .LBB1_112
; %bb.108:                              ;   in Loop: Header=BB1_22 Depth=1
	s_mov_b32 s52, exec_lo
	s_mov_b32 s51, 0
.LBB1_109:                              ;   Parent Loop BB1_22 Depth=1
                                        ; =>  This Inner Loop Header: Depth=2
	s_ctz_i32_b32 s53, s52
	s_delay_alu instid0(SALU_CYCLE_1) | instskip(SKIP_1) | instid1(SALU_CYCLE_1)
	v_readlane_b32 s54, v2, s53
	s_lshl_b32 s53, 1, s53
	s_and_not1_b32 s52, s52, s53
	s_delay_alu instid0(VALU_DEP_1)
	s_or_b32 s51, s51, s54
	s_cmp_lg_u32 s52, 0
	s_cbranch_scc1 .LBB1_109
; %bb.110:                              ;   in Loop: Header=BB1_22 Depth=1
	v_mbcnt_lo_u32_b32 v0, exec_lo, 0
	s_mov_b32 s52, exec_lo
	s_delay_alu instid0(VALU_DEP_1)
	v_cmpx_eq_u32_e32 0, v0
	s_xor_b32 s52, exec_lo, s52
	s_cbranch_execz .LBB1_112
; %bb.111:                              ;   in Loop: Header=BB1_22 Depth=1
	v_mov_b32_e32 v0, s51
	ds_or_b32 v27, v0 offset:16640
.LBB1_112:                              ;   in Loop: Header=BB1_22 Depth=1
	s_or_b32 exec_lo, exec_lo, s7
	s_waitcnt lgkmcnt(0)
	s_barrier
	buffer_gl0_inv
	ds_load_b32 v2, v27 offset:16640
	s_waitcnt lgkmcnt(0)
	s_barrier
	buffer_gl0_inv
.LBB1_113:                              ;   in Loop: Header=BB1_22 Depth=1
	s_mov_b32 s7, exec_lo
	v_cmpx_ne_u32_e32 0, v2
	s_xor_b32 s7, exec_lo, s7
	s_cbranch_execz .LBB1_117
; %bb.114:                              ;   in Loop: Header=BB1_22 Depth=1
	s_and_saveexec_b32 s51, s3
	s_cbranch_execz .LBB1_116
; %bb.115:                              ;   in Loop: Header=BB1_22 Depth=1
	s_add_i32 s52, s29, 1
	v_dual_mov_b32 v0, s8 :: v_dual_mov_b32 v1, s9
	v_mov_b32_e32 v2, s52
	flat_store_b32 v[0:1], v2 offset:640
.LBB1_116:                              ;   in Loop: Header=BB1_22 Depth=1
	s_or_b32 exec_lo, exec_lo, s51
.LBB1_117:                              ;   in Loop: Header=BB1_22 Depth=1
	s_and_not1_saveexec_b32 s7, s7
	s_cbranch_execz .LBB1_123
; %bb.118:                              ;   in Loop: Header=BB1_22 Depth=1
	s_and_saveexec_b32 s51, s3
	s_cbranch_execz .LBB1_122
; %bb.119:                              ;   in Loop: Header=BB1_22 Depth=1
	v_dual_mov_b32 v0, s8 :: v_dual_mov_b32 v1, s9
	flat_load_b32 v0, v[0:1] offset:640 glc
	s_waitcnt vmcnt(0) lgkmcnt(0)
	buffer_gl1_inv
	buffer_gl0_inv
	v_cmp_ge_u32_e32 vcc_lo, s29, v0
	s_and_b32 exec_lo, exec_lo, vcc_lo
	s_cbranch_execz .LBB1_122
; %bb.120:                              ;   in Loop: Header=BB1_22 Depth=1
	s_mov_b32 s52, 0
.LBB1_121:                              ;   Parent Loop BB1_22 Depth=1
                                        ; =>  This Inner Loop Header: Depth=2
	v_dual_mov_b32 v0, s8 :: v_dual_mov_b32 v1, s9
	s_sleep 1
	flat_load_b32 v0, v[0:1] offset:640 glc
	s_waitcnt vmcnt(0) lgkmcnt(0)
	buffer_gl1_inv
	buffer_gl0_inv
	v_readfirstlane_b32 s53, v0
	s_delay_alu instid0(VALU_DEP_1) | instskip(SKIP_1) | instid1(SALU_CYCLE_1)
	s_cmp_gt_u32 s53, s29
	s_cselect_b32 s53, -1, 0
	s_and_b32 s53, exec_lo, s53
	s_delay_alu instid0(SALU_CYCLE_1) | instskip(NEXT) | instid1(SALU_CYCLE_1)
	s_or_b32 s52, s53, s52
	s_and_not1_b32 exec_lo, exec_lo, s52
	s_cbranch_execnz .LBB1_121
.LBB1_122:                              ;   in Loop: Header=BB1_22 Depth=1
	s_or_b32 exec_lo, exec_lo, s51
	s_waitcnt lgkmcnt(0)
	s_waitcnt_vscnt null, 0x0
	s_barrier
	buffer_gl0_inv
.LBB1_123:                              ;   in Loop: Header=BB1_22 Depth=1
	s_or_b32 exec_lo, exec_lo, s7
	v_dual_mov_b32 v0, v32 :: v_dual_mov_b32 v3, v26
	v_dual_mov_b32 v2, v28 :: v_dual_mov_b32 v1, v33
	s_mov_b32 s51, 0
.LBB1_124:                              ;   Parent Loop BB1_22 Depth=1
                                        ; =>  This Inner Loop Header: Depth=2
	global_load_b32 v4, v[0:1], off
	v_add_nc_u32_e32 v3, s42, v3
	v_add_co_u32 v0, vcc_lo, v0, s50
	v_add_co_ci_u32_e32 v1, vcc_lo, 0, v1, vcc_lo
	s_delay_alu instid0(VALU_DEP_3) | instskip(NEXT) | instid1(VALU_DEP_1)
	v_cmp_lt_u32_e64 s7, 0x7ff, v3
	s_or_b32 s51, s7, s51
	s_waitcnt vmcnt(0)
	ds_store_b32 v2, v4
	v_add_nc_u32_e32 v2, s50, v2
	s_and_not1_b32 exec_lo, exec_lo, s51
	s_cbranch_execnz .LBB1_124
; %bb.125:                              ;   in Loop: Header=BB1_22 Depth=1
	s_or_b32 exec_lo, exec_lo, s51
	s_waitcnt lgkmcnt(0)
	s_waitcnt_vscnt null, 0x0
	s_barrier
	buffer_gl0_inv
	flat_load_b32 v0, v[28:29] glc dlc
	s_waitcnt vmcnt(0)
	flat_load_b32 v1, v[30:31] glc dlc
	s_waitcnt vmcnt(0) lgkmcnt(1)
	ds_store_b32 v25, v0
	s_waitcnt lgkmcnt(1)
	ds_store_b32 v47, v1 offset:4096
	s_waitcnt lgkmcnt(0)
	s_barrier
	buffer_gl0_inv
	ds_load_2addr_b32 v[0:1], v48 offset1:1
	s_waitcnt lgkmcnt(0)
	s_barrier
	buffer_gl0_inv
	v_add_nc_u32_e32 v2, v1, v0
	ds_store_b32 v25, v2
	s_waitcnt lgkmcnt(0)
	s_barrier
	buffer_gl0_inv
	s_and_saveexec_b32 s7, s5
	s_cbranch_execz .LBB1_127
; %bb.126:                              ;   in Loop: Header=BB1_22 Depth=1
	ds_load_2addr_b32 v[3:4], v53 offset1:1
	ds_load_2addr_b32 v[5:6], v53 offset0:2 offset1:3
	ds_load_2addr_b32 v[7:8], v53 offset0:4 offset1:5
	;; [unrolled: 1-line block ×3, first 2 shown]
	v_and_b32_e32 v71, 15, v54
	ds_load_2addr_b32 v[35:36], v53 offset0:8 offset1:9
	ds_load_2addr_b32 v[37:38], v53 offset0:10 offset1:11
	;; [unrolled: 1-line block ×4, first 2 shown]
	v_cmp_ne_u32_e32 vcc_lo, 0, v71
	ds_load_2addr_b32 v[55:56], v53 offset0:16 offset1:17
	ds_load_2addr_b32 v[57:58], v53 offset0:18 offset1:19
	;; [unrolled: 1-line block ×8, first 2 shown]
	v_bfe_i32 v73, v54, 4, 1
	s_waitcnt lgkmcnt(15)
	v_add_nc_u32_e32 v11, v4, v3
	s_waitcnt lgkmcnt(14)
	s_delay_alu instid0(VALU_DEP_1) | instskip(SKIP_1) | instid1(VALU_DEP_1)
	v_add3_u32 v11, v11, v5, v6
	s_waitcnt lgkmcnt(13)
	v_add3_u32 v11, v11, v7, v8
	s_waitcnt lgkmcnt(12)
	s_delay_alu instid0(VALU_DEP_1) | instskip(SKIP_1) | instid1(VALU_DEP_1)
	v_add3_u32 v11, v11, v9, v10
	s_waitcnt lgkmcnt(11)
	v_add3_u32 v11, v11, v35, v36
	;; [unrolled: 5-line block ×7, first 2 shown]
	s_waitcnt lgkmcnt(0)
	s_delay_alu instid0(VALU_DEP_1) | instskip(NEXT) | instid1(VALU_DEP_1)
	v_add3_u32 v11, v11, v69, v70
	v_mov_b32_dpp v72, v11 row_shr:1 row_mask:0xf bank_mask:0xf
	s_delay_alu instid0(VALU_DEP_1) | instskip(SKIP_1) | instid1(VALU_DEP_2)
	v_cndmask_b32_e32 v72, 0, v72, vcc_lo
	v_cmp_lt_u32_e32 vcc_lo, 1, v71
	v_add_nc_u32_e32 v11, v72, v11
	s_delay_alu instid0(VALU_DEP_1) | instskip(NEXT) | instid1(VALU_DEP_1)
	v_mov_b32_dpp v72, v11 row_shr:2 row_mask:0xf bank_mask:0xf
	v_cndmask_b32_e32 v72, 0, v72, vcc_lo
	v_cmp_lt_u32_e32 vcc_lo, 3, v71
	s_delay_alu instid0(VALU_DEP_2) | instskip(NEXT) | instid1(VALU_DEP_1)
	v_add_nc_u32_e32 v11, v11, v72
	v_mov_b32_dpp v72, v11 row_shr:4 row_mask:0xf bank_mask:0xf
	s_delay_alu instid0(VALU_DEP_1) | instskip(SKIP_1) | instid1(VALU_DEP_2)
	v_cndmask_b32_e32 v72, 0, v72, vcc_lo
	v_cmp_lt_u32_e32 vcc_lo, 7, v71
	v_add_nc_u32_e32 v11, v11, v72
	s_delay_alu instid0(VALU_DEP_1) | instskip(NEXT) | instid1(VALU_DEP_1)
	v_mov_b32_dpp v72, v11 row_shr:8 row_mask:0xf bank_mask:0xf
	v_dual_cndmask_b32 v71, 0, v72 :: v_dual_add_nc_u32 v72, -1, v54
	s_delay_alu instid0(VALU_DEP_1) | instskip(NEXT) | instid1(VALU_DEP_2)
	v_add_nc_u32_e32 v11, v11, v71
	v_cmp_gt_i32_e32 vcc_lo, 0, v72
	ds_swizzle_b32 v71, v11 offset:swizzle(BROADCAST,32,15)
	v_cndmask_b32_e32 v72, v72, v54, vcc_lo
	s_delay_alu instid0(VALU_DEP_1) | instskip(SKIP_2) | instid1(VALU_DEP_1)
	v_lshlrev_b32_e32 v72, 2, v72
	s_waitcnt lgkmcnt(0)
	v_and_b32_e32 v71, v73, v71
	v_add_nc_u32_e32 v11, v11, v71
	ds_bpermute_b32 v11, v72, v11
	s_waitcnt lgkmcnt(0)
	v_add_nc_u32_e32 v3, v11, v3
	s_delay_alu instid0(VALU_DEP_1) | instskip(NEXT) | instid1(VALU_DEP_1)
	v_cndmask_b32_e64 v2, v3, v2, s3
	v_add_nc_u32_e32 v3, v2, v4
	s_delay_alu instid0(VALU_DEP_1) | instskip(NEXT) | instid1(VALU_DEP_1)
	v_add_nc_u32_e32 v4, v3, v5
	v_add_nc_u32_e32 v5, v4, v6
	s_delay_alu instid0(VALU_DEP_1) | instskip(NEXT) | instid1(VALU_DEP_1)
	v_add_nc_u32_e32 v6, v5, v7
	;; [unrolled: 3-line block ×3, first 2 shown]
	v_add_nc_u32_e32 v9, v8, v10
	ds_store_2addr_b32 v53, v2, v3 offset1:1
	ds_store_2addr_b32 v53, v4, v5 offset0:2 offset1:3
	ds_store_2addr_b32 v53, v6, v7 offset0:4 offset1:5
	;; [unrolled: 1-line block ×3, first 2 shown]
	v_add_nc_u32_e32 v10, v9, v35
	s_delay_alu instid0(VALU_DEP_1) | instskip(NEXT) | instid1(VALU_DEP_1)
	v_add_nc_u32_e32 v11, v10, v36
	v_add_nc_u32_e32 v35, v11, v37
	s_delay_alu instid0(VALU_DEP_1) | instskip(NEXT) | instid1(VALU_DEP_1)
	v_add_nc_u32_e32 v36, v35, v38
	;; [unrolled: 3-line block ×3, first 2 shown]
	v_add_nc_u32_e32 v39, v38, v41
	s_delay_alu instid0(VALU_DEP_1)
	v_add_nc_u32_e32 v40, v39, v42
	ds_store_2addr_b32 v53, v10, v11 offset0:8 offset1:9
	ds_store_2addr_b32 v53, v35, v36 offset0:10 offset1:11
	;; [unrolled: 1-line block ×4, first 2 shown]
	v_add_nc_u32_e32 v41, v40, v55
	s_delay_alu instid0(VALU_DEP_1) | instskip(NEXT) | instid1(VALU_DEP_1)
	v_add_nc_u32_e32 v42, v41, v56
	v_add_nc_u32_e32 v55, v42, v57
	s_delay_alu instid0(VALU_DEP_1) | instskip(NEXT) | instid1(VALU_DEP_1)
	v_add_nc_u32_e32 v56, v55, v58
	;; [unrolled: 3-line block ×7, first 2 shown]
	v_add_nc_u32_e32 v2, v66, v69
	s_delay_alu instid0(VALU_DEP_1)
	v_add_nc_u32_e32 v3, v2, v70
	ds_store_2addr_b32 v53, v41, v42 offset0:16 offset1:17
	ds_store_2addr_b32 v53, v55, v56 offset0:18 offset1:19
	ds_store_2addr_b32 v53, v57, v58 offset0:20 offset1:21
	ds_store_2addr_b32 v53, v59, v60 offset0:22 offset1:23
	ds_store_2addr_b32 v53, v61, v62 offset0:24 offset1:25
	ds_store_2addr_b32 v53, v63, v64 offset0:26 offset1:27
	ds_store_2addr_b32 v53, v65, v66 offset0:28 offset1:29
	ds_store_2addr_b32 v53, v2, v3 offset0:30 offset1:31
.LBB1_127:                              ;   in Loop: Header=BB1_22 Depth=1
	s_or_b32 exec_lo, exec_lo, s7
	v_mov_b32_e32 v2, 0
	s_waitcnt lgkmcnt(0)
	s_barrier
	buffer_gl0_inv
	s_and_saveexec_b32 s7, s2
	s_cbranch_execz .LBB1_129
; %bb.128:                              ;   in Loop: Header=BB1_22 Depth=1
	ds_load_b32 v2, v49
.LBB1_129:                              ;   in Loop: Header=BB1_22 Depth=1
	s_or_b32 exec_lo, exec_lo, s7
	s_waitcnt lgkmcnt(0)
	v_add_nc_u32_e32 v0, v2, v0
	s_barrier
	buffer_gl0_inv
	v_mov_b32_e32 v3, v50
	v_dual_mov_b32 v4, v26 :: v_dual_add_nc_u32 v1, v0, v1
	s_mov_b32 s51, 0
	ds_store_2addr_b32 v48, v0, v1 offset1:1
	s_waitcnt lgkmcnt(0)
	s_barrier
	buffer_gl0_inv
	ds_load_b32 v0, v25
	ds_load_b32 v1, v47 offset:4096
	s_waitcnt lgkmcnt(1)
	flat_store_b32 v[28:29], v0 dlc
	s_waitcnt_vscnt null, 0x0
	s_waitcnt lgkmcnt(1)
	flat_store_b32 v[30:31], v1 dlc
	s_waitcnt_vscnt null, 0x0
	s_waitcnt lgkmcnt(0)
	s_barrier
	buffer_gl0_inv
	ds_load_b32 v0, v27 offset:16896
	s_set_inst_prefetch_distance 0x1
	s_branch .LBB1_131
	.p2align	6
.LBB1_130:                              ;   in Loop: Header=BB1_131 Depth=2
	s_or_b32 exec_lo, exec_lo, s7
	v_add_nc_u32_e32 v4, s42, v4
	v_add_nc_u32_e32 v3, s50, v3
	s_delay_alu instid0(VALU_DEP_2) | instskip(SKIP_1) | instid1(SALU_CYCLE_1)
	v_cmp_lt_u32_e32 vcc_lo, 0x7ff, v4
	s_or_b32 s51, vcc_lo, s51
	s_and_not1_b32 exec_lo, exec_lo, s51
	s_cbranch_execz .LBB1_135
.LBB1_131:                              ;   Parent Loop BB1_22 Depth=1
                                        ; =>  This Inner Loop Header: Depth=2
	v_mov_b32_e32 v2, 0
	s_mov_b32 s7, exec_lo
	v_cmpx_ne_u32_e32 0, v4
	s_cbranch_execz .LBB1_133
; %bb.132:                              ;   in Loop: Header=BB1_131 Depth=2
	ds_load_b32 v2, v3
.LBB1_133:                              ;   in Loop: Header=BB1_131 Depth=2
	s_or_b32 exec_lo, exec_lo, s7
	ds_load_b32 v5, v3 offset:4
	s_waitcnt lgkmcnt(1)
	v_cmp_gt_i32_e32 vcc_lo, v34, v2
	s_waitcnt lgkmcnt(0)
	v_cmp_ge_i32_e64 s7, v5, v34
	s_delay_alu instid0(VALU_DEP_1) | instskip(NEXT) | instid1(SALU_CYCLE_1)
	s_and_b32 s52, vcc_lo, s7
	s_and_saveexec_b32 s7, s52
	s_cbranch_execz .LBB1_130
; %bb.134:                              ;   in Loop: Header=BB1_131 Depth=2
	v_sub_nc_u32_e32 v1, v34, v2
	v_sub_nc_u32_e32 v2, v5, v2
	v_lshl_or_b32 v0, v4, s11, v0
	ds_store_b96 v27, v[0:2] offset:16896
	s_branch .LBB1_130
.LBB1_135:                              ;   in Loop: Header=BB1_22 Depth=1
	s_set_inst_prefetch_distance 0x2
	s_or_b32 exec_lo, exec_lo, s51
	s_cmp_eq_u32 s29, 2
	s_waitcnt lgkmcnt(0)
	s_barrier
	buffer_gl0_inv
	s_cbranch_scc0 .LBB1_620
; %bb.136:                              ;   in Loop: Header=BB1_22 Depth=1
	ds_load_b64 v[34:35], v27 offset:16896
	s_and_saveexec_b32 s7, s6
	s_cbranch_execz .LBB1_138
; %bb.137:                              ;   in Loop: Header=BB1_22 Depth=1
	s_waitcnt lgkmcnt(0)
	s_clause 0x1
	global_store_b32 v27, v35, s[8:9]
	global_store_b32 v27, v34, s[8:9] offset:12
.LBB1_138:                              ;   in Loop: Header=BB1_22 Depth=1
	s_or_b32 exec_lo, exec_lo, s7
	v_mov_b32_e32 v36, v24
	s_and_saveexec_b32 s7, s4
	s_cbranch_execz .LBB1_494
; %bb.139:                              ;   in Loop: Header=BB1_22 Depth=1
	v_dual_mov_b32 v39, v23 :: v_dual_mov_b32 v38, v22
	v_dual_mov_b32 v37, v21 :: v_dual_mov_b32 v36, v20
	s_mov_b32 s11, 0
	s_branch .LBB1_141
.LBB1_140:                              ;   in Loop: Header=BB1_141 Depth=2
	s_or_b32 exec_lo, exec_lo, s51
	v_add_nc_u32_e32 v36, s35, v36
	s_delay_alu instid0(VALU_DEP_1) | instskip(SKIP_1) | instid1(VALU_DEP_2)
	v_ashrrev_i32_e32 v37, 31, v36
	v_add_co_u32 v38, vcc_lo, s39, v36
	v_add_co_ci_u32_e32 v39, vcc_lo, s40, v37, vcc_lo
	s_delay_alu instid0(VALU_DEP_1) | instskip(SKIP_1) | instid1(SALU_CYCLE_1)
	v_cmp_le_u64_e32 vcc_lo, s[20:21], v[38:39]
	s_or_b32 s11, vcc_lo, s11
	s_and_not1_b32 exec_lo, exec_lo, s11
	s_cbranch_execz .LBB1_493
.LBB1_141:                              ;   Parent Loop BB1_22 Depth=1
                                        ; =>  This Inner Loop Header: Depth=2
	s_delay_alu instid0(VALU_DEP_1) | instskip(SKIP_2) | instid1(VALU_DEP_1)
	v_lshlrev_b64 v[0:1], 4, v[36:37]
	s_mov_b32 s52, 0
	s_mov_b32 s51, exec_lo
                                        ; implicit-def: $vgpr11
                                        ; implicit-def: $vgpr40_vgpr41
	v_add_co_u32 v4, vcc_lo, s28, v0
	s_waitcnt vmcnt(0)
	s_delay_alu instid0(VALU_DEP_2) | instskip(NEXT) | instid1(VALU_DEP_2)
	v_add_co_ci_u32_e32 v5, vcc_lo, s34, v1, vcc_lo
	v_add_co_u32 v8, vcc_lo, v4, s24
	global_load_b128 v[0:3], v[4:5], off
	v_add_co_ci_u32_e32 v9, vcc_lo, s25, v5, vcc_lo
	global_load_b128 v[4:7], v[8:9], off
	s_waitcnt vmcnt(1)
	v_cmp_gt_i32_e32 vcc_lo, 0, v0
	v_cndmask_b32_e64 v10, 0x7fffffff, 0, vcc_lo
	s_delay_alu instid0(VALU_DEP_1) | instskip(SKIP_2) | instid1(VALU_DEP_2)
	v_xor_b32_e32 v37, v10, v0
	v_lshl_add_u32 v10, v36, 2, s22
	s_waitcnt lgkmcnt(0)
	v_cmpx_ge_u32_e64 v37, v34
	s_xor_b32 s51, exec_lo, s51
	s_cbranch_execz .LBB1_148
; %bb.142:                              ;   in Loop: Header=BB1_141 Depth=2
	s_mov_b32 s53, 0
	s_mov_b32 s52, exec_lo
                                        ; implicit-def: $vgpr11
                                        ; implicit-def: $vgpr40_vgpr41
	v_cmpx_eq_u32_e64 v37, v34
	s_cbranch_execz .LBB1_160
; %bb.143:                              ;   in Loop: Header=BB1_141 Depth=2
	s_mov_b32 s54, exec_lo
	s_mov_b32 s53, exec_lo
	v_mbcnt_lo_u32_b32 v11, s54, 0
                                        ; implicit-def: $vgpr37
	s_delay_alu instid0(VALU_DEP_1)
	v_cmpx_eq_u32_e32 0, v11
	s_cbranch_execz .LBB1_145
; %bb.144:                              ;   in Loop: Header=BB1_141 Depth=2
	s_bcnt1_i32_b32 s54, s54
	s_delay_alu instid0(SALU_CYCLE_1)
	v_mov_b32_e32 v37, s54
	global_atomic_add_u32 v37, v27, v37, s[8:9] offset:512 glc
.LBB1_145:                              ;   in Loop: Header=BB1_141 Depth=2
	s_or_b32 exec_lo, exec_lo, s53
	s_waitcnt vmcnt(0)
	v_readfirstlane_b32 s53, v37
	s_mov_b32 s54, 0
                                        ; implicit-def: $vgpr40_vgpr41
	s_delay_alu instid0(VALU_DEP_1) | instskip(SKIP_1) | instid1(VALU_DEP_1)
	v_add_nc_u32_e32 v37, s53, v11
	s_mov_b32 s53, exec_lo
                                        ; implicit-def: $vgpr11
	v_cmpx_lt_i32_e64 v37, v35
	s_xor_b32 s53, exec_lo, s53
	s_cbranch_execz .LBB1_159
; %bb.146:                              ;   in Loop: Header=BB1_141 Depth=2
	v_xad_u32 v40, v37, -1, s41
	s_delay_alu instid0(VALU_DEP_1) | instskip(NEXT) | instid1(VALU_DEP_1)
	v_ashrrev_i32_e32 v41, 31, v40
	v_lshlrev_b64 v[55:56], 2, v[40:41]
	s_delay_alu instid0(VALU_DEP_1) | instskip(NEXT) | instid1(VALU_DEP_2)
	v_add_co_u32 v55, vcc_lo, s31, v55
	v_add_co_ci_u32_e32 v56, vcc_lo, s33, v56, vcc_lo
	s_and_not1_b32 vcc_lo, exec_lo, s12
	global_store_b32 v[55:56], v0, off
	s_cbranch_vccnz .LBB1_156
; %bb.147:                              ;   in Loop: Header=BB1_141 Depth=2
	v_ashrrev_i32_e32 v11, 31, v10
	s_delay_alu instid0(VALU_DEP_1) | instskip(NEXT) | instid1(VALU_DEP_1)
	v_lshlrev_b64 v[55:56], 2, v[10:11]
	v_add_co_u32 v55, vcc_lo, s16, v55
	s_delay_alu instid0(VALU_DEP_2)
	v_add_co_ci_u32_e32 v56, vcc_lo, s17, v56, vcc_lo
	global_load_b32 v11, v[55:56], off
	s_and_not1_b32 vcc_lo, exec_lo, s54
	s_cbranch_vccz .LBB1_157
	s_branch .LBB1_158
.LBB1_148:                              ;   in Loop: Header=BB1_141 Depth=2
	s_and_not1_saveexec_b32 s51, s51
	s_cbranch_execz .LBB1_161
.LBB1_149:                              ;   in Loop: Header=BB1_141 Depth=2
	s_mov_b32 s54, exec_lo
	s_mov_b32 s53, exec_lo
	s_waitcnt vmcnt(0)
	v_mbcnt_lo_u32_b32 v11, s54, 0
                                        ; implicit-def: $vgpr37
	s_delay_alu instid0(VALU_DEP_1)
	v_cmpx_eq_u32_e32 0, v11
	s_cbranch_execz .LBB1_151
; %bb.150:                              ;   in Loop: Header=BB1_141 Depth=2
	s_bcnt1_i32_b32 s54, s54
	s_delay_alu instid0(SALU_CYCLE_1)
	v_mov_b32_e32 v37, s54
	global_atomic_add_u32 v37, v27, v37, s[8:9] offset:384 glc
.LBB1_151:                              ;   in Loop: Header=BB1_141 Depth=2
	s_or_b32 exec_lo, exec_lo, s53
	s_waitcnt vmcnt(0)
	v_readfirstlane_b32 s53, v37
	s_delay_alu instid0(VALU_DEP_1) | instskip(NEXT) | instid1(VALU_DEP_1)
	v_add_nc_u32_e32 v40, s53, v11
	v_ashrrev_i32_e32 v41, 31, v40
	s_delay_alu instid0(VALU_DEP_1) | instskip(NEXT) | instid1(VALU_DEP_1)
	v_lshlrev_b64 v[55:56], 2, v[40:41]
	v_add_co_u32 v55, vcc_lo, s31, v55
	s_delay_alu instid0(VALU_DEP_2)
	v_add_co_ci_u32_e32 v56, vcc_lo, s33, v56, vcc_lo
	s_and_not1_b32 vcc_lo, exec_lo, s12
	global_store_b32 v[55:56], v0, off
	s_cbranch_vccnz .LBB1_153
; %bb.152:                              ;   in Loop: Header=BB1_141 Depth=2
	v_ashrrev_i32_e32 v11, 31, v10
	s_delay_alu instid0(VALU_DEP_1) | instskip(NEXT) | instid1(VALU_DEP_1)
	v_lshlrev_b64 v[55:56], 2, v[10:11]
	v_add_co_u32 v55, vcc_lo, s16, v55
	s_delay_alu instid0(VALU_DEP_2)
	v_add_co_ci_u32_e32 v56, vcc_lo, s17, v56, vcc_lo
	global_load_b32 v11, v[55:56], off
	s_cbranch_execz .LBB1_154
	s_branch .LBB1_155
.LBB1_153:                              ;   in Loop: Header=BB1_141 Depth=2
                                        ; implicit-def: $vgpr11
.LBB1_154:                              ;   in Loop: Header=BB1_141 Depth=2
	s_waitcnt vmcnt(0)
	v_add_nc_u32_e32 v11, s13, v10
.LBB1_155:                              ;   in Loop: Header=BB1_141 Depth=2
	s_or_b32 s52, s52, exec_lo
	s_or_b32 exec_lo, exec_lo, s51
	s_and_saveexec_b32 s51, s52
	s_cbranch_execnz .LBB1_162
	s_branch .LBB1_163
.LBB1_156:                              ;   in Loop: Header=BB1_141 Depth=2
                                        ; implicit-def: $vgpr11
.LBB1_157:                              ;   in Loop: Header=BB1_141 Depth=2
	s_waitcnt vmcnt(0)
	v_add_nc_u32_e32 v11, s13, v10
.LBB1_158:                              ;   in Loop: Header=BB1_141 Depth=2
	s_mov_b32 s54, exec_lo
.LBB1_159:                              ;   in Loop: Header=BB1_141 Depth=2
	s_or_b32 exec_lo, exec_lo, s53
	s_delay_alu instid0(SALU_CYCLE_1)
	s_and_b32 s53, s54, exec_lo
.LBB1_160:                              ;   in Loop: Header=BB1_141 Depth=2
	s_or_b32 exec_lo, exec_lo, s52
	s_delay_alu instid0(SALU_CYCLE_1)
	s_and_b32 s52, s53, exec_lo
	s_and_not1_saveexec_b32 s51, s51
	s_cbranch_execnz .LBB1_149
.LBB1_161:                              ;   in Loop: Header=BB1_141 Depth=2
	s_or_b32 exec_lo, exec_lo, s51
	s_and_saveexec_b32 s51, s52
	s_cbranch_execz .LBB1_163
.LBB1_162:                              ;   in Loop: Header=BB1_141 Depth=2
	v_lshlrev_b64 v[40:41], 2, v[40:41]
	s_delay_alu instid0(VALU_DEP_1) | instskip(NEXT) | instid1(VALU_DEP_2)
	v_add_co_u32 v40, vcc_lo, s15, v40
	v_add_co_ci_u32_e32 v41, vcc_lo, s30, v41, vcc_lo
	s_waitcnt vmcnt(0)
	global_store_b32 v[40:41], v11, off
.LBB1_163:                              ;   in Loop: Header=BB1_141 Depth=2
	s_or_b32 exec_lo, exec_lo, s51
	v_cmp_gt_i32_e32 vcc_lo, 0, v1
	s_mov_b32 s52, 0
	s_mov_b32 s51, exec_lo
                                        ; implicit-def: $vgpr11
                                        ; implicit-def: $vgpr40_vgpr41
	v_cndmask_b32_e64 v0, 0x7fffffff, 0, vcc_lo
	s_delay_alu instid0(VALU_DEP_1) | instskip(SKIP_1) | instid1(VALU_DEP_2)
	v_xor_b32_e32 v37, v0, v1
	v_add_nc_u32_e32 v0, 1, v10
	v_cmpx_ge_u32_e64 v37, v34
	s_xor_b32 s51, exec_lo, s51
	s_cbranch_execz .LBB1_170
; %bb.164:                              ;   in Loop: Header=BB1_141 Depth=2
	s_mov_b32 s53, 0
	s_mov_b32 s52, exec_lo
                                        ; implicit-def: $vgpr11
                                        ; implicit-def: $vgpr40_vgpr41
	v_cmpx_eq_u32_e64 v37, v34
	s_cbranch_execz .LBB1_182
; %bb.165:                              ;   in Loop: Header=BB1_141 Depth=2
	s_mov_b32 s54, exec_lo
	s_mov_b32 s53, exec_lo
	s_waitcnt vmcnt(0)
	v_mbcnt_lo_u32_b32 v11, s54, 0
                                        ; implicit-def: $vgpr37
	s_delay_alu instid0(VALU_DEP_1)
	v_cmpx_eq_u32_e32 0, v11
	s_cbranch_execz .LBB1_167
; %bb.166:                              ;   in Loop: Header=BB1_141 Depth=2
	s_bcnt1_i32_b32 s54, s54
	s_delay_alu instid0(SALU_CYCLE_1)
	v_mov_b32_e32 v37, s54
	global_atomic_add_u32 v37, v27, v37, s[8:9] offset:512 glc
.LBB1_167:                              ;   in Loop: Header=BB1_141 Depth=2
	s_or_b32 exec_lo, exec_lo, s53
	s_waitcnt vmcnt(0)
	v_readfirstlane_b32 s53, v37
	s_mov_b32 s54, 0
                                        ; implicit-def: $vgpr40_vgpr41
	s_delay_alu instid0(VALU_DEP_1) | instskip(SKIP_1) | instid1(VALU_DEP_1)
	v_add_nc_u32_e32 v37, s53, v11
	s_mov_b32 s53, exec_lo
                                        ; implicit-def: $vgpr11
	v_cmpx_lt_i32_e64 v37, v35
	s_cbranch_execz .LBB1_181
; %bb.168:                              ;   in Loop: Header=BB1_141 Depth=2
	v_xad_u32 v40, v37, -1, s41
	s_delay_alu instid0(VALU_DEP_1) | instskip(NEXT) | instid1(VALU_DEP_1)
	v_ashrrev_i32_e32 v41, 31, v40
	v_lshlrev_b64 v[55:56], 2, v[40:41]
	s_delay_alu instid0(VALU_DEP_1) | instskip(NEXT) | instid1(VALU_DEP_2)
	v_add_co_u32 v55, vcc_lo, s31, v55
	v_add_co_ci_u32_e32 v56, vcc_lo, s33, v56, vcc_lo
	s_and_not1_b32 vcc_lo, exec_lo, s12
	global_store_b32 v[55:56], v1, off
	s_cbranch_vccnz .LBB1_178
; %bb.169:                              ;   in Loop: Header=BB1_141 Depth=2
	v_ashrrev_i32_e32 v11, 31, v10
	s_delay_alu instid0(VALU_DEP_1) | instskip(NEXT) | instid1(VALU_DEP_1)
	v_lshlrev_b64 v[55:56], 2, v[10:11]
	v_add_co_u32 v55, vcc_lo, s14, v55
	s_delay_alu instid0(VALU_DEP_2)
	v_add_co_ci_u32_e32 v56, vcc_lo, s19, v56, vcc_lo
	global_load_b32 v11, v[55:56], off
	s_and_not1_b32 vcc_lo, exec_lo, s54
	s_cbranch_vccz .LBB1_179
	s_branch .LBB1_180
.LBB1_170:                              ;   in Loop: Header=BB1_141 Depth=2
	s_and_not1_saveexec_b32 s51, s51
	s_cbranch_execz .LBB1_183
.LBB1_171:                              ;   in Loop: Header=BB1_141 Depth=2
	s_mov_b32 s54, exec_lo
	s_mov_b32 s53, exec_lo
	s_waitcnt vmcnt(0)
	v_mbcnt_lo_u32_b32 v11, s54, 0
                                        ; implicit-def: $vgpr37
	s_delay_alu instid0(VALU_DEP_1)
	v_cmpx_eq_u32_e32 0, v11
	s_cbranch_execz .LBB1_173
; %bb.172:                              ;   in Loop: Header=BB1_141 Depth=2
	s_bcnt1_i32_b32 s54, s54
	s_delay_alu instid0(SALU_CYCLE_1)
	v_mov_b32_e32 v37, s54
	global_atomic_add_u32 v37, v27, v37, s[8:9] offset:384 glc
.LBB1_173:                              ;   in Loop: Header=BB1_141 Depth=2
	s_or_b32 exec_lo, exec_lo, s53
	s_waitcnt vmcnt(0)
	v_readfirstlane_b32 s53, v37
	s_delay_alu instid0(VALU_DEP_1) | instskip(NEXT) | instid1(VALU_DEP_1)
	v_add_nc_u32_e32 v40, s53, v11
	v_ashrrev_i32_e32 v41, 31, v40
	s_delay_alu instid0(VALU_DEP_1) | instskip(NEXT) | instid1(VALU_DEP_1)
	v_lshlrev_b64 v[55:56], 2, v[40:41]
	v_add_co_u32 v55, vcc_lo, s31, v55
	s_delay_alu instid0(VALU_DEP_2)
	v_add_co_ci_u32_e32 v56, vcc_lo, s33, v56, vcc_lo
	s_and_not1_b32 vcc_lo, exec_lo, s12
	global_store_b32 v[55:56], v1, off
	s_cbranch_vccnz .LBB1_175
; %bb.174:                              ;   in Loop: Header=BB1_141 Depth=2
	v_ashrrev_i32_e32 v11, 31, v10
	s_delay_alu instid0(VALU_DEP_1) | instskip(NEXT) | instid1(VALU_DEP_1)
	v_lshlrev_b64 v[55:56], 2, v[10:11]
	v_add_co_u32 v55, vcc_lo, s14, v55
	s_delay_alu instid0(VALU_DEP_2)
	v_add_co_ci_u32_e32 v56, vcc_lo, s19, v56, vcc_lo
	global_load_b32 v11, v[55:56], off
	s_cbranch_execz .LBB1_176
	s_branch .LBB1_177
.LBB1_175:                              ;   in Loop: Header=BB1_141 Depth=2
                                        ; implicit-def: $vgpr11
.LBB1_176:                              ;   in Loop: Header=BB1_141 Depth=2
	s_waitcnt vmcnt(0)
	v_add_nc_u32_e32 v11, s13, v0
.LBB1_177:                              ;   in Loop: Header=BB1_141 Depth=2
	s_or_b32 s52, s52, exec_lo
	s_or_b32 exec_lo, exec_lo, s51
	s_and_saveexec_b32 s51, s52
	s_cbranch_execnz .LBB1_184
	s_branch .LBB1_185
.LBB1_178:                              ;   in Loop: Header=BB1_141 Depth=2
                                        ; implicit-def: $vgpr11
.LBB1_179:                              ;   in Loop: Header=BB1_141 Depth=2
	s_waitcnt vmcnt(0)
	v_add_nc_u32_e32 v11, s13, v0
.LBB1_180:                              ;   in Loop: Header=BB1_141 Depth=2
	s_mov_b32 s54, exec_lo
.LBB1_181:                              ;   in Loop: Header=BB1_141 Depth=2
	s_or_b32 exec_lo, exec_lo, s53
	s_delay_alu instid0(SALU_CYCLE_1)
	s_and_b32 s53, s54, exec_lo
.LBB1_182:                              ;   in Loop: Header=BB1_141 Depth=2
	s_or_b32 exec_lo, exec_lo, s52
	s_delay_alu instid0(SALU_CYCLE_1)
	s_and_b32 s52, s53, exec_lo
                                        ; implicit-def: $vgpr0
	s_and_not1_saveexec_b32 s51, s51
	s_cbranch_execnz .LBB1_171
.LBB1_183:                              ;   in Loop: Header=BB1_141 Depth=2
	s_or_b32 exec_lo, exec_lo, s51
	s_and_saveexec_b32 s51, s52
	s_cbranch_execz .LBB1_185
.LBB1_184:                              ;   in Loop: Header=BB1_141 Depth=2
	v_lshlrev_b64 v[0:1], 2, v[40:41]
	s_delay_alu instid0(VALU_DEP_1) | instskip(NEXT) | instid1(VALU_DEP_2)
	v_add_co_u32 v0, vcc_lo, s15, v0
	v_add_co_ci_u32_e32 v1, vcc_lo, s30, v1, vcc_lo
	s_waitcnt vmcnt(0)
	global_store_b32 v[0:1], v11, off
.LBB1_185:                              ;   in Loop: Header=BB1_141 Depth=2
	s_or_b32 exec_lo, exec_lo, s51
	v_cmp_gt_i32_e32 vcc_lo, 0, v2
	v_add_nc_u32_e32 v37, 2, v10
	s_mov_b32 s52, 0
	s_mov_b32 s51, exec_lo
                                        ; implicit-def: $vgpr11
	v_cndmask_b32_e64 v0, 0x7fffffff, 0, vcc_lo
	s_delay_alu instid0(VALU_DEP_1) | instskip(NEXT) | instid1(VALU_DEP_1)
	v_xor_b32_e32 v40, v0, v2
                                        ; implicit-def: $vgpr0_vgpr1
	v_cmpx_ge_u32_e64 v40, v34
	s_xor_b32 s51, exec_lo, s51
	s_cbranch_execz .LBB1_192
; %bb.186:                              ;   in Loop: Header=BB1_141 Depth=2
	s_mov_b32 s53, 0
	s_mov_b32 s52, exec_lo
                                        ; implicit-def: $vgpr11
                                        ; implicit-def: $vgpr0_vgpr1
	v_cmpx_eq_u32_e64 v40, v34
	s_cbranch_execz .LBB1_204
; %bb.187:                              ;   in Loop: Header=BB1_141 Depth=2
	s_mov_b32 s54, exec_lo
	s_mov_b32 s53, exec_lo
	v_mbcnt_lo_u32_b32 v0, s54, 0
                                        ; implicit-def: $vgpr1
	s_delay_alu instid0(VALU_DEP_1)
	v_cmpx_eq_u32_e32 0, v0
	s_cbranch_execz .LBB1_189
; %bb.188:                              ;   in Loop: Header=BB1_141 Depth=2
	s_bcnt1_i32_b32 s54, s54
	s_delay_alu instid0(SALU_CYCLE_1)
	v_mov_b32_e32 v1, s54
	global_atomic_add_u32 v1, v27, v1, s[8:9] offset:512 glc
.LBB1_189:                              ;   in Loop: Header=BB1_141 Depth=2
	s_or_b32 exec_lo, exec_lo, s53
	s_waitcnt vmcnt(0)
	v_readfirstlane_b32 s53, v1
	s_mov_b32 s54, 0
                                        ; implicit-def: $vgpr11
	s_delay_alu instid0(VALU_DEP_1) | instskip(SKIP_1) | instid1(VALU_DEP_1)
	v_add_nc_u32_e32 v40, s53, v0
	s_mov_b32 s53, exec_lo
                                        ; implicit-def: $vgpr0_vgpr1
	v_cmpx_lt_i32_e64 v40, v35
	s_cbranch_execz .LBB1_203
; %bb.190:                              ;   in Loop: Header=BB1_141 Depth=2
	v_xad_u32 v0, v40, -1, s41
	s_delay_alu instid0(VALU_DEP_1) | instskip(NEXT) | instid1(VALU_DEP_1)
	v_ashrrev_i32_e32 v1, 31, v0
	v_lshlrev_b64 v[40:41], 2, v[0:1]
	s_delay_alu instid0(VALU_DEP_1) | instskip(NEXT) | instid1(VALU_DEP_2)
	v_add_co_u32 v40, vcc_lo, s31, v40
	v_add_co_ci_u32_e32 v41, vcc_lo, s33, v41, vcc_lo
	s_and_not1_b32 vcc_lo, exec_lo, s12
	global_store_b32 v[40:41], v2, off
	s_cbranch_vccnz .LBB1_200
; %bb.191:                              ;   in Loop: Header=BB1_141 Depth=2
	v_ashrrev_i32_e32 v11, 31, v10
	s_delay_alu instid0(VALU_DEP_1) | instskip(NEXT) | instid1(VALU_DEP_1)
	v_lshlrev_b64 v[40:41], 2, v[10:11]
	v_add_co_u32 v40, vcc_lo, s23, v40
	s_delay_alu instid0(VALU_DEP_2)
	v_add_co_ci_u32_e32 v41, vcc_lo, s36, v41, vcc_lo
	global_load_b32 v11, v[40:41], off
	s_and_not1_b32 vcc_lo, exec_lo, s54
	s_cbranch_vccz .LBB1_201
	s_branch .LBB1_202
.LBB1_192:                              ;   in Loop: Header=BB1_141 Depth=2
	s_and_not1_saveexec_b32 s51, s51
	s_cbranch_execz .LBB1_205
.LBB1_193:                              ;   in Loop: Header=BB1_141 Depth=2
	s_mov_b32 s54, exec_lo
	s_mov_b32 s53, exec_lo
	v_mbcnt_lo_u32_b32 v0, s54, 0
                                        ; implicit-def: $vgpr1
	s_delay_alu instid0(VALU_DEP_1)
	v_cmpx_eq_u32_e32 0, v0
	s_cbranch_execz .LBB1_195
; %bb.194:                              ;   in Loop: Header=BB1_141 Depth=2
	s_bcnt1_i32_b32 s54, s54
	s_delay_alu instid0(SALU_CYCLE_1)
	v_mov_b32_e32 v1, s54
	global_atomic_add_u32 v1, v27, v1, s[8:9] offset:384 glc
.LBB1_195:                              ;   in Loop: Header=BB1_141 Depth=2
	s_or_b32 exec_lo, exec_lo, s53
	s_waitcnt vmcnt(0)
	v_readfirstlane_b32 s53, v1
	s_delay_alu instid0(VALU_DEP_1) | instskip(NEXT) | instid1(VALU_DEP_1)
	v_add_nc_u32_e32 v0, s53, v0
	v_ashrrev_i32_e32 v1, 31, v0
	s_delay_alu instid0(VALU_DEP_1) | instskip(NEXT) | instid1(VALU_DEP_1)
	v_lshlrev_b64 v[40:41], 2, v[0:1]
	v_add_co_u32 v40, vcc_lo, s31, v40
	s_delay_alu instid0(VALU_DEP_2)
	v_add_co_ci_u32_e32 v41, vcc_lo, s33, v41, vcc_lo
	s_and_not1_b32 vcc_lo, exec_lo, s12
	global_store_b32 v[40:41], v2, off
	s_cbranch_vccnz .LBB1_197
; %bb.196:                              ;   in Loop: Header=BB1_141 Depth=2
	v_ashrrev_i32_e32 v11, 31, v10
	s_delay_alu instid0(VALU_DEP_1) | instskip(NEXT) | instid1(VALU_DEP_1)
	v_lshlrev_b64 v[40:41], 2, v[10:11]
	v_add_co_u32 v40, vcc_lo, s23, v40
	s_delay_alu instid0(VALU_DEP_2)
	v_add_co_ci_u32_e32 v41, vcc_lo, s36, v41, vcc_lo
	global_load_b32 v11, v[40:41], off
	s_cbranch_execz .LBB1_198
	s_branch .LBB1_199
.LBB1_197:                              ;   in Loop: Header=BB1_141 Depth=2
                                        ; implicit-def: $vgpr11
.LBB1_198:                              ;   in Loop: Header=BB1_141 Depth=2
	s_waitcnt vmcnt(0)
	v_add_nc_u32_e32 v11, s13, v37
.LBB1_199:                              ;   in Loop: Header=BB1_141 Depth=2
	s_or_b32 s52, s52, exec_lo
	s_or_b32 exec_lo, exec_lo, s51
	s_and_saveexec_b32 s51, s52
	s_cbranch_execnz .LBB1_206
	s_branch .LBB1_207
.LBB1_200:                              ;   in Loop: Header=BB1_141 Depth=2
                                        ; implicit-def: $vgpr11
.LBB1_201:                              ;   in Loop: Header=BB1_141 Depth=2
	s_waitcnt vmcnt(0)
	v_add_nc_u32_e32 v11, s13, v37
.LBB1_202:                              ;   in Loop: Header=BB1_141 Depth=2
	s_mov_b32 s54, exec_lo
.LBB1_203:                              ;   in Loop: Header=BB1_141 Depth=2
	s_or_b32 exec_lo, exec_lo, s53
	s_delay_alu instid0(SALU_CYCLE_1)
	s_and_b32 s53, s54, exec_lo
.LBB1_204:                              ;   in Loop: Header=BB1_141 Depth=2
	s_or_b32 exec_lo, exec_lo, s52
	s_delay_alu instid0(SALU_CYCLE_1)
	s_and_b32 s52, s53, exec_lo
                                        ; implicit-def: $vgpr37
	s_and_not1_saveexec_b32 s51, s51
	s_cbranch_execnz .LBB1_193
.LBB1_205:                              ;   in Loop: Header=BB1_141 Depth=2
	s_or_b32 exec_lo, exec_lo, s51
	s_and_saveexec_b32 s51, s52
	s_cbranch_execz .LBB1_207
.LBB1_206:                              ;   in Loop: Header=BB1_141 Depth=2
	v_lshlrev_b64 v[0:1], 2, v[0:1]
	s_delay_alu instid0(VALU_DEP_1) | instskip(NEXT) | instid1(VALU_DEP_2)
	v_add_co_u32 v0, vcc_lo, s15, v0
	v_add_co_ci_u32_e32 v1, vcc_lo, s30, v1, vcc_lo
	s_waitcnt vmcnt(0)
	global_store_b32 v[0:1], v11, off
.LBB1_207:                              ;   in Loop: Header=BB1_141 Depth=2
	s_or_b32 exec_lo, exec_lo, s51
	v_cmp_gt_i32_e32 vcc_lo, 0, v3
	v_add_nc_u32_e32 v37, 3, v10
	s_mov_b32 s52, 0
	s_mov_b32 s51, exec_lo
                                        ; implicit-def: $vgpr11
                                        ; implicit-def: $vgpr40_vgpr41
	v_cndmask_b32_e64 v0, 0x7fffffff, 0, vcc_lo
	s_delay_alu instid0(VALU_DEP_1) | instskip(NEXT) | instid1(VALU_DEP_1)
	v_xor_b32_e32 v0, v0, v3
	v_cmpx_ge_u32_e64 v0, v34
	s_xor_b32 s51, exec_lo, s51
	s_cbranch_execz .LBB1_214
; %bb.208:                              ;   in Loop: Header=BB1_141 Depth=2
	s_mov_b32 s53, 0
	s_mov_b32 s52, exec_lo
                                        ; implicit-def: $vgpr11
                                        ; implicit-def: $vgpr40_vgpr41
	v_cmpx_eq_u32_e64 v0, v34
	s_cbranch_execz .LBB1_226
; %bb.209:                              ;   in Loop: Header=BB1_141 Depth=2
	s_mov_b32 s54, exec_lo
	s_mov_b32 s53, exec_lo
	v_mbcnt_lo_u32_b32 v0, s54, 0
                                        ; implicit-def: $vgpr1
	s_delay_alu instid0(VALU_DEP_1)
	v_cmpx_eq_u32_e32 0, v0
	s_cbranch_execz .LBB1_211
; %bb.210:                              ;   in Loop: Header=BB1_141 Depth=2
	s_bcnt1_i32_b32 s54, s54
	s_delay_alu instid0(SALU_CYCLE_1)
	v_mov_b32_e32 v1, s54
	global_atomic_add_u32 v1, v27, v1, s[8:9] offset:512 glc
.LBB1_211:                              ;   in Loop: Header=BB1_141 Depth=2
	s_or_b32 exec_lo, exec_lo, s53
	s_waitcnt vmcnt(0)
	v_readfirstlane_b32 s53, v1
	s_mov_b32 s54, 0
                                        ; implicit-def: $vgpr11
                                        ; implicit-def: $vgpr40_vgpr41
	s_delay_alu instid0(VALU_DEP_1) | instskip(SKIP_1) | instid1(VALU_DEP_1)
	v_add_nc_u32_e32 v0, s53, v0
	s_mov_b32 s53, exec_lo
	v_cmpx_lt_i32_e64 v0, v35
	s_cbranch_execz .LBB1_225
; %bb.212:                              ;   in Loop: Header=BB1_141 Depth=2
	v_xad_u32 v40, v0, -1, s41
	s_delay_alu instid0(VALU_DEP_1) | instskip(NEXT) | instid1(VALU_DEP_1)
	v_ashrrev_i32_e32 v41, 31, v40
	v_lshlrev_b64 v[0:1], 2, v[40:41]
	s_delay_alu instid0(VALU_DEP_1) | instskip(NEXT) | instid1(VALU_DEP_2)
	v_add_co_u32 v0, vcc_lo, s31, v0
	v_add_co_ci_u32_e32 v1, vcc_lo, s33, v1, vcc_lo
	s_and_not1_b32 vcc_lo, exec_lo, s12
	global_store_b32 v[0:1], v3, off
	s_cbranch_vccnz .LBB1_222
; %bb.213:                              ;   in Loop: Header=BB1_141 Depth=2
	v_ashrrev_i32_e32 v11, 31, v10
	s_delay_alu instid0(VALU_DEP_1) | instskip(NEXT) | instid1(VALU_DEP_1)
	v_lshlrev_b64 v[0:1], 2, v[10:11]
	v_add_co_u32 v0, vcc_lo, s37, v0
	s_delay_alu instid0(VALU_DEP_2)
	v_add_co_ci_u32_e32 v1, vcc_lo, s38, v1, vcc_lo
	global_load_b32 v11, v[0:1], off
	s_and_not1_b32 vcc_lo, exec_lo, s54
	s_cbranch_vccz .LBB1_223
	s_branch .LBB1_224
.LBB1_214:                              ;   in Loop: Header=BB1_141 Depth=2
	s_and_not1_saveexec_b32 s51, s51
	s_cbranch_execz .LBB1_227
.LBB1_215:                              ;   in Loop: Header=BB1_141 Depth=2
	s_mov_b32 s54, exec_lo
	s_mov_b32 s53, exec_lo
	v_mbcnt_lo_u32_b32 v0, s54, 0
                                        ; implicit-def: $vgpr1
	s_delay_alu instid0(VALU_DEP_1)
	v_cmpx_eq_u32_e32 0, v0
	s_cbranch_execz .LBB1_217
; %bb.216:                              ;   in Loop: Header=BB1_141 Depth=2
	s_bcnt1_i32_b32 s54, s54
	s_delay_alu instid0(SALU_CYCLE_1)
	v_mov_b32_e32 v1, s54
	global_atomic_add_u32 v1, v27, v1, s[8:9] offset:384 glc
.LBB1_217:                              ;   in Loop: Header=BB1_141 Depth=2
	s_or_b32 exec_lo, exec_lo, s53
	s_waitcnt vmcnt(0)
	v_readfirstlane_b32 s53, v1
	s_delay_alu instid0(VALU_DEP_1) | instskip(NEXT) | instid1(VALU_DEP_1)
	v_add_nc_u32_e32 v40, s53, v0
	v_ashrrev_i32_e32 v41, 31, v40
	s_delay_alu instid0(VALU_DEP_1) | instskip(NEXT) | instid1(VALU_DEP_1)
	v_lshlrev_b64 v[0:1], 2, v[40:41]
	v_add_co_u32 v0, vcc_lo, s31, v0
	s_delay_alu instid0(VALU_DEP_2)
	v_add_co_ci_u32_e32 v1, vcc_lo, s33, v1, vcc_lo
	s_and_not1_b32 vcc_lo, exec_lo, s12
	global_store_b32 v[0:1], v3, off
	s_cbranch_vccnz .LBB1_219
; %bb.218:                              ;   in Loop: Header=BB1_141 Depth=2
	v_ashrrev_i32_e32 v11, 31, v10
	s_delay_alu instid0(VALU_DEP_1) | instskip(NEXT) | instid1(VALU_DEP_1)
	v_lshlrev_b64 v[0:1], 2, v[10:11]
	v_add_co_u32 v0, vcc_lo, s37, v0
	s_delay_alu instid0(VALU_DEP_2)
	v_add_co_ci_u32_e32 v1, vcc_lo, s38, v1, vcc_lo
	global_load_b32 v11, v[0:1], off
	s_cbranch_execz .LBB1_220
	s_branch .LBB1_221
.LBB1_219:                              ;   in Loop: Header=BB1_141 Depth=2
                                        ; implicit-def: $vgpr11
.LBB1_220:                              ;   in Loop: Header=BB1_141 Depth=2
	s_waitcnt vmcnt(0)
	v_add_nc_u32_e32 v11, s13, v37
.LBB1_221:                              ;   in Loop: Header=BB1_141 Depth=2
	s_or_b32 s52, s52, exec_lo
	s_or_b32 exec_lo, exec_lo, s51
	s_and_saveexec_b32 s51, s52
	s_cbranch_execnz .LBB1_228
	s_branch .LBB1_229
.LBB1_222:                              ;   in Loop: Header=BB1_141 Depth=2
                                        ; implicit-def: $vgpr11
.LBB1_223:                              ;   in Loop: Header=BB1_141 Depth=2
	s_waitcnt vmcnt(0)
	v_add_nc_u32_e32 v11, s13, v37
.LBB1_224:                              ;   in Loop: Header=BB1_141 Depth=2
	s_mov_b32 s54, exec_lo
.LBB1_225:                              ;   in Loop: Header=BB1_141 Depth=2
	s_or_b32 exec_lo, exec_lo, s53
	s_delay_alu instid0(SALU_CYCLE_1)
	s_and_b32 s53, s54, exec_lo
.LBB1_226:                              ;   in Loop: Header=BB1_141 Depth=2
	s_or_b32 exec_lo, exec_lo, s52
	s_delay_alu instid0(SALU_CYCLE_1)
	s_and_b32 s52, s53, exec_lo
                                        ; implicit-def: $vgpr37
                                        ; implicit-def: $vgpr10
                                        ; implicit-def: $vgpr0_vgpr1_vgpr2_vgpr3
	s_and_not1_saveexec_b32 s51, s51
	s_cbranch_execnz .LBB1_215
.LBB1_227:                              ;   in Loop: Header=BB1_141 Depth=2
	s_or_b32 exec_lo, exec_lo, s51
	s_and_saveexec_b32 s51, s52
	s_cbranch_execz .LBB1_229
.LBB1_228:                              ;   in Loop: Header=BB1_141 Depth=2
	v_lshlrev_b64 v[0:1], 2, v[40:41]
	s_delay_alu instid0(VALU_DEP_1) | instskip(NEXT) | instid1(VALU_DEP_2)
	v_add_co_u32 v0, vcc_lo, s15, v0
	v_add_co_ci_u32_e32 v1, vcc_lo, s30, v1, vcc_lo
	s_waitcnt vmcnt(0)
	global_store_b32 v[0:1], v11, off
.LBB1_229:                              ;   in Loop: Header=BB1_141 Depth=2
	s_or_b32 exec_lo, exec_lo, s51
	v_lshlrev_b64 v[0:1], 4, v[38:39]
	v_add_co_u32 v2, vcc_lo, v8, s24
	v_add_co_ci_u32_e32 v3, vcc_lo, s25, v9, vcc_lo
	v_add_co_u32 v37, null, v36, s18
	s_delay_alu instid0(VALU_DEP_4)
	v_add_co_u32 v0, vcc_lo, s28, v0
	v_add_co_ci_u32_e32 v1, vcc_lo, s34, v1, vcc_lo
	s_waitcnt vmcnt(0)
	v_cmp_gt_i32_e32 vcc_lo, 0, v4
	s_clause 0x1
	global_load_b128 v[8:11], v[2:3], off
	global_load_b128 v[0:3], v[0:1], off
	s_mov_b32 s52, 0
	s_mov_b32 s51, exec_lo
	v_cndmask_b32_e64 v39, 0x7fffffff, 0, vcc_lo
                                        ; implicit-def: $vgpr40
                                        ; implicit-def: $vgpr41_vgpr42
	s_delay_alu instid0(VALU_DEP_1) | instskip(SKIP_1) | instid1(VALU_DEP_2)
	v_xor_b32_e32 v55, v39, v4
	v_lshl_add_u32 v39, v37, 2, s22
	v_cmpx_ge_u32_e64 v55, v34
	s_xor_b32 s51, exec_lo, s51
	s_cbranch_execz .LBB1_236
; %bb.230:                              ;   in Loop: Header=BB1_141 Depth=2
	s_mov_b32 s53, 0
	s_mov_b32 s52, exec_lo
                                        ; implicit-def: $vgpr40
                                        ; implicit-def: $vgpr41_vgpr42
	v_cmpx_eq_u32_e64 v55, v34
	s_cbranch_execz .LBB1_248
; %bb.231:                              ;   in Loop: Header=BB1_141 Depth=2
	s_mov_b32 s54, exec_lo
	s_mov_b32 s53, exec_lo
	v_mbcnt_lo_u32_b32 v40, s54, 0
                                        ; implicit-def: $vgpr41
	s_delay_alu instid0(VALU_DEP_1)
	v_cmpx_eq_u32_e32 0, v40
	s_cbranch_execz .LBB1_233
; %bb.232:                              ;   in Loop: Header=BB1_141 Depth=2
	s_bcnt1_i32_b32 s54, s54
	s_delay_alu instid0(SALU_CYCLE_1)
	v_mov_b32_e32 v41, s54
	global_atomic_add_u32 v41, v27, v41, s[8:9] offset:512 glc
.LBB1_233:                              ;   in Loop: Header=BB1_141 Depth=2
	s_or_b32 exec_lo, exec_lo, s53
	s_waitcnt vmcnt(0)
	v_readfirstlane_b32 s53, v41
	s_mov_b32 s54, 0
                                        ; implicit-def: $vgpr41_vgpr42
	s_delay_alu instid0(VALU_DEP_1) | instskip(SKIP_1) | instid1(VALU_DEP_1)
	v_add_nc_u32_e32 v55, s53, v40
	s_mov_b32 s53, exec_lo
                                        ; implicit-def: $vgpr40
	v_cmpx_lt_i32_e64 v55, v35
	s_xor_b32 s53, exec_lo, s53
	s_cbranch_execz .LBB1_247
; %bb.234:                              ;   in Loop: Header=BB1_141 Depth=2
	v_xad_u32 v41, v55, -1, s41
	s_delay_alu instid0(VALU_DEP_1) | instskip(NEXT) | instid1(VALU_DEP_1)
	v_ashrrev_i32_e32 v42, 31, v41
	v_lshlrev_b64 v[55:56], 2, v[41:42]
	s_delay_alu instid0(VALU_DEP_1) | instskip(NEXT) | instid1(VALU_DEP_2)
	v_add_co_u32 v55, vcc_lo, s31, v55
	v_add_co_ci_u32_e32 v56, vcc_lo, s33, v56, vcc_lo
	s_and_not1_b32 vcc_lo, exec_lo, s12
	global_store_b32 v[55:56], v4, off
	s_cbranch_vccnz .LBB1_244
; %bb.235:                              ;   in Loop: Header=BB1_141 Depth=2
	v_ashrrev_i32_e32 v40, 31, v39
	s_delay_alu instid0(VALU_DEP_1) | instskip(NEXT) | instid1(VALU_DEP_1)
	v_lshlrev_b64 v[55:56], 2, v[39:40]
	v_add_co_u32 v55, vcc_lo, s16, v55
	s_delay_alu instid0(VALU_DEP_2)
	v_add_co_ci_u32_e32 v56, vcc_lo, s17, v56, vcc_lo
	global_load_b32 v40, v[55:56], off
	s_and_not1_b32 vcc_lo, exec_lo, s54
	s_cbranch_vccz .LBB1_245
	s_branch .LBB1_246
.LBB1_236:                              ;   in Loop: Header=BB1_141 Depth=2
	s_and_not1_saveexec_b32 s51, s51
	s_cbranch_execz .LBB1_249
.LBB1_237:                              ;   in Loop: Header=BB1_141 Depth=2
	s_mov_b32 s54, exec_lo
	s_mov_b32 s53, exec_lo
	s_waitcnt vmcnt(0)
	v_mbcnt_lo_u32_b32 v40, s54, 0
                                        ; implicit-def: $vgpr41
	s_delay_alu instid0(VALU_DEP_1)
	v_cmpx_eq_u32_e32 0, v40
	s_cbranch_execz .LBB1_239
; %bb.238:                              ;   in Loop: Header=BB1_141 Depth=2
	s_bcnt1_i32_b32 s54, s54
	s_delay_alu instid0(SALU_CYCLE_1)
	v_mov_b32_e32 v41, s54
	global_atomic_add_u32 v41, v27, v41, s[8:9] offset:384 glc
.LBB1_239:                              ;   in Loop: Header=BB1_141 Depth=2
	s_or_b32 exec_lo, exec_lo, s53
	s_waitcnt vmcnt(0)
	v_readfirstlane_b32 s53, v41
	s_delay_alu instid0(VALU_DEP_1) | instskip(NEXT) | instid1(VALU_DEP_1)
	v_add_nc_u32_e32 v41, s53, v40
	v_ashrrev_i32_e32 v42, 31, v41
	s_delay_alu instid0(VALU_DEP_1) | instskip(NEXT) | instid1(VALU_DEP_1)
	v_lshlrev_b64 v[55:56], 2, v[41:42]
	v_add_co_u32 v55, vcc_lo, s31, v55
	s_delay_alu instid0(VALU_DEP_2)
	v_add_co_ci_u32_e32 v56, vcc_lo, s33, v56, vcc_lo
	s_and_not1_b32 vcc_lo, exec_lo, s12
	global_store_b32 v[55:56], v4, off
	s_cbranch_vccnz .LBB1_241
; %bb.240:                              ;   in Loop: Header=BB1_141 Depth=2
	v_ashrrev_i32_e32 v40, 31, v39
	s_delay_alu instid0(VALU_DEP_1) | instskip(NEXT) | instid1(VALU_DEP_1)
	v_lshlrev_b64 v[55:56], 2, v[39:40]
	v_add_co_u32 v55, vcc_lo, s16, v55
	s_delay_alu instid0(VALU_DEP_2)
	v_add_co_ci_u32_e32 v56, vcc_lo, s17, v56, vcc_lo
	global_load_b32 v40, v[55:56], off
	s_cbranch_execz .LBB1_242
	s_branch .LBB1_243
.LBB1_241:                              ;   in Loop: Header=BB1_141 Depth=2
                                        ; implicit-def: $vgpr40
.LBB1_242:                              ;   in Loop: Header=BB1_141 Depth=2
	s_waitcnt vmcnt(0)
	v_add_nc_u32_e32 v40, s13, v39
.LBB1_243:                              ;   in Loop: Header=BB1_141 Depth=2
	s_or_b32 s52, s52, exec_lo
	s_or_b32 exec_lo, exec_lo, s51
	s_and_saveexec_b32 s51, s52
	s_cbranch_execnz .LBB1_250
	s_branch .LBB1_251
.LBB1_244:                              ;   in Loop: Header=BB1_141 Depth=2
                                        ; implicit-def: $vgpr40
.LBB1_245:                              ;   in Loop: Header=BB1_141 Depth=2
	s_waitcnt vmcnt(0)
	v_add_nc_u32_e32 v40, s13, v39
.LBB1_246:                              ;   in Loop: Header=BB1_141 Depth=2
	s_mov_b32 s54, exec_lo
.LBB1_247:                              ;   in Loop: Header=BB1_141 Depth=2
	s_or_b32 exec_lo, exec_lo, s53
	s_delay_alu instid0(SALU_CYCLE_1)
	s_and_b32 s53, s54, exec_lo
.LBB1_248:                              ;   in Loop: Header=BB1_141 Depth=2
	s_or_b32 exec_lo, exec_lo, s52
	s_delay_alu instid0(SALU_CYCLE_1)
	s_and_b32 s52, s53, exec_lo
	s_and_not1_saveexec_b32 s51, s51
	s_cbranch_execnz .LBB1_237
.LBB1_249:                              ;   in Loop: Header=BB1_141 Depth=2
	s_or_b32 exec_lo, exec_lo, s51
	s_and_saveexec_b32 s51, s52
	s_cbranch_execz .LBB1_251
.LBB1_250:                              ;   in Loop: Header=BB1_141 Depth=2
	v_lshlrev_b64 v[41:42], 2, v[41:42]
	s_delay_alu instid0(VALU_DEP_1) | instskip(NEXT) | instid1(VALU_DEP_2)
	v_add_co_u32 v41, vcc_lo, s15, v41
	v_add_co_ci_u32_e32 v42, vcc_lo, s30, v42, vcc_lo
	s_waitcnt vmcnt(0)
	global_store_b32 v[41:42], v40, off
.LBB1_251:                              ;   in Loop: Header=BB1_141 Depth=2
	s_or_b32 exec_lo, exec_lo, s51
	v_cmp_gt_i32_e32 vcc_lo, 0, v5
	s_mov_b32 s52, 0
	s_mov_b32 s51, exec_lo
                                        ; implicit-def: $vgpr40
                                        ; implicit-def: $vgpr41_vgpr42
	v_cndmask_b32_e64 v4, 0x7fffffff, 0, vcc_lo
	s_delay_alu instid0(VALU_DEP_1) | instskip(SKIP_1) | instid1(VALU_DEP_2)
	v_xor_b32_e32 v55, v4, v5
	v_add_nc_u32_e32 v4, 1, v39
	v_cmpx_ge_u32_e64 v55, v34
	s_xor_b32 s51, exec_lo, s51
	s_cbranch_execz .LBB1_258
; %bb.252:                              ;   in Loop: Header=BB1_141 Depth=2
	s_mov_b32 s53, 0
	s_mov_b32 s52, exec_lo
                                        ; implicit-def: $vgpr40
                                        ; implicit-def: $vgpr41_vgpr42
	v_cmpx_eq_u32_e64 v55, v34
	s_cbranch_execz .LBB1_270
; %bb.253:                              ;   in Loop: Header=BB1_141 Depth=2
	s_mov_b32 s54, exec_lo
	s_mov_b32 s53, exec_lo
	s_waitcnt vmcnt(0)
	v_mbcnt_lo_u32_b32 v40, s54, 0
                                        ; implicit-def: $vgpr41
	s_delay_alu instid0(VALU_DEP_1)
	v_cmpx_eq_u32_e32 0, v40
	s_cbranch_execz .LBB1_255
; %bb.254:                              ;   in Loop: Header=BB1_141 Depth=2
	s_bcnt1_i32_b32 s54, s54
	s_delay_alu instid0(SALU_CYCLE_1)
	v_mov_b32_e32 v41, s54
	global_atomic_add_u32 v41, v27, v41, s[8:9] offset:512 glc
.LBB1_255:                              ;   in Loop: Header=BB1_141 Depth=2
	s_or_b32 exec_lo, exec_lo, s53
	s_waitcnt vmcnt(0)
	v_readfirstlane_b32 s53, v41
	s_mov_b32 s54, 0
                                        ; implicit-def: $vgpr41_vgpr42
	s_delay_alu instid0(VALU_DEP_1) | instskip(SKIP_1) | instid1(VALU_DEP_1)
	v_add_nc_u32_e32 v55, s53, v40
	s_mov_b32 s53, exec_lo
                                        ; implicit-def: $vgpr40
	v_cmpx_lt_i32_e64 v55, v35
	s_cbranch_execz .LBB1_269
; %bb.256:                              ;   in Loop: Header=BB1_141 Depth=2
	v_xad_u32 v41, v55, -1, s41
	s_delay_alu instid0(VALU_DEP_1) | instskip(NEXT) | instid1(VALU_DEP_1)
	v_ashrrev_i32_e32 v42, 31, v41
	v_lshlrev_b64 v[55:56], 2, v[41:42]
	s_delay_alu instid0(VALU_DEP_1) | instskip(NEXT) | instid1(VALU_DEP_2)
	v_add_co_u32 v55, vcc_lo, s31, v55
	v_add_co_ci_u32_e32 v56, vcc_lo, s33, v56, vcc_lo
	s_and_not1_b32 vcc_lo, exec_lo, s12
	global_store_b32 v[55:56], v5, off
	s_cbranch_vccnz .LBB1_266
; %bb.257:                              ;   in Loop: Header=BB1_141 Depth=2
	v_ashrrev_i32_e32 v40, 31, v39
	s_delay_alu instid0(VALU_DEP_1) | instskip(NEXT) | instid1(VALU_DEP_1)
	v_lshlrev_b64 v[55:56], 2, v[39:40]
	v_add_co_u32 v55, vcc_lo, s14, v55
	s_delay_alu instid0(VALU_DEP_2)
	v_add_co_ci_u32_e32 v56, vcc_lo, s19, v56, vcc_lo
	global_load_b32 v40, v[55:56], off
	s_and_not1_b32 vcc_lo, exec_lo, s54
	s_cbranch_vccz .LBB1_267
	s_branch .LBB1_268
.LBB1_258:                              ;   in Loop: Header=BB1_141 Depth=2
	s_and_not1_saveexec_b32 s51, s51
	s_cbranch_execz .LBB1_271
.LBB1_259:                              ;   in Loop: Header=BB1_141 Depth=2
	s_mov_b32 s54, exec_lo
	s_mov_b32 s53, exec_lo
	s_waitcnt vmcnt(0)
	v_mbcnt_lo_u32_b32 v40, s54, 0
                                        ; implicit-def: $vgpr41
	s_delay_alu instid0(VALU_DEP_1)
	v_cmpx_eq_u32_e32 0, v40
	s_cbranch_execz .LBB1_261
; %bb.260:                              ;   in Loop: Header=BB1_141 Depth=2
	s_bcnt1_i32_b32 s54, s54
	s_delay_alu instid0(SALU_CYCLE_1)
	v_mov_b32_e32 v41, s54
	global_atomic_add_u32 v41, v27, v41, s[8:9] offset:384 glc
.LBB1_261:                              ;   in Loop: Header=BB1_141 Depth=2
	s_or_b32 exec_lo, exec_lo, s53
	s_waitcnt vmcnt(0)
	v_readfirstlane_b32 s53, v41
	s_delay_alu instid0(VALU_DEP_1) | instskip(NEXT) | instid1(VALU_DEP_1)
	v_add_nc_u32_e32 v41, s53, v40
	v_ashrrev_i32_e32 v42, 31, v41
	s_delay_alu instid0(VALU_DEP_1) | instskip(NEXT) | instid1(VALU_DEP_1)
	v_lshlrev_b64 v[55:56], 2, v[41:42]
	v_add_co_u32 v55, vcc_lo, s31, v55
	s_delay_alu instid0(VALU_DEP_2)
	v_add_co_ci_u32_e32 v56, vcc_lo, s33, v56, vcc_lo
	s_and_not1_b32 vcc_lo, exec_lo, s12
	global_store_b32 v[55:56], v5, off
	s_cbranch_vccnz .LBB1_263
; %bb.262:                              ;   in Loop: Header=BB1_141 Depth=2
	v_ashrrev_i32_e32 v40, 31, v39
	s_delay_alu instid0(VALU_DEP_1) | instskip(NEXT) | instid1(VALU_DEP_1)
	v_lshlrev_b64 v[55:56], 2, v[39:40]
	v_add_co_u32 v55, vcc_lo, s14, v55
	s_delay_alu instid0(VALU_DEP_2)
	v_add_co_ci_u32_e32 v56, vcc_lo, s19, v56, vcc_lo
	global_load_b32 v40, v[55:56], off
	s_cbranch_execz .LBB1_264
	s_branch .LBB1_265
.LBB1_263:                              ;   in Loop: Header=BB1_141 Depth=2
                                        ; implicit-def: $vgpr40
.LBB1_264:                              ;   in Loop: Header=BB1_141 Depth=2
	s_waitcnt vmcnt(0)
	v_add_nc_u32_e32 v40, s13, v4
.LBB1_265:                              ;   in Loop: Header=BB1_141 Depth=2
	s_or_b32 s52, s52, exec_lo
	s_or_b32 exec_lo, exec_lo, s51
	s_and_saveexec_b32 s51, s52
	s_cbranch_execnz .LBB1_272
	s_branch .LBB1_273
.LBB1_266:                              ;   in Loop: Header=BB1_141 Depth=2
                                        ; implicit-def: $vgpr40
.LBB1_267:                              ;   in Loop: Header=BB1_141 Depth=2
	s_waitcnt vmcnt(0)
	v_add_nc_u32_e32 v40, s13, v4
.LBB1_268:                              ;   in Loop: Header=BB1_141 Depth=2
	s_mov_b32 s54, exec_lo
.LBB1_269:                              ;   in Loop: Header=BB1_141 Depth=2
	s_or_b32 exec_lo, exec_lo, s53
	s_delay_alu instid0(SALU_CYCLE_1)
	s_and_b32 s53, s54, exec_lo
.LBB1_270:                              ;   in Loop: Header=BB1_141 Depth=2
	s_or_b32 exec_lo, exec_lo, s52
	s_delay_alu instid0(SALU_CYCLE_1)
	s_and_b32 s52, s53, exec_lo
                                        ; implicit-def: $vgpr4
	s_and_not1_saveexec_b32 s51, s51
	s_cbranch_execnz .LBB1_259
.LBB1_271:                              ;   in Loop: Header=BB1_141 Depth=2
	s_or_b32 exec_lo, exec_lo, s51
	s_and_saveexec_b32 s51, s52
	s_cbranch_execz .LBB1_273
.LBB1_272:                              ;   in Loop: Header=BB1_141 Depth=2
	v_lshlrev_b64 v[4:5], 2, v[41:42]
	s_delay_alu instid0(VALU_DEP_1) | instskip(NEXT) | instid1(VALU_DEP_2)
	v_add_co_u32 v4, vcc_lo, s15, v4
	v_add_co_ci_u32_e32 v5, vcc_lo, s30, v5, vcc_lo
	s_waitcnt vmcnt(0)
	global_store_b32 v[4:5], v40, off
.LBB1_273:                              ;   in Loop: Header=BB1_141 Depth=2
	s_or_b32 exec_lo, exec_lo, s51
	v_cmp_gt_i32_e32 vcc_lo, 0, v6
	v_add_nc_u32_e32 v41, 2, v39
	s_mov_b32 s52, 0
	s_mov_b32 s51, exec_lo
                                        ; implicit-def: $vgpr40
	v_cndmask_b32_e64 v4, 0x7fffffff, 0, vcc_lo
	s_delay_alu instid0(VALU_DEP_1) | instskip(NEXT) | instid1(VALU_DEP_1)
	v_xor_b32_e32 v42, v4, v6
                                        ; implicit-def: $vgpr4_vgpr5
	v_cmpx_ge_u32_e64 v42, v34
	s_xor_b32 s51, exec_lo, s51
	s_cbranch_execz .LBB1_280
; %bb.274:                              ;   in Loop: Header=BB1_141 Depth=2
	s_mov_b32 s53, 0
	s_mov_b32 s52, exec_lo
                                        ; implicit-def: $vgpr40
                                        ; implicit-def: $vgpr4_vgpr5
	v_cmpx_eq_u32_e64 v42, v34
	s_cbranch_execz .LBB1_292
; %bb.275:                              ;   in Loop: Header=BB1_141 Depth=2
	s_mov_b32 s54, exec_lo
	s_mov_b32 s53, exec_lo
	v_mbcnt_lo_u32_b32 v4, s54, 0
                                        ; implicit-def: $vgpr5
	s_delay_alu instid0(VALU_DEP_1)
	v_cmpx_eq_u32_e32 0, v4
	s_cbranch_execz .LBB1_277
; %bb.276:                              ;   in Loop: Header=BB1_141 Depth=2
	s_bcnt1_i32_b32 s54, s54
	s_delay_alu instid0(SALU_CYCLE_1)
	v_mov_b32_e32 v5, s54
	global_atomic_add_u32 v5, v27, v5, s[8:9] offset:512 glc
.LBB1_277:                              ;   in Loop: Header=BB1_141 Depth=2
	s_or_b32 exec_lo, exec_lo, s53
	s_waitcnt vmcnt(0)
	v_readfirstlane_b32 s53, v5
	s_mov_b32 s54, 0
                                        ; implicit-def: $vgpr40
	s_delay_alu instid0(VALU_DEP_1) | instskip(SKIP_1) | instid1(VALU_DEP_1)
	v_add_nc_u32_e32 v42, s53, v4
	s_mov_b32 s53, exec_lo
                                        ; implicit-def: $vgpr4_vgpr5
	v_cmpx_lt_i32_e64 v42, v35
	s_cbranch_execz .LBB1_291
; %bb.278:                              ;   in Loop: Header=BB1_141 Depth=2
	v_xad_u32 v4, v42, -1, s41
	s_delay_alu instid0(VALU_DEP_1) | instskip(NEXT) | instid1(VALU_DEP_1)
	v_ashrrev_i32_e32 v5, 31, v4
	v_lshlrev_b64 v[55:56], 2, v[4:5]
	s_delay_alu instid0(VALU_DEP_1) | instskip(NEXT) | instid1(VALU_DEP_2)
	v_add_co_u32 v55, vcc_lo, s31, v55
	v_add_co_ci_u32_e32 v56, vcc_lo, s33, v56, vcc_lo
	s_and_not1_b32 vcc_lo, exec_lo, s12
	global_store_b32 v[55:56], v6, off
	s_cbranch_vccnz .LBB1_288
; %bb.279:                              ;   in Loop: Header=BB1_141 Depth=2
	v_ashrrev_i32_e32 v40, 31, v39
	s_delay_alu instid0(VALU_DEP_1) | instskip(NEXT) | instid1(VALU_DEP_1)
	v_lshlrev_b64 v[55:56], 2, v[39:40]
	v_add_co_u32 v55, vcc_lo, s23, v55
	s_delay_alu instid0(VALU_DEP_2)
	v_add_co_ci_u32_e32 v56, vcc_lo, s36, v56, vcc_lo
	global_load_b32 v40, v[55:56], off
	s_and_not1_b32 vcc_lo, exec_lo, s54
	s_cbranch_vccz .LBB1_289
	s_branch .LBB1_290
.LBB1_280:                              ;   in Loop: Header=BB1_141 Depth=2
	s_and_not1_saveexec_b32 s51, s51
	s_cbranch_execz .LBB1_293
.LBB1_281:                              ;   in Loop: Header=BB1_141 Depth=2
	s_mov_b32 s54, exec_lo
	s_mov_b32 s53, exec_lo
	v_mbcnt_lo_u32_b32 v4, s54, 0
                                        ; implicit-def: $vgpr5
	s_delay_alu instid0(VALU_DEP_1)
	v_cmpx_eq_u32_e32 0, v4
	s_cbranch_execz .LBB1_283
; %bb.282:                              ;   in Loop: Header=BB1_141 Depth=2
	s_bcnt1_i32_b32 s54, s54
	s_delay_alu instid0(SALU_CYCLE_1)
	v_mov_b32_e32 v5, s54
	global_atomic_add_u32 v5, v27, v5, s[8:9] offset:384 glc
.LBB1_283:                              ;   in Loop: Header=BB1_141 Depth=2
	s_or_b32 exec_lo, exec_lo, s53
	s_waitcnt vmcnt(0)
	v_readfirstlane_b32 s53, v5
	s_delay_alu instid0(VALU_DEP_1) | instskip(NEXT) | instid1(VALU_DEP_1)
	v_add_nc_u32_e32 v4, s53, v4
	v_ashrrev_i32_e32 v5, 31, v4
	s_delay_alu instid0(VALU_DEP_1) | instskip(NEXT) | instid1(VALU_DEP_1)
	v_lshlrev_b64 v[55:56], 2, v[4:5]
	v_add_co_u32 v55, vcc_lo, s31, v55
	s_delay_alu instid0(VALU_DEP_2)
	v_add_co_ci_u32_e32 v56, vcc_lo, s33, v56, vcc_lo
	s_and_not1_b32 vcc_lo, exec_lo, s12
	global_store_b32 v[55:56], v6, off
	s_cbranch_vccnz .LBB1_285
; %bb.284:                              ;   in Loop: Header=BB1_141 Depth=2
	v_ashrrev_i32_e32 v40, 31, v39
	s_delay_alu instid0(VALU_DEP_1) | instskip(NEXT) | instid1(VALU_DEP_1)
	v_lshlrev_b64 v[55:56], 2, v[39:40]
	v_add_co_u32 v55, vcc_lo, s23, v55
	s_delay_alu instid0(VALU_DEP_2)
	v_add_co_ci_u32_e32 v56, vcc_lo, s36, v56, vcc_lo
	global_load_b32 v40, v[55:56], off
	s_cbranch_execz .LBB1_286
	s_branch .LBB1_287
.LBB1_285:                              ;   in Loop: Header=BB1_141 Depth=2
                                        ; implicit-def: $vgpr40
.LBB1_286:                              ;   in Loop: Header=BB1_141 Depth=2
	s_waitcnt vmcnt(0)
	v_add_nc_u32_e32 v40, s13, v41
.LBB1_287:                              ;   in Loop: Header=BB1_141 Depth=2
	s_or_b32 s52, s52, exec_lo
	s_or_b32 exec_lo, exec_lo, s51
	s_and_saveexec_b32 s51, s52
	s_cbranch_execnz .LBB1_294
	s_branch .LBB1_295
.LBB1_288:                              ;   in Loop: Header=BB1_141 Depth=2
                                        ; implicit-def: $vgpr40
.LBB1_289:                              ;   in Loop: Header=BB1_141 Depth=2
	s_waitcnt vmcnt(0)
	v_add_nc_u32_e32 v40, s13, v41
.LBB1_290:                              ;   in Loop: Header=BB1_141 Depth=2
	s_mov_b32 s54, exec_lo
.LBB1_291:                              ;   in Loop: Header=BB1_141 Depth=2
	s_or_b32 exec_lo, exec_lo, s53
	s_delay_alu instid0(SALU_CYCLE_1)
	s_and_b32 s53, s54, exec_lo
.LBB1_292:                              ;   in Loop: Header=BB1_141 Depth=2
	s_or_b32 exec_lo, exec_lo, s52
	s_delay_alu instid0(SALU_CYCLE_1)
	s_and_b32 s52, s53, exec_lo
                                        ; implicit-def: $vgpr41
	s_and_not1_saveexec_b32 s51, s51
	s_cbranch_execnz .LBB1_281
.LBB1_293:                              ;   in Loop: Header=BB1_141 Depth=2
	s_or_b32 exec_lo, exec_lo, s51
	s_and_saveexec_b32 s51, s52
	s_cbranch_execz .LBB1_295
.LBB1_294:                              ;   in Loop: Header=BB1_141 Depth=2
	v_lshlrev_b64 v[4:5], 2, v[4:5]
	s_delay_alu instid0(VALU_DEP_1) | instskip(NEXT) | instid1(VALU_DEP_2)
	v_add_co_u32 v4, vcc_lo, s15, v4
	v_add_co_ci_u32_e32 v5, vcc_lo, s30, v5, vcc_lo
	s_waitcnt vmcnt(0)
	global_store_b32 v[4:5], v40, off
.LBB1_295:                              ;   in Loop: Header=BB1_141 Depth=2
	s_or_b32 exec_lo, exec_lo, s51
	v_cmp_gt_i32_e32 vcc_lo, 0, v7
	v_add_nc_u32_e32 v55, 3, v39
	s_mov_b32 s52, 0
	s_mov_b32 s51, exec_lo
                                        ; implicit-def: $vgpr40
                                        ; implicit-def: $vgpr41_vgpr42
	v_cndmask_b32_e64 v4, 0x7fffffff, 0, vcc_lo
	s_delay_alu instid0(VALU_DEP_1) | instskip(NEXT) | instid1(VALU_DEP_1)
	v_xor_b32_e32 v4, v4, v7
	v_cmpx_ge_u32_e64 v4, v34
	s_xor_b32 s51, exec_lo, s51
	s_cbranch_execz .LBB1_302
; %bb.296:                              ;   in Loop: Header=BB1_141 Depth=2
	s_mov_b32 s53, 0
	s_mov_b32 s52, exec_lo
                                        ; implicit-def: $vgpr40
                                        ; implicit-def: $vgpr41_vgpr42
	v_cmpx_eq_u32_e64 v4, v34
	s_cbranch_execz .LBB1_314
; %bb.297:                              ;   in Loop: Header=BB1_141 Depth=2
	s_mov_b32 s54, exec_lo
	s_mov_b32 s53, exec_lo
	v_mbcnt_lo_u32_b32 v4, s54, 0
                                        ; implicit-def: $vgpr5
	s_delay_alu instid0(VALU_DEP_1)
	v_cmpx_eq_u32_e32 0, v4
	s_cbranch_execz .LBB1_299
; %bb.298:                              ;   in Loop: Header=BB1_141 Depth=2
	s_bcnt1_i32_b32 s54, s54
	s_delay_alu instid0(SALU_CYCLE_1)
	v_mov_b32_e32 v5, s54
	global_atomic_add_u32 v5, v27, v5, s[8:9] offset:512 glc
.LBB1_299:                              ;   in Loop: Header=BB1_141 Depth=2
	s_or_b32 exec_lo, exec_lo, s53
	s_waitcnt vmcnt(0)
	v_readfirstlane_b32 s53, v5
	s_mov_b32 s54, 0
                                        ; implicit-def: $vgpr40
                                        ; implicit-def: $vgpr41_vgpr42
	s_delay_alu instid0(VALU_DEP_1) | instskip(SKIP_1) | instid1(VALU_DEP_1)
	v_add_nc_u32_e32 v4, s53, v4
	s_mov_b32 s53, exec_lo
	v_cmpx_lt_i32_e64 v4, v35
	s_cbranch_execz .LBB1_313
; %bb.300:                              ;   in Loop: Header=BB1_141 Depth=2
	v_xad_u32 v41, v4, -1, s41
	s_delay_alu instid0(VALU_DEP_1) | instskip(NEXT) | instid1(VALU_DEP_1)
	v_ashrrev_i32_e32 v42, 31, v41
	v_lshlrev_b64 v[4:5], 2, v[41:42]
	s_delay_alu instid0(VALU_DEP_1) | instskip(NEXT) | instid1(VALU_DEP_2)
	v_add_co_u32 v4, vcc_lo, s31, v4
	v_add_co_ci_u32_e32 v5, vcc_lo, s33, v5, vcc_lo
	s_and_not1_b32 vcc_lo, exec_lo, s12
	global_store_b32 v[4:5], v7, off
	s_cbranch_vccnz .LBB1_310
; %bb.301:                              ;   in Loop: Header=BB1_141 Depth=2
	v_ashrrev_i32_e32 v40, 31, v39
	s_delay_alu instid0(VALU_DEP_1) | instskip(NEXT) | instid1(VALU_DEP_1)
	v_lshlrev_b64 v[4:5], 2, v[39:40]
	v_add_co_u32 v4, vcc_lo, s37, v4
	s_delay_alu instid0(VALU_DEP_2)
	v_add_co_ci_u32_e32 v5, vcc_lo, s38, v5, vcc_lo
	global_load_b32 v40, v[4:5], off
	s_and_not1_b32 vcc_lo, exec_lo, s54
	s_cbranch_vccz .LBB1_311
	s_branch .LBB1_312
.LBB1_302:                              ;   in Loop: Header=BB1_141 Depth=2
	s_and_not1_saveexec_b32 s51, s51
	s_cbranch_execz .LBB1_315
.LBB1_303:                              ;   in Loop: Header=BB1_141 Depth=2
	s_mov_b32 s54, exec_lo
	s_mov_b32 s53, exec_lo
	v_mbcnt_lo_u32_b32 v4, s54, 0
                                        ; implicit-def: $vgpr5
	s_delay_alu instid0(VALU_DEP_1)
	v_cmpx_eq_u32_e32 0, v4
	s_cbranch_execz .LBB1_305
; %bb.304:                              ;   in Loop: Header=BB1_141 Depth=2
	s_bcnt1_i32_b32 s54, s54
	s_delay_alu instid0(SALU_CYCLE_1)
	v_mov_b32_e32 v5, s54
	global_atomic_add_u32 v5, v27, v5, s[8:9] offset:384 glc
.LBB1_305:                              ;   in Loop: Header=BB1_141 Depth=2
	s_or_b32 exec_lo, exec_lo, s53
	s_waitcnt vmcnt(0)
	v_readfirstlane_b32 s53, v5
	s_delay_alu instid0(VALU_DEP_1) | instskip(NEXT) | instid1(VALU_DEP_1)
	v_add_nc_u32_e32 v41, s53, v4
	v_ashrrev_i32_e32 v42, 31, v41
	s_delay_alu instid0(VALU_DEP_1) | instskip(NEXT) | instid1(VALU_DEP_1)
	v_lshlrev_b64 v[4:5], 2, v[41:42]
	v_add_co_u32 v4, vcc_lo, s31, v4
	s_delay_alu instid0(VALU_DEP_2)
	v_add_co_ci_u32_e32 v5, vcc_lo, s33, v5, vcc_lo
	s_and_not1_b32 vcc_lo, exec_lo, s12
	global_store_b32 v[4:5], v7, off
	s_cbranch_vccnz .LBB1_307
; %bb.306:                              ;   in Loop: Header=BB1_141 Depth=2
	v_ashrrev_i32_e32 v40, 31, v39
	s_delay_alu instid0(VALU_DEP_1) | instskip(NEXT) | instid1(VALU_DEP_1)
	v_lshlrev_b64 v[4:5], 2, v[39:40]
	v_add_co_u32 v4, vcc_lo, s37, v4
	s_delay_alu instid0(VALU_DEP_2)
	v_add_co_ci_u32_e32 v5, vcc_lo, s38, v5, vcc_lo
	global_load_b32 v40, v[4:5], off
	s_cbranch_execz .LBB1_308
	s_branch .LBB1_309
.LBB1_307:                              ;   in Loop: Header=BB1_141 Depth=2
                                        ; implicit-def: $vgpr40
.LBB1_308:                              ;   in Loop: Header=BB1_141 Depth=2
	s_waitcnt vmcnt(0)
	v_add_nc_u32_e32 v40, s13, v55
.LBB1_309:                              ;   in Loop: Header=BB1_141 Depth=2
	s_or_b32 s52, s52, exec_lo
	s_or_b32 exec_lo, exec_lo, s51
	s_and_saveexec_b32 s51, s52
	s_cbranch_execnz .LBB1_316
	s_branch .LBB1_317
.LBB1_310:                              ;   in Loop: Header=BB1_141 Depth=2
                                        ; implicit-def: $vgpr40
.LBB1_311:                              ;   in Loop: Header=BB1_141 Depth=2
	s_waitcnt vmcnt(0)
	v_add_nc_u32_e32 v40, s13, v55
.LBB1_312:                              ;   in Loop: Header=BB1_141 Depth=2
	s_mov_b32 s54, exec_lo
.LBB1_313:                              ;   in Loop: Header=BB1_141 Depth=2
	s_or_b32 exec_lo, exec_lo, s53
	s_delay_alu instid0(SALU_CYCLE_1)
	s_and_b32 s53, s54, exec_lo
.LBB1_314:                              ;   in Loop: Header=BB1_141 Depth=2
	s_or_b32 exec_lo, exec_lo, s52
	s_delay_alu instid0(SALU_CYCLE_1)
	s_and_b32 s52, s53, exec_lo
                                        ; implicit-def: $vgpr55
                                        ; implicit-def: $vgpr39
                                        ; implicit-def: $vgpr4_vgpr5_vgpr6_vgpr7
	s_and_not1_saveexec_b32 s51, s51
	s_cbranch_execnz .LBB1_303
.LBB1_315:                              ;   in Loop: Header=BB1_141 Depth=2
	s_or_b32 exec_lo, exec_lo, s51
	s_and_saveexec_b32 s51, s52
	s_cbranch_execz .LBB1_317
.LBB1_316:                              ;   in Loop: Header=BB1_141 Depth=2
	v_lshlrev_b64 v[4:5], 2, v[41:42]
	s_delay_alu instid0(VALU_DEP_1) | instskip(NEXT) | instid1(VALU_DEP_2)
	v_add_co_u32 v4, vcc_lo, s15, v4
	v_add_co_ci_u32_e32 v5, vcc_lo, s30, v5, vcc_lo
	s_waitcnt vmcnt(0)
	global_store_b32 v[4:5], v40, off
.LBB1_317:                              ;   in Loop: Header=BB1_141 Depth=2
	s_or_b32 exec_lo, exec_lo, s51
	s_waitcnt vmcnt(1)
	v_cmp_gt_i32_e32 vcc_lo, 0, v8
	v_add_nc_u32_e32 v5, s18, v37
	s_mov_b32 s52, 0
	s_mov_b32 s51, exec_lo
                                        ; implicit-def: $vgpr6_vgpr7
	v_cndmask_b32_e64 v4, 0x7fffffff, 0, vcc_lo
	s_delay_alu instid0(VALU_DEP_1) | instskip(SKIP_1) | instid1(VALU_DEP_2)
	v_xor_b32_e32 v37, v4, v8
	v_lshl_add_u32 v4, v5, 2, s22
                                        ; implicit-def: $vgpr5
	v_cmpx_ge_u32_e64 v37, v34
	s_xor_b32 s51, exec_lo, s51
	s_cbranch_execz .LBB1_324
; %bb.318:                              ;   in Loop: Header=BB1_141 Depth=2
	s_mov_b32 s53, 0
	s_mov_b32 s52, exec_lo
                                        ; implicit-def: $vgpr5
                                        ; implicit-def: $vgpr6_vgpr7
	v_cmpx_eq_u32_e64 v37, v34
	s_cbranch_execz .LBB1_336
; %bb.319:                              ;   in Loop: Header=BB1_141 Depth=2
	s_mov_b32 s54, exec_lo
	s_mov_b32 s53, exec_lo
	v_mbcnt_lo_u32_b32 v5, s54, 0
                                        ; implicit-def: $vgpr6
	s_delay_alu instid0(VALU_DEP_1)
	v_cmpx_eq_u32_e32 0, v5
	s_cbranch_execz .LBB1_321
; %bb.320:                              ;   in Loop: Header=BB1_141 Depth=2
	s_bcnt1_i32_b32 s54, s54
	s_delay_alu instid0(SALU_CYCLE_1)
	v_mov_b32_e32 v6, s54
	global_atomic_add_u32 v6, v27, v6, s[8:9] offset:512 glc
.LBB1_321:                              ;   in Loop: Header=BB1_141 Depth=2
	s_or_b32 exec_lo, exec_lo, s53
	s_waitcnt vmcnt(0)
	v_readfirstlane_b32 s53, v6
	s_mov_b32 s54, 0
                                        ; implicit-def: $vgpr6_vgpr7
	s_delay_alu instid0(VALU_DEP_1) | instskip(SKIP_1) | instid1(VALU_DEP_1)
	v_add_nc_u32_e32 v37, s53, v5
	s_mov_b32 s53, exec_lo
                                        ; implicit-def: $vgpr5
	v_cmpx_lt_i32_e64 v37, v35
	s_xor_b32 s53, exec_lo, s53
	s_cbranch_execz .LBB1_335
; %bb.322:                              ;   in Loop: Header=BB1_141 Depth=2
	v_xad_u32 v6, v37, -1, s41
	s_delay_alu instid0(VALU_DEP_1) | instskip(NEXT) | instid1(VALU_DEP_1)
	v_ashrrev_i32_e32 v7, 31, v6
	v_lshlrev_b64 v[39:40], 2, v[6:7]
	s_delay_alu instid0(VALU_DEP_1) | instskip(NEXT) | instid1(VALU_DEP_2)
	v_add_co_u32 v39, vcc_lo, s31, v39
	v_add_co_ci_u32_e32 v40, vcc_lo, s33, v40, vcc_lo
	s_and_not1_b32 vcc_lo, exec_lo, s12
	global_store_b32 v[39:40], v8, off
	s_cbranch_vccnz .LBB1_332
; %bb.323:                              ;   in Loop: Header=BB1_141 Depth=2
	v_ashrrev_i32_e32 v5, 31, v4
	s_delay_alu instid0(VALU_DEP_1) | instskip(NEXT) | instid1(VALU_DEP_1)
	v_lshlrev_b64 v[39:40], 2, v[4:5]
	v_add_co_u32 v39, vcc_lo, s16, v39
	s_delay_alu instid0(VALU_DEP_2)
	v_add_co_ci_u32_e32 v40, vcc_lo, s17, v40, vcc_lo
	global_load_b32 v5, v[39:40], off
	s_and_not1_b32 vcc_lo, exec_lo, s54
	s_cbranch_vccz .LBB1_333
	s_branch .LBB1_334
.LBB1_324:                              ;   in Loop: Header=BB1_141 Depth=2
	s_and_not1_saveexec_b32 s51, s51
	s_cbranch_execz .LBB1_337
.LBB1_325:                              ;   in Loop: Header=BB1_141 Depth=2
	s_mov_b32 s54, exec_lo
	s_mov_b32 s53, exec_lo
	s_waitcnt vmcnt(0)
	v_mbcnt_lo_u32_b32 v5, s54, 0
                                        ; implicit-def: $vgpr6
	s_delay_alu instid0(VALU_DEP_1)
	v_cmpx_eq_u32_e32 0, v5
	s_cbranch_execz .LBB1_327
; %bb.326:                              ;   in Loop: Header=BB1_141 Depth=2
	s_bcnt1_i32_b32 s54, s54
	s_delay_alu instid0(SALU_CYCLE_1)
	v_mov_b32_e32 v6, s54
	global_atomic_add_u32 v6, v27, v6, s[8:9] offset:384 glc
.LBB1_327:                              ;   in Loop: Header=BB1_141 Depth=2
	s_or_b32 exec_lo, exec_lo, s53
	s_waitcnt vmcnt(0)
	v_readfirstlane_b32 s53, v6
	s_delay_alu instid0(VALU_DEP_1) | instskip(NEXT) | instid1(VALU_DEP_1)
	v_add_nc_u32_e32 v6, s53, v5
	v_ashrrev_i32_e32 v7, 31, v6
	s_delay_alu instid0(VALU_DEP_1) | instskip(NEXT) | instid1(VALU_DEP_1)
	v_lshlrev_b64 v[39:40], 2, v[6:7]
	v_add_co_u32 v39, vcc_lo, s31, v39
	s_delay_alu instid0(VALU_DEP_2)
	v_add_co_ci_u32_e32 v40, vcc_lo, s33, v40, vcc_lo
	s_and_not1_b32 vcc_lo, exec_lo, s12
	global_store_b32 v[39:40], v8, off
	s_cbranch_vccnz .LBB1_329
; %bb.328:                              ;   in Loop: Header=BB1_141 Depth=2
	v_ashrrev_i32_e32 v5, 31, v4
	s_delay_alu instid0(VALU_DEP_1) | instskip(NEXT) | instid1(VALU_DEP_1)
	v_lshlrev_b64 v[39:40], 2, v[4:5]
	v_add_co_u32 v39, vcc_lo, s16, v39
	s_delay_alu instid0(VALU_DEP_2)
	v_add_co_ci_u32_e32 v40, vcc_lo, s17, v40, vcc_lo
	global_load_b32 v5, v[39:40], off
	s_cbranch_execz .LBB1_330
	s_branch .LBB1_331
.LBB1_329:                              ;   in Loop: Header=BB1_141 Depth=2
                                        ; implicit-def: $vgpr5
.LBB1_330:                              ;   in Loop: Header=BB1_141 Depth=2
	s_waitcnt vmcnt(0)
	v_add_nc_u32_e32 v5, s13, v4
.LBB1_331:                              ;   in Loop: Header=BB1_141 Depth=2
	s_or_b32 s52, s52, exec_lo
	s_or_b32 exec_lo, exec_lo, s51
	s_and_saveexec_b32 s51, s52
	s_cbranch_execnz .LBB1_338
	s_branch .LBB1_339
.LBB1_332:                              ;   in Loop: Header=BB1_141 Depth=2
                                        ; implicit-def: $vgpr5
.LBB1_333:                              ;   in Loop: Header=BB1_141 Depth=2
	s_waitcnt vmcnt(0)
	v_add_nc_u32_e32 v5, s13, v4
.LBB1_334:                              ;   in Loop: Header=BB1_141 Depth=2
	s_mov_b32 s54, exec_lo
.LBB1_335:                              ;   in Loop: Header=BB1_141 Depth=2
	s_or_b32 exec_lo, exec_lo, s53
	s_delay_alu instid0(SALU_CYCLE_1)
	s_and_b32 s53, s54, exec_lo
.LBB1_336:                              ;   in Loop: Header=BB1_141 Depth=2
	s_or_b32 exec_lo, exec_lo, s52
	s_delay_alu instid0(SALU_CYCLE_1)
	s_and_b32 s52, s53, exec_lo
	s_and_not1_saveexec_b32 s51, s51
	s_cbranch_execnz .LBB1_325
.LBB1_337:                              ;   in Loop: Header=BB1_141 Depth=2
	s_or_b32 exec_lo, exec_lo, s51
	s_and_saveexec_b32 s51, s52
	s_cbranch_execz .LBB1_339
.LBB1_338:                              ;   in Loop: Header=BB1_141 Depth=2
	v_lshlrev_b64 v[6:7], 2, v[6:7]
	s_delay_alu instid0(VALU_DEP_1) | instskip(NEXT) | instid1(VALU_DEP_2)
	v_add_co_u32 v6, vcc_lo, s15, v6
	v_add_co_ci_u32_e32 v7, vcc_lo, s30, v7, vcc_lo
	s_waitcnt vmcnt(0)
	global_store_b32 v[6:7], v5, off
.LBB1_339:                              ;   in Loop: Header=BB1_141 Depth=2
	s_or_b32 exec_lo, exec_lo, s51
	v_cmp_gt_i32_e32 vcc_lo, 0, v9
	v_add_nc_u32_e32 v8, 1, v4
	s_mov_b32 s52, 0
	s_mov_b32 s51, exec_lo
                                        ; implicit-def: $vgpr6_vgpr7
	s_waitcnt vmcnt(0)
	v_cndmask_b32_e64 v5, 0x7fffffff, 0, vcc_lo
	s_delay_alu instid0(VALU_DEP_1) | instskip(NEXT) | instid1(VALU_DEP_1)
	v_xor_b32_e32 v37, v5, v9
                                        ; implicit-def: $vgpr5
	v_cmpx_ge_u32_e64 v37, v34
	s_xor_b32 s51, exec_lo, s51
	s_cbranch_execz .LBB1_346
; %bb.340:                              ;   in Loop: Header=BB1_141 Depth=2
	s_mov_b32 s53, 0
	s_mov_b32 s52, exec_lo
                                        ; implicit-def: $vgpr5
                                        ; implicit-def: $vgpr6_vgpr7
	v_cmpx_eq_u32_e64 v37, v34
	s_cbranch_execz .LBB1_358
; %bb.341:                              ;   in Loop: Header=BB1_141 Depth=2
	s_mov_b32 s54, exec_lo
	s_mov_b32 s53, exec_lo
	v_mbcnt_lo_u32_b32 v5, s54, 0
                                        ; implicit-def: $vgpr6
	s_delay_alu instid0(VALU_DEP_1)
	v_cmpx_eq_u32_e32 0, v5
	s_cbranch_execz .LBB1_343
; %bb.342:                              ;   in Loop: Header=BB1_141 Depth=2
	s_bcnt1_i32_b32 s54, s54
	s_delay_alu instid0(SALU_CYCLE_1)
	v_mov_b32_e32 v6, s54
	global_atomic_add_u32 v6, v27, v6, s[8:9] offset:512 glc
.LBB1_343:                              ;   in Loop: Header=BB1_141 Depth=2
	s_or_b32 exec_lo, exec_lo, s53
	s_waitcnt vmcnt(0)
	v_readfirstlane_b32 s53, v6
	s_mov_b32 s54, 0
                                        ; implicit-def: $vgpr6_vgpr7
	s_delay_alu instid0(VALU_DEP_1) | instskip(SKIP_1) | instid1(VALU_DEP_1)
	v_add_nc_u32_e32 v37, s53, v5
	s_mov_b32 s53, exec_lo
                                        ; implicit-def: $vgpr5
	v_cmpx_lt_i32_e64 v37, v35
	s_cbranch_execz .LBB1_357
; %bb.344:                              ;   in Loop: Header=BB1_141 Depth=2
	v_xad_u32 v6, v37, -1, s41
	s_delay_alu instid0(VALU_DEP_1) | instskip(NEXT) | instid1(VALU_DEP_1)
	v_ashrrev_i32_e32 v7, 31, v6
	v_lshlrev_b64 v[39:40], 2, v[6:7]
	s_delay_alu instid0(VALU_DEP_1) | instskip(NEXT) | instid1(VALU_DEP_2)
	v_add_co_u32 v39, vcc_lo, s31, v39
	v_add_co_ci_u32_e32 v40, vcc_lo, s33, v40, vcc_lo
	s_and_not1_b32 vcc_lo, exec_lo, s12
	global_store_b32 v[39:40], v9, off
	s_cbranch_vccnz .LBB1_354
; %bb.345:                              ;   in Loop: Header=BB1_141 Depth=2
	v_ashrrev_i32_e32 v5, 31, v4
	s_delay_alu instid0(VALU_DEP_1) | instskip(NEXT) | instid1(VALU_DEP_1)
	v_lshlrev_b64 v[39:40], 2, v[4:5]
	v_add_co_u32 v39, vcc_lo, s14, v39
	s_delay_alu instid0(VALU_DEP_2)
	v_add_co_ci_u32_e32 v40, vcc_lo, s19, v40, vcc_lo
	global_load_b32 v5, v[39:40], off
	s_and_not1_b32 vcc_lo, exec_lo, s54
	s_cbranch_vccz .LBB1_355
	s_branch .LBB1_356
.LBB1_346:                              ;   in Loop: Header=BB1_141 Depth=2
	s_and_not1_saveexec_b32 s51, s51
	s_cbranch_execz .LBB1_359
.LBB1_347:                              ;   in Loop: Header=BB1_141 Depth=2
	s_mov_b32 s54, exec_lo
	s_mov_b32 s53, exec_lo
	s_waitcnt vmcnt(0)
	v_mbcnt_lo_u32_b32 v5, s54, 0
                                        ; implicit-def: $vgpr6
	s_delay_alu instid0(VALU_DEP_1)
	v_cmpx_eq_u32_e32 0, v5
	s_cbranch_execz .LBB1_349
; %bb.348:                              ;   in Loop: Header=BB1_141 Depth=2
	s_bcnt1_i32_b32 s54, s54
	s_delay_alu instid0(SALU_CYCLE_1)
	v_mov_b32_e32 v6, s54
	global_atomic_add_u32 v6, v27, v6, s[8:9] offset:384 glc
.LBB1_349:                              ;   in Loop: Header=BB1_141 Depth=2
	s_or_b32 exec_lo, exec_lo, s53
	s_waitcnt vmcnt(0)
	v_readfirstlane_b32 s53, v6
	s_delay_alu instid0(VALU_DEP_1) | instskip(NEXT) | instid1(VALU_DEP_1)
	v_add_nc_u32_e32 v6, s53, v5
	v_ashrrev_i32_e32 v7, 31, v6
	s_delay_alu instid0(VALU_DEP_1) | instskip(NEXT) | instid1(VALU_DEP_1)
	v_lshlrev_b64 v[39:40], 2, v[6:7]
	v_add_co_u32 v39, vcc_lo, s31, v39
	s_delay_alu instid0(VALU_DEP_2)
	v_add_co_ci_u32_e32 v40, vcc_lo, s33, v40, vcc_lo
	s_and_not1_b32 vcc_lo, exec_lo, s12
	global_store_b32 v[39:40], v9, off
	s_cbranch_vccnz .LBB1_351
; %bb.350:                              ;   in Loop: Header=BB1_141 Depth=2
	v_ashrrev_i32_e32 v5, 31, v4
	s_delay_alu instid0(VALU_DEP_1) | instskip(NEXT) | instid1(VALU_DEP_1)
	v_lshlrev_b64 v[39:40], 2, v[4:5]
	v_add_co_u32 v39, vcc_lo, s14, v39
	s_delay_alu instid0(VALU_DEP_2)
	v_add_co_ci_u32_e32 v40, vcc_lo, s19, v40, vcc_lo
	global_load_b32 v5, v[39:40], off
	s_cbranch_execz .LBB1_352
	s_branch .LBB1_353
.LBB1_351:                              ;   in Loop: Header=BB1_141 Depth=2
                                        ; implicit-def: $vgpr5
.LBB1_352:                              ;   in Loop: Header=BB1_141 Depth=2
	s_waitcnt vmcnt(0)
	v_add_nc_u32_e32 v5, s13, v8
.LBB1_353:                              ;   in Loop: Header=BB1_141 Depth=2
	s_or_b32 s52, s52, exec_lo
	s_or_b32 exec_lo, exec_lo, s51
	s_and_saveexec_b32 s51, s52
	s_cbranch_execnz .LBB1_360
	s_branch .LBB1_361
.LBB1_354:                              ;   in Loop: Header=BB1_141 Depth=2
                                        ; implicit-def: $vgpr5
.LBB1_355:                              ;   in Loop: Header=BB1_141 Depth=2
	s_waitcnt vmcnt(0)
	v_add_nc_u32_e32 v5, s13, v8
.LBB1_356:                              ;   in Loop: Header=BB1_141 Depth=2
	s_mov_b32 s54, exec_lo
.LBB1_357:                              ;   in Loop: Header=BB1_141 Depth=2
	s_or_b32 exec_lo, exec_lo, s53
	s_delay_alu instid0(SALU_CYCLE_1)
	s_and_b32 s53, s54, exec_lo
.LBB1_358:                              ;   in Loop: Header=BB1_141 Depth=2
	s_or_b32 exec_lo, exec_lo, s52
	s_delay_alu instid0(SALU_CYCLE_1)
	s_and_b32 s52, s53, exec_lo
                                        ; implicit-def: $vgpr8
	s_and_not1_saveexec_b32 s51, s51
	s_cbranch_execnz .LBB1_347
.LBB1_359:                              ;   in Loop: Header=BB1_141 Depth=2
	s_or_b32 exec_lo, exec_lo, s51
	s_and_saveexec_b32 s51, s52
	s_cbranch_execz .LBB1_361
.LBB1_360:                              ;   in Loop: Header=BB1_141 Depth=2
	v_lshlrev_b64 v[6:7], 2, v[6:7]
	s_delay_alu instid0(VALU_DEP_1) | instskip(NEXT) | instid1(VALU_DEP_2)
	v_add_co_u32 v6, vcc_lo, s15, v6
	v_add_co_ci_u32_e32 v7, vcc_lo, s30, v7, vcc_lo
	s_waitcnt vmcnt(0)
	global_store_b32 v[6:7], v5, off
.LBB1_361:                              ;   in Loop: Header=BB1_141 Depth=2
	s_or_b32 exec_lo, exec_lo, s51
	v_cmp_gt_i32_e32 vcc_lo, 0, v10
	v_add_nc_u32_e32 v8, 2, v4
	s_mov_b32 s52, 0
	s_mov_b32 s51, exec_lo
                                        ; implicit-def: $vgpr6_vgpr7
	s_waitcnt vmcnt(0)
	v_cndmask_b32_e64 v5, 0x7fffffff, 0, vcc_lo
	s_delay_alu instid0(VALU_DEP_1) | instskip(NEXT) | instid1(VALU_DEP_1)
	v_xor_b32_e32 v9, v5, v10
                                        ; implicit-def: $vgpr5
	v_cmpx_ge_u32_e64 v9, v34
	s_xor_b32 s51, exec_lo, s51
	s_cbranch_execz .LBB1_368
; %bb.362:                              ;   in Loop: Header=BB1_141 Depth=2
	s_mov_b32 s53, 0
	s_mov_b32 s52, exec_lo
                                        ; implicit-def: $vgpr5
                                        ; implicit-def: $vgpr6_vgpr7
	v_cmpx_eq_u32_e64 v9, v34
	s_cbranch_execz .LBB1_380
; %bb.363:                              ;   in Loop: Header=BB1_141 Depth=2
	s_mov_b32 s54, exec_lo
	s_mov_b32 s53, exec_lo
	v_mbcnt_lo_u32_b32 v5, s54, 0
                                        ; implicit-def: $vgpr6
	s_delay_alu instid0(VALU_DEP_1)
	v_cmpx_eq_u32_e32 0, v5
	s_cbranch_execz .LBB1_365
; %bb.364:                              ;   in Loop: Header=BB1_141 Depth=2
	s_bcnt1_i32_b32 s54, s54
	s_delay_alu instid0(SALU_CYCLE_1)
	v_mov_b32_e32 v6, s54
	global_atomic_add_u32 v6, v27, v6, s[8:9] offset:512 glc
.LBB1_365:                              ;   in Loop: Header=BB1_141 Depth=2
	s_or_b32 exec_lo, exec_lo, s53
	s_waitcnt vmcnt(0)
	v_readfirstlane_b32 s53, v6
	s_mov_b32 s54, 0
                                        ; implicit-def: $vgpr6_vgpr7
	s_delay_alu instid0(VALU_DEP_1) | instskip(SKIP_1) | instid1(VALU_DEP_1)
	v_add_nc_u32_e32 v9, s53, v5
	s_mov_b32 s53, exec_lo
                                        ; implicit-def: $vgpr5
	v_cmpx_lt_i32_e64 v9, v35
	s_cbranch_execz .LBB1_379
; %bb.366:                              ;   in Loop: Header=BB1_141 Depth=2
	v_xad_u32 v6, v9, -1, s41
	s_delay_alu instid0(VALU_DEP_1) | instskip(NEXT) | instid1(VALU_DEP_1)
	v_ashrrev_i32_e32 v7, 31, v6
	v_lshlrev_b64 v[39:40], 2, v[6:7]
	s_delay_alu instid0(VALU_DEP_1) | instskip(NEXT) | instid1(VALU_DEP_2)
	v_add_co_u32 v39, vcc_lo, s31, v39
	v_add_co_ci_u32_e32 v40, vcc_lo, s33, v40, vcc_lo
	s_and_not1_b32 vcc_lo, exec_lo, s12
	global_store_b32 v[39:40], v10, off
	s_cbranch_vccnz .LBB1_376
; %bb.367:                              ;   in Loop: Header=BB1_141 Depth=2
	v_ashrrev_i32_e32 v5, 31, v4
	s_delay_alu instid0(VALU_DEP_1) | instskip(NEXT) | instid1(VALU_DEP_1)
	v_lshlrev_b64 v[39:40], 2, v[4:5]
	v_add_co_u32 v39, vcc_lo, s23, v39
	s_delay_alu instid0(VALU_DEP_2)
	v_add_co_ci_u32_e32 v40, vcc_lo, s36, v40, vcc_lo
	global_load_b32 v5, v[39:40], off
	s_and_not1_b32 vcc_lo, exec_lo, s54
	s_cbranch_vccz .LBB1_377
	s_branch .LBB1_378
.LBB1_368:                              ;   in Loop: Header=BB1_141 Depth=2
	s_and_not1_saveexec_b32 s51, s51
	s_cbranch_execz .LBB1_381
.LBB1_369:                              ;   in Loop: Header=BB1_141 Depth=2
	s_mov_b32 s54, exec_lo
	s_mov_b32 s53, exec_lo
	s_waitcnt vmcnt(0)
	v_mbcnt_lo_u32_b32 v5, s54, 0
                                        ; implicit-def: $vgpr6
	s_delay_alu instid0(VALU_DEP_1)
	v_cmpx_eq_u32_e32 0, v5
	s_cbranch_execz .LBB1_371
; %bb.370:                              ;   in Loop: Header=BB1_141 Depth=2
	s_bcnt1_i32_b32 s54, s54
	s_delay_alu instid0(SALU_CYCLE_1)
	v_mov_b32_e32 v6, s54
	global_atomic_add_u32 v6, v27, v6, s[8:9] offset:384 glc
.LBB1_371:                              ;   in Loop: Header=BB1_141 Depth=2
	s_or_b32 exec_lo, exec_lo, s53
	s_waitcnt vmcnt(0)
	v_readfirstlane_b32 s53, v6
	s_delay_alu instid0(VALU_DEP_1) | instskip(NEXT) | instid1(VALU_DEP_1)
	v_add_nc_u32_e32 v6, s53, v5
	v_ashrrev_i32_e32 v7, 31, v6
	s_delay_alu instid0(VALU_DEP_1) | instskip(NEXT) | instid1(VALU_DEP_1)
	v_lshlrev_b64 v[39:40], 2, v[6:7]
	v_add_co_u32 v39, vcc_lo, s31, v39
	s_delay_alu instid0(VALU_DEP_2)
	v_add_co_ci_u32_e32 v40, vcc_lo, s33, v40, vcc_lo
	s_and_not1_b32 vcc_lo, exec_lo, s12
	global_store_b32 v[39:40], v10, off
	s_cbranch_vccnz .LBB1_373
; %bb.372:                              ;   in Loop: Header=BB1_141 Depth=2
	v_ashrrev_i32_e32 v5, 31, v4
	s_delay_alu instid0(VALU_DEP_1) | instskip(NEXT) | instid1(VALU_DEP_1)
	v_lshlrev_b64 v[9:10], 2, v[4:5]
	v_add_co_u32 v9, vcc_lo, s23, v9
	s_delay_alu instid0(VALU_DEP_2)
	v_add_co_ci_u32_e32 v10, vcc_lo, s36, v10, vcc_lo
	global_load_b32 v5, v[9:10], off
	s_cbranch_execz .LBB1_374
	s_branch .LBB1_375
.LBB1_373:                              ;   in Loop: Header=BB1_141 Depth=2
                                        ; implicit-def: $vgpr5
.LBB1_374:                              ;   in Loop: Header=BB1_141 Depth=2
	s_waitcnt vmcnt(0)
	v_add_nc_u32_e32 v5, s13, v8
.LBB1_375:                              ;   in Loop: Header=BB1_141 Depth=2
	s_or_b32 s52, s52, exec_lo
	s_or_b32 exec_lo, exec_lo, s51
	s_and_saveexec_b32 s51, s52
	s_cbranch_execnz .LBB1_382
	s_branch .LBB1_383
.LBB1_376:                              ;   in Loop: Header=BB1_141 Depth=2
                                        ; implicit-def: $vgpr5
.LBB1_377:                              ;   in Loop: Header=BB1_141 Depth=2
	s_waitcnt vmcnt(0)
	v_add_nc_u32_e32 v5, s13, v8
.LBB1_378:                              ;   in Loop: Header=BB1_141 Depth=2
	s_mov_b32 s54, exec_lo
.LBB1_379:                              ;   in Loop: Header=BB1_141 Depth=2
	s_or_b32 exec_lo, exec_lo, s53
	s_delay_alu instid0(SALU_CYCLE_1)
	s_and_b32 s53, s54, exec_lo
.LBB1_380:                              ;   in Loop: Header=BB1_141 Depth=2
	s_or_b32 exec_lo, exec_lo, s52
	s_delay_alu instid0(SALU_CYCLE_1)
	s_and_b32 s52, s53, exec_lo
                                        ; implicit-def: $vgpr8
	s_and_not1_saveexec_b32 s51, s51
	s_cbranch_execnz .LBB1_369
.LBB1_381:                              ;   in Loop: Header=BB1_141 Depth=2
	s_or_b32 exec_lo, exec_lo, s51
	s_and_saveexec_b32 s51, s52
	s_cbranch_execz .LBB1_383
.LBB1_382:                              ;   in Loop: Header=BB1_141 Depth=2
	v_lshlrev_b64 v[6:7], 2, v[6:7]
	s_delay_alu instid0(VALU_DEP_1) | instskip(NEXT) | instid1(VALU_DEP_2)
	v_add_co_u32 v6, vcc_lo, s15, v6
	v_add_co_ci_u32_e32 v7, vcc_lo, s30, v7, vcc_lo
	s_waitcnt vmcnt(0)
	global_store_b32 v[6:7], v5, off
.LBB1_383:                              ;   in Loop: Header=BB1_141 Depth=2
	s_or_b32 exec_lo, exec_lo, s51
	v_cmp_gt_i32_e32 vcc_lo, 0, v11
	v_add_nc_u32_e32 v37, 3, v4
	s_mov_b32 s52, 0
	s_mov_b32 s51, exec_lo
                                        ; implicit-def: $vgpr6_vgpr7
	s_waitcnt vmcnt(0)
	v_cndmask_b32_e64 v5, 0x7fffffff, 0, vcc_lo
	s_delay_alu instid0(VALU_DEP_1) | instskip(NEXT) | instid1(VALU_DEP_1)
	v_xor_b32_e32 v8, v5, v11
                                        ; implicit-def: $vgpr5
	v_cmpx_ge_u32_e64 v8, v34
	s_xor_b32 s51, exec_lo, s51
	s_cbranch_execz .LBB1_390
; %bb.384:                              ;   in Loop: Header=BB1_141 Depth=2
	s_mov_b32 s53, 0
	s_mov_b32 s52, exec_lo
                                        ; implicit-def: $vgpr5
                                        ; implicit-def: $vgpr6_vgpr7
	v_cmpx_eq_u32_e64 v8, v34
	s_cbranch_execz .LBB1_402
; %bb.385:                              ;   in Loop: Header=BB1_141 Depth=2
	s_mov_b32 s54, exec_lo
	s_mov_b32 s53, exec_lo
	v_mbcnt_lo_u32_b32 v5, s54, 0
                                        ; implicit-def: $vgpr6
	s_delay_alu instid0(VALU_DEP_1)
	v_cmpx_eq_u32_e32 0, v5
	s_cbranch_execz .LBB1_387
; %bb.386:                              ;   in Loop: Header=BB1_141 Depth=2
	s_bcnt1_i32_b32 s54, s54
	s_delay_alu instid0(SALU_CYCLE_1)
	v_mov_b32_e32 v6, s54
	global_atomic_add_u32 v6, v27, v6, s[8:9] offset:512 glc
.LBB1_387:                              ;   in Loop: Header=BB1_141 Depth=2
	s_or_b32 exec_lo, exec_lo, s53
	s_waitcnt vmcnt(0)
	v_readfirstlane_b32 s53, v6
	s_mov_b32 s54, 0
                                        ; implicit-def: $vgpr6_vgpr7
	s_delay_alu instid0(VALU_DEP_1) | instskip(SKIP_1) | instid1(VALU_DEP_1)
	v_add_nc_u32_e32 v8, s53, v5
	s_mov_b32 s53, exec_lo
                                        ; implicit-def: $vgpr5
	v_cmpx_lt_i32_e64 v8, v35
	s_cbranch_execz .LBB1_401
; %bb.388:                              ;   in Loop: Header=BB1_141 Depth=2
	v_xad_u32 v6, v8, -1, s41
	s_delay_alu instid0(VALU_DEP_1) | instskip(NEXT) | instid1(VALU_DEP_1)
	v_ashrrev_i32_e32 v7, 31, v6
	v_lshlrev_b64 v[8:9], 2, v[6:7]
	s_delay_alu instid0(VALU_DEP_1) | instskip(NEXT) | instid1(VALU_DEP_2)
	v_add_co_u32 v8, vcc_lo, s31, v8
	v_add_co_ci_u32_e32 v9, vcc_lo, s33, v9, vcc_lo
	s_and_not1_b32 vcc_lo, exec_lo, s12
	global_store_b32 v[8:9], v11, off
	s_cbranch_vccnz .LBB1_398
; %bb.389:                              ;   in Loop: Header=BB1_141 Depth=2
	v_ashrrev_i32_e32 v5, 31, v4
	s_delay_alu instid0(VALU_DEP_1) | instskip(NEXT) | instid1(VALU_DEP_1)
	v_lshlrev_b64 v[4:5], 2, v[4:5]
	v_add_co_u32 v4, vcc_lo, s37, v4
	s_delay_alu instid0(VALU_DEP_2)
	v_add_co_ci_u32_e32 v5, vcc_lo, s38, v5, vcc_lo
	global_load_b32 v5, v[4:5], off
	s_and_not1_b32 vcc_lo, exec_lo, s54
	s_cbranch_vccz .LBB1_399
	s_branch .LBB1_400
.LBB1_390:                              ;   in Loop: Header=BB1_141 Depth=2
	s_and_not1_saveexec_b32 s51, s51
	s_cbranch_execz .LBB1_403
.LBB1_391:                              ;   in Loop: Header=BB1_141 Depth=2
	s_mov_b32 s54, exec_lo
	s_mov_b32 s53, exec_lo
	s_waitcnt vmcnt(0)
	v_mbcnt_lo_u32_b32 v5, s54, 0
                                        ; implicit-def: $vgpr6
	s_delay_alu instid0(VALU_DEP_1)
	v_cmpx_eq_u32_e32 0, v5
	s_cbranch_execz .LBB1_393
; %bb.392:                              ;   in Loop: Header=BB1_141 Depth=2
	s_bcnt1_i32_b32 s54, s54
	s_delay_alu instid0(SALU_CYCLE_1)
	v_mov_b32_e32 v6, s54
	global_atomic_add_u32 v6, v27, v6, s[8:9] offset:384 glc
.LBB1_393:                              ;   in Loop: Header=BB1_141 Depth=2
	s_or_b32 exec_lo, exec_lo, s53
	s_waitcnt vmcnt(0)
	v_readfirstlane_b32 s53, v6
	s_delay_alu instid0(VALU_DEP_1) | instskip(NEXT) | instid1(VALU_DEP_1)
	v_add_nc_u32_e32 v6, s53, v5
	v_ashrrev_i32_e32 v7, 31, v6
	s_delay_alu instid0(VALU_DEP_1) | instskip(NEXT) | instid1(VALU_DEP_1)
	v_lshlrev_b64 v[8:9], 2, v[6:7]
	v_add_co_u32 v8, vcc_lo, s31, v8
	s_delay_alu instid0(VALU_DEP_2)
	v_add_co_ci_u32_e32 v9, vcc_lo, s33, v9, vcc_lo
	s_and_not1_b32 vcc_lo, exec_lo, s12
	global_store_b32 v[8:9], v11, off
	s_cbranch_vccnz .LBB1_395
; %bb.394:                              ;   in Loop: Header=BB1_141 Depth=2
	v_ashrrev_i32_e32 v5, 31, v4
	s_delay_alu instid0(VALU_DEP_1) | instskip(NEXT) | instid1(VALU_DEP_1)
	v_lshlrev_b64 v[4:5], 2, v[4:5]
	v_add_co_u32 v4, vcc_lo, s37, v4
	s_delay_alu instid0(VALU_DEP_2)
	v_add_co_ci_u32_e32 v5, vcc_lo, s38, v5, vcc_lo
	global_load_b32 v5, v[4:5], off
	s_cbranch_execz .LBB1_396
	s_branch .LBB1_397
.LBB1_395:                              ;   in Loop: Header=BB1_141 Depth=2
                                        ; implicit-def: $vgpr5
.LBB1_396:                              ;   in Loop: Header=BB1_141 Depth=2
	s_waitcnt vmcnt(0)
	v_add_nc_u32_e32 v5, s13, v37
.LBB1_397:                              ;   in Loop: Header=BB1_141 Depth=2
	s_or_b32 s52, s52, exec_lo
	s_or_b32 exec_lo, exec_lo, s51
	s_and_saveexec_b32 s51, s52
	s_cbranch_execnz .LBB1_404
	s_branch .LBB1_405
.LBB1_398:                              ;   in Loop: Header=BB1_141 Depth=2
                                        ; implicit-def: $vgpr5
.LBB1_399:                              ;   in Loop: Header=BB1_141 Depth=2
	s_waitcnt vmcnt(0)
	v_add_nc_u32_e32 v5, s13, v37
.LBB1_400:                              ;   in Loop: Header=BB1_141 Depth=2
	s_mov_b32 s54, exec_lo
.LBB1_401:                              ;   in Loop: Header=BB1_141 Depth=2
	s_or_b32 exec_lo, exec_lo, s53
	s_delay_alu instid0(SALU_CYCLE_1)
	s_and_b32 s53, s54, exec_lo
.LBB1_402:                              ;   in Loop: Header=BB1_141 Depth=2
	s_or_b32 exec_lo, exec_lo, s52
	s_delay_alu instid0(SALU_CYCLE_1)
	s_and_b32 s52, s53, exec_lo
                                        ; implicit-def: $vgpr37
                                        ; implicit-def: $vgpr4
                                        ; implicit-def: $vgpr8_vgpr9_vgpr10_vgpr11
	s_and_not1_saveexec_b32 s51, s51
	s_cbranch_execnz .LBB1_391
.LBB1_403:                              ;   in Loop: Header=BB1_141 Depth=2
	s_or_b32 exec_lo, exec_lo, s51
	s_and_saveexec_b32 s51, s52
	s_cbranch_execz .LBB1_405
.LBB1_404:                              ;   in Loop: Header=BB1_141 Depth=2
	v_lshlrev_b64 v[6:7], 2, v[6:7]
	s_delay_alu instid0(VALU_DEP_1) | instskip(NEXT) | instid1(VALU_DEP_2)
	v_add_co_u32 v6, vcc_lo, s15, v6
	v_add_co_ci_u32_e32 v7, vcc_lo, s30, v7, vcc_lo
	s_waitcnt vmcnt(0)
	global_store_b32 v[6:7], v5, off
.LBB1_405:                              ;   in Loop: Header=BB1_141 Depth=2
	s_or_b32 exec_lo, exec_lo, s51
	v_cmp_gt_i32_e32 vcc_lo, 0, v0
	s_mov_b32 s52, 0
	s_mov_b32 s51, exec_lo
                                        ; implicit-def: $vgpr5
                                        ; implicit-def: $vgpr6_vgpr7
	v_cndmask_b32_e64 v4, 0x7fffffff, 0, vcc_lo
	s_delay_alu instid0(VALU_DEP_1) | instskip(SKIP_1) | instid1(VALU_DEP_2)
	v_xor_b32_e32 v8, v4, v0
	v_lshl_add_u32 v4, v38, 2, s22
	v_cmpx_ge_u32_e64 v8, v34
	s_xor_b32 s51, exec_lo, s51
	s_cbranch_execz .LBB1_412
; %bb.406:                              ;   in Loop: Header=BB1_141 Depth=2
	s_mov_b32 s53, 0
	s_mov_b32 s52, exec_lo
                                        ; implicit-def: $vgpr5
                                        ; implicit-def: $vgpr6_vgpr7
	v_cmpx_eq_u32_e64 v8, v34
	s_cbranch_execz .LBB1_424
; %bb.407:                              ;   in Loop: Header=BB1_141 Depth=2
	s_mov_b32 s54, exec_lo
	s_mov_b32 s53, exec_lo
	s_waitcnt vmcnt(0)
	v_mbcnt_lo_u32_b32 v5, s54, 0
                                        ; implicit-def: $vgpr6
	s_delay_alu instid0(VALU_DEP_1)
	v_cmpx_eq_u32_e32 0, v5
	s_cbranch_execz .LBB1_409
; %bb.408:                              ;   in Loop: Header=BB1_141 Depth=2
	s_bcnt1_i32_b32 s54, s54
	s_delay_alu instid0(SALU_CYCLE_1)
	v_mov_b32_e32 v6, s54
	global_atomic_add_u32 v6, v27, v6, s[8:9] offset:512 glc
.LBB1_409:                              ;   in Loop: Header=BB1_141 Depth=2
	s_or_b32 exec_lo, exec_lo, s53
	s_waitcnt vmcnt(0)
	v_readfirstlane_b32 s53, v6
	s_mov_b32 s54, 0
                                        ; implicit-def: $vgpr6_vgpr7
	s_delay_alu instid0(VALU_DEP_1) | instskip(SKIP_1) | instid1(VALU_DEP_1)
	v_add_nc_u32_e32 v8, s53, v5
	s_mov_b32 s53, exec_lo
                                        ; implicit-def: $vgpr5
	v_cmpx_lt_i32_e64 v8, v35
	s_xor_b32 s53, exec_lo, s53
	s_cbranch_execz .LBB1_423
; %bb.410:                              ;   in Loop: Header=BB1_141 Depth=2
	v_xad_u32 v6, v8, -1, s41
	s_delay_alu instid0(VALU_DEP_1) | instskip(NEXT) | instid1(VALU_DEP_1)
	v_ashrrev_i32_e32 v7, 31, v6
	v_lshlrev_b64 v[8:9], 2, v[6:7]
	s_delay_alu instid0(VALU_DEP_1) | instskip(NEXT) | instid1(VALU_DEP_2)
	v_add_co_u32 v8, vcc_lo, s31, v8
	v_add_co_ci_u32_e32 v9, vcc_lo, s33, v9, vcc_lo
	s_and_not1_b32 vcc_lo, exec_lo, s12
	global_store_b32 v[8:9], v0, off
	s_cbranch_vccnz .LBB1_420
; %bb.411:                              ;   in Loop: Header=BB1_141 Depth=2
	v_ashrrev_i32_e32 v5, 31, v4
	s_delay_alu instid0(VALU_DEP_1) | instskip(NEXT) | instid1(VALU_DEP_1)
	v_lshlrev_b64 v[8:9], 2, v[4:5]
	v_add_co_u32 v8, vcc_lo, s16, v8
	s_delay_alu instid0(VALU_DEP_2)
	v_add_co_ci_u32_e32 v9, vcc_lo, s17, v9, vcc_lo
	global_load_b32 v5, v[8:9], off
	s_and_not1_b32 vcc_lo, exec_lo, s54
	s_cbranch_vccz .LBB1_421
	s_branch .LBB1_422
.LBB1_412:                              ;   in Loop: Header=BB1_141 Depth=2
	s_and_not1_saveexec_b32 s51, s51
	s_cbranch_execz .LBB1_425
.LBB1_413:                              ;   in Loop: Header=BB1_141 Depth=2
	s_mov_b32 s54, exec_lo
	s_mov_b32 s53, exec_lo
	s_waitcnt vmcnt(0)
	v_mbcnt_lo_u32_b32 v5, s54, 0
                                        ; implicit-def: $vgpr6
	s_delay_alu instid0(VALU_DEP_1)
	v_cmpx_eq_u32_e32 0, v5
	s_cbranch_execz .LBB1_415
; %bb.414:                              ;   in Loop: Header=BB1_141 Depth=2
	s_bcnt1_i32_b32 s54, s54
	s_delay_alu instid0(SALU_CYCLE_1)
	v_mov_b32_e32 v6, s54
	global_atomic_add_u32 v6, v27, v6, s[8:9] offset:384 glc
.LBB1_415:                              ;   in Loop: Header=BB1_141 Depth=2
	s_or_b32 exec_lo, exec_lo, s53
	s_waitcnt vmcnt(0)
	v_readfirstlane_b32 s53, v6
	s_delay_alu instid0(VALU_DEP_1) | instskip(NEXT) | instid1(VALU_DEP_1)
	v_add_nc_u32_e32 v6, s53, v5
	v_ashrrev_i32_e32 v7, 31, v6
	s_delay_alu instid0(VALU_DEP_1) | instskip(NEXT) | instid1(VALU_DEP_1)
	v_lshlrev_b64 v[8:9], 2, v[6:7]
	v_add_co_u32 v8, vcc_lo, s31, v8
	s_delay_alu instid0(VALU_DEP_2)
	v_add_co_ci_u32_e32 v9, vcc_lo, s33, v9, vcc_lo
	s_and_not1_b32 vcc_lo, exec_lo, s12
	global_store_b32 v[8:9], v0, off
	s_cbranch_vccnz .LBB1_417
; %bb.416:                              ;   in Loop: Header=BB1_141 Depth=2
	v_ashrrev_i32_e32 v5, 31, v4
	s_delay_alu instid0(VALU_DEP_1) | instskip(NEXT) | instid1(VALU_DEP_1)
	v_lshlrev_b64 v[8:9], 2, v[4:5]
	v_add_co_u32 v8, vcc_lo, s16, v8
	s_delay_alu instid0(VALU_DEP_2)
	v_add_co_ci_u32_e32 v9, vcc_lo, s17, v9, vcc_lo
	global_load_b32 v5, v[8:9], off
	s_cbranch_execz .LBB1_418
	s_branch .LBB1_419
.LBB1_417:                              ;   in Loop: Header=BB1_141 Depth=2
                                        ; implicit-def: $vgpr5
.LBB1_418:                              ;   in Loop: Header=BB1_141 Depth=2
	s_waitcnt vmcnt(0)
	v_add_nc_u32_e32 v5, s13, v4
.LBB1_419:                              ;   in Loop: Header=BB1_141 Depth=2
	s_or_b32 s52, s52, exec_lo
	s_or_b32 exec_lo, exec_lo, s51
	s_and_saveexec_b32 s51, s52
	s_cbranch_execnz .LBB1_426
	s_branch .LBB1_427
.LBB1_420:                              ;   in Loop: Header=BB1_141 Depth=2
                                        ; implicit-def: $vgpr5
.LBB1_421:                              ;   in Loop: Header=BB1_141 Depth=2
	s_waitcnt vmcnt(0)
	v_add_nc_u32_e32 v5, s13, v4
.LBB1_422:                              ;   in Loop: Header=BB1_141 Depth=2
	s_mov_b32 s54, exec_lo
.LBB1_423:                              ;   in Loop: Header=BB1_141 Depth=2
	s_or_b32 exec_lo, exec_lo, s53
	s_delay_alu instid0(SALU_CYCLE_1)
	s_and_b32 s53, s54, exec_lo
.LBB1_424:                              ;   in Loop: Header=BB1_141 Depth=2
	s_or_b32 exec_lo, exec_lo, s52
	s_delay_alu instid0(SALU_CYCLE_1)
	s_and_b32 s52, s53, exec_lo
	s_and_not1_saveexec_b32 s51, s51
	s_cbranch_execnz .LBB1_413
.LBB1_425:                              ;   in Loop: Header=BB1_141 Depth=2
	s_or_b32 exec_lo, exec_lo, s51
	s_and_saveexec_b32 s51, s52
	s_cbranch_execz .LBB1_427
.LBB1_426:                              ;   in Loop: Header=BB1_141 Depth=2
	v_lshlrev_b64 v[6:7], 2, v[6:7]
	s_delay_alu instid0(VALU_DEP_1) | instskip(NEXT) | instid1(VALU_DEP_2)
	v_add_co_u32 v6, vcc_lo, s15, v6
	v_add_co_ci_u32_e32 v7, vcc_lo, s30, v7, vcc_lo
	s_waitcnt vmcnt(0)
	global_store_b32 v[6:7], v5, off
.LBB1_427:                              ;   in Loop: Header=BB1_141 Depth=2
	s_or_b32 exec_lo, exec_lo, s51
	v_cmp_gt_i32_e32 vcc_lo, 0, v1
	s_mov_b32 s52, 0
	s_mov_b32 s51, exec_lo
                                        ; implicit-def: $vgpr5
                                        ; implicit-def: $vgpr6_vgpr7
	v_cndmask_b32_e64 v0, 0x7fffffff, 0, vcc_lo
	s_delay_alu instid0(VALU_DEP_1) | instskip(SKIP_1) | instid1(VALU_DEP_2)
	v_xor_b32_e32 v8, v0, v1
	v_add_nc_u32_e32 v0, 1, v4
	v_cmpx_ge_u32_e64 v8, v34
	s_xor_b32 s51, exec_lo, s51
	s_cbranch_execz .LBB1_434
; %bb.428:                              ;   in Loop: Header=BB1_141 Depth=2
	s_mov_b32 s53, 0
	s_mov_b32 s52, exec_lo
                                        ; implicit-def: $vgpr5
                                        ; implicit-def: $vgpr6_vgpr7
	v_cmpx_eq_u32_e64 v8, v34
	s_cbranch_execz .LBB1_446
; %bb.429:                              ;   in Loop: Header=BB1_141 Depth=2
	s_mov_b32 s54, exec_lo
	s_mov_b32 s53, exec_lo
	s_waitcnt vmcnt(0)
	v_mbcnt_lo_u32_b32 v5, s54, 0
                                        ; implicit-def: $vgpr6
	s_delay_alu instid0(VALU_DEP_1)
	v_cmpx_eq_u32_e32 0, v5
	s_cbranch_execz .LBB1_431
; %bb.430:                              ;   in Loop: Header=BB1_141 Depth=2
	s_bcnt1_i32_b32 s54, s54
	s_delay_alu instid0(SALU_CYCLE_1)
	v_mov_b32_e32 v6, s54
	global_atomic_add_u32 v6, v27, v6, s[8:9] offset:512 glc
.LBB1_431:                              ;   in Loop: Header=BB1_141 Depth=2
	s_or_b32 exec_lo, exec_lo, s53
	s_waitcnt vmcnt(0)
	v_readfirstlane_b32 s53, v6
	s_mov_b32 s54, 0
                                        ; implicit-def: $vgpr6_vgpr7
	s_delay_alu instid0(VALU_DEP_1) | instskip(SKIP_1) | instid1(VALU_DEP_1)
	v_add_nc_u32_e32 v8, s53, v5
	s_mov_b32 s53, exec_lo
                                        ; implicit-def: $vgpr5
	v_cmpx_lt_i32_e64 v8, v35
	s_cbranch_execz .LBB1_445
; %bb.432:                              ;   in Loop: Header=BB1_141 Depth=2
	v_xad_u32 v6, v8, -1, s41
	s_delay_alu instid0(VALU_DEP_1) | instskip(NEXT) | instid1(VALU_DEP_1)
	v_ashrrev_i32_e32 v7, 31, v6
	v_lshlrev_b64 v[8:9], 2, v[6:7]
	s_delay_alu instid0(VALU_DEP_1) | instskip(NEXT) | instid1(VALU_DEP_2)
	v_add_co_u32 v8, vcc_lo, s31, v8
	v_add_co_ci_u32_e32 v9, vcc_lo, s33, v9, vcc_lo
	s_and_not1_b32 vcc_lo, exec_lo, s12
	global_store_b32 v[8:9], v1, off
	s_cbranch_vccnz .LBB1_442
; %bb.433:                              ;   in Loop: Header=BB1_141 Depth=2
	v_ashrrev_i32_e32 v5, 31, v4
	s_delay_alu instid0(VALU_DEP_1) | instskip(NEXT) | instid1(VALU_DEP_1)
	v_lshlrev_b64 v[8:9], 2, v[4:5]
	v_add_co_u32 v8, vcc_lo, s14, v8
	s_delay_alu instid0(VALU_DEP_2)
	v_add_co_ci_u32_e32 v9, vcc_lo, s19, v9, vcc_lo
	global_load_b32 v5, v[8:9], off
	s_and_not1_b32 vcc_lo, exec_lo, s54
	s_cbranch_vccz .LBB1_443
	s_branch .LBB1_444
.LBB1_434:                              ;   in Loop: Header=BB1_141 Depth=2
	s_and_not1_saveexec_b32 s51, s51
	s_cbranch_execz .LBB1_447
.LBB1_435:                              ;   in Loop: Header=BB1_141 Depth=2
	s_mov_b32 s54, exec_lo
	s_mov_b32 s53, exec_lo
	s_waitcnt vmcnt(0)
	v_mbcnt_lo_u32_b32 v5, s54, 0
                                        ; implicit-def: $vgpr6
	s_delay_alu instid0(VALU_DEP_1)
	v_cmpx_eq_u32_e32 0, v5
	s_cbranch_execz .LBB1_437
; %bb.436:                              ;   in Loop: Header=BB1_141 Depth=2
	s_bcnt1_i32_b32 s54, s54
	s_delay_alu instid0(SALU_CYCLE_1)
	v_mov_b32_e32 v6, s54
	global_atomic_add_u32 v6, v27, v6, s[8:9] offset:384 glc
.LBB1_437:                              ;   in Loop: Header=BB1_141 Depth=2
	s_or_b32 exec_lo, exec_lo, s53
	s_waitcnt vmcnt(0)
	v_readfirstlane_b32 s53, v6
	s_delay_alu instid0(VALU_DEP_1) | instskip(NEXT) | instid1(VALU_DEP_1)
	v_add_nc_u32_e32 v6, s53, v5
	v_ashrrev_i32_e32 v7, 31, v6
	s_delay_alu instid0(VALU_DEP_1) | instskip(NEXT) | instid1(VALU_DEP_1)
	v_lshlrev_b64 v[8:9], 2, v[6:7]
	v_add_co_u32 v8, vcc_lo, s31, v8
	s_delay_alu instid0(VALU_DEP_2)
	v_add_co_ci_u32_e32 v9, vcc_lo, s33, v9, vcc_lo
	s_and_not1_b32 vcc_lo, exec_lo, s12
	global_store_b32 v[8:9], v1, off
	s_cbranch_vccnz .LBB1_439
; %bb.438:                              ;   in Loop: Header=BB1_141 Depth=2
	v_ashrrev_i32_e32 v5, 31, v4
	s_delay_alu instid0(VALU_DEP_1) | instskip(NEXT) | instid1(VALU_DEP_1)
	v_lshlrev_b64 v[8:9], 2, v[4:5]
	v_add_co_u32 v8, vcc_lo, s14, v8
	s_delay_alu instid0(VALU_DEP_2)
	v_add_co_ci_u32_e32 v9, vcc_lo, s19, v9, vcc_lo
	global_load_b32 v5, v[8:9], off
	s_cbranch_execz .LBB1_440
	s_branch .LBB1_441
.LBB1_439:                              ;   in Loop: Header=BB1_141 Depth=2
                                        ; implicit-def: $vgpr5
.LBB1_440:                              ;   in Loop: Header=BB1_141 Depth=2
	s_waitcnt vmcnt(0)
	v_add_nc_u32_e32 v5, s13, v0
.LBB1_441:                              ;   in Loop: Header=BB1_141 Depth=2
	s_or_b32 s52, s52, exec_lo
	s_or_b32 exec_lo, exec_lo, s51
	s_and_saveexec_b32 s51, s52
	s_cbranch_execnz .LBB1_448
	s_branch .LBB1_449
.LBB1_442:                              ;   in Loop: Header=BB1_141 Depth=2
                                        ; implicit-def: $vgpr5
.LBB1_443:                              ;   in Loop: Header=BB1_141 Depth=2
	s_waitcnt vmcnt(0)
	v_add_nc_u32_e32 v5, s13, v0
.LBB1_444:                              ;   in Loop: Header=BB1_141 Depth=2
	s_mov_b32 s54, exec_lo
.LBB1_445:                              ;   in Loop: Header=BB1_141 Depth=2
	s_or_b32 exec_lo, exec_lo, s53
	s_delay_alu instid0(SALU_CYCLE_1)
	s_and_b32 s53, s54, exec_lo
.LBB1_446:                              ;   in Loop: Header=BB1_141 Depth=2
	s_or_b32 exec_lo, exec_lo, s52
	s_delay_alu instid0(SALU_CYCLE_1)
	s_and_b32 s52, s53, exec_lo
                                        ; implicit-def: $vgpr0
	s_and_not1_saveexec_b32 s51, s51
	s_cbranch_execnz .LBB1_435
.LBB1_447:                              ;   in Loop: Header=BB1_141 Depth=2
	s_or_b32 exec_lo, exec_lo, s51
	s_and_saveexec_b32 s51, s52
	s_cbranch_execz .LBB1_449
.LBB1_448:                              ;   in Loop: Header=BB1_141 Depth=2
	v_lshlrev_b64 v[0:1], 2, v[6:7]
	s_delay_alu instid0(VALU_DEP_1) | instskip(NEXT) | instid1(VALU_DEP_2)
	v_add_co_u32 v0, vcc_lo, s15, v0
	v_add_co_ci_u32_e32 v1, vcc_lo, s30, v1, vcc_lo
	s_waitcnt vmcnt(0)
	global_store_b32 v[0:1], v5, off
.LBB1_449:                              ;   in Loop: Header=BB1_141 Depth=2
	s_or_b32 exec_lo, exec_lo, s51
	v_cmp_gt_i32_e32 vcc_lo, 0, v2
	v_add_nc_u32_e32 v6, 2, v4
	s_mov_b32 s52, 0
	s_mov_b32 s51, exec_lo
                                        ; implicit-def: $vgpr5
	v_cndmask_b32_e64 v0, 0x7fffffff, 0, vcc_lo
	s_delay_alu instid0(VALU_DEP_1) | instskip(NEXT) | instid1(VALU_DEP_1)
	v_xor_b32_e32 v7, v0, v2
                                        ; implicit-def: $vgpr0_vgpr1
	v_cmpx_ge_u32_e64 v7, v34
	s_xor_b32 s51, exec_lo, s51
	s_cbranch_execz .LBB1_456
; %bb.450:                              ;   in Loop: Header=BB1_141 Depth=2
	s_mov_b32 s53, 0
	s_mov_b32 s52, exec_lo
                                        ; implicit-def: $vgpr5
                                        ; implicit-def: $vgpr0_vgpr1
	v_cmpx_eq_u32_e64 v7, v34
	s_cbranch_execz .LBB1_468
; %bb.451:                              ;   in Loop: Header=BB1_141 Depth=2
	s_mov_b32 s54, exec_lo
	s_mov_b32 s53, exec_lo
	v_mbcnt_lo_u32_b32 v0, s54, 0
                                        ; implicit-def: $vgpr1
	s_delay_alu instid0(VALU_DEP_1)
	v_cmpx_eq_u32_e32 0, v0
	s_cbranch_execz .LBB1_453
; %bb.452:                              ;   in Loop: Header=BB1_141 Depth=2
	s_bcnt1_i32_b32 s54, s54
	s_delay_alu instid0(SALU_CYCLE_1)
	v_mov_b32_e32 v1, s54
	global_atomic_add_u32 v1, v27, v1, s[8:9] offset:512 glc
.LBB1_453:                              ;   in Loop: Header=BB1_141 Depth=2
	s_or_b32 exec_lo, exec_lo, s53
	s_waitcnt vmcnt(0)
	v_readfirstlane_b32 s53, v1
	s_mov_b32 s54, 0
                                        ; implicit-def: $vgpr5
	s_delay_alu instid0(VALU_DEP_1) | instskip(SKIP_1) | instid1(VALU_DEP_1)
	v_add_nc_u32_e32 v7, s53, v0
	s_mov_b32 s53, exec_lo
                                        ; implicit-def: $vgpr0_vgpr1
	v_cmpx_lt_i32_e64 v7, v35
	s_cbranch_execz .LBB1_467
; %bb.454:                              ;   in Loop: Header=BB1_141 Depth=2
	v_xad_u32 v0, v7, -1, s41
	s_delay_alu instid0(VALU_DEP_1) | instskip(NEXT) | instid1(VALU_DEP_1)
	v_ashrrev_i32_e32 v1, 31, v0
	v_lshlrev_b64 v[7:8], 2, v[0:1]
	s_delay_alu instid0(VALU_DEP_1) | instskip(NEXT) | instid1(VALU_DEP_2)
	v_add_co_u32 v7, vcc_lo, s31, v7
	v_add_co_ci_u32_e32 v8, vcc_lo, s33, v8, vcc_lo
	s_and_not1_b32 vcc_lo, exec_lo, s12
	global_store_b32 v[7:8], v2, off
	s_cbranch_vccnz .LBB1_464
; %bb.455:                              ;   in Loop: Header=BB1_141 Depth=2
	v_ashrrev_i32_e32 v5, 31, v4
	s_delay_alu instid0(VALU_DEP_1) | instskip(NEXT) | instid1(VALU_DEP_1)
	v_lshlrev_b64 v[7:8], 2, v[4:5]
	v_add_co_u32 v7, vcc_lo, s23, v7
	s_delay_alu instid0(VALU_DEP_2)
	v_add_co_ci_u32_e32 v8, vcc_lo, s36, v8, vcc_lo
	global_load_b32 v5, v[7:8], off
	s_and_not1_b32 vcc_lo, exec_lo, s54
	s_cbranch_vccz .LBB1_465
	s_branch .LBB1_466
.LBB1_456:                              ;   in Loop: Header=BB1_141 Depth=2
	s_and_not1_saveexec_b32 s51, s51
	s_cbranch_execz .LBB1_469
.LBB1_457:                              ;   in Loop: Header=BB1_141 Depth=2
	s_mov_b32 s54, exec_lo
	s_mov_b32 s53, exec_lo
	v_mbcnt_lo_u32_b32 v0, s54, 0
                                        ; implicit-def: $vgpr1
	s_delay_alu instid0(VALU_DEP_1)
	v_cmpx_eq_u32_e32 0, v0
	s_cbranch_execz .LBB1_459
; %bb.458:                              ;   in Loop: Header=BB1_141 Depth=2
	s_bcnt1_i32_b32 s54, s54
	s_delay_alu instid0(SALU_CYCLE_1)
	v_mov_b32_e32 v1, s54
	global_atomic_add_u32 v1, v27, v1, s[8:9] offset:384 glc
.LBB1_459:                              ;   in Loop: Header=BB1_141 Depth=2
	s_or_b32 exec_lo, exec_lo, s53
	s_waitcnt vmcnt(0)
	v_readfirstlane_b32 s53, v1
	s_delay_alu instid0(VALU_DEP_1) | instskip(NEXT) | instid1(VALU_DEP_1)
	v_add_nc_u32_e32 v0, s53, v0
	v_ashrrev_i32_e32 v1, 31, v0
	s_delay_alu instid0(VALU_DEP_1) | instskip(NEXT) | instid1(VALU_DEP_1)
	v_lshlrev_b64 v[7:8], 2, v[0:1]
	v_add_co_u32 v7, vcc_lo, s31, v7
	s_delay_alu instid0(VALU_DEP_2)
	v_add_co_ci_u32_e32 v8, vcc_lo, s33, v8, vcc_lo
	s_and_not1_b32 vcc_lo, exec_lo, s12
	global_store_b32 v[7:8], v2, off
	s_cbranch_vccnz .LBB1_461
; %bb.460:                              ;   in Loop: Header=BB1_141 Depth=2
	v_ashrrev_i32_e32 v5, 31, v4
	s_delay_alu instid0(VALU_DEP_1) | instskip(NEXT) | instid1(VALU_DEP_1)
	v_lshlrev_b64 v[7:8], 2, v[4:5]
	v_add_co_u32 v7, vcc_lo, s23, v7
	s_delay_alu instid0(VALU_DEP_2)
	v_add_co_ci_u32_e32 v8, vcc_lo, s36, v8, vcc_lo
	global_load_b32 v5, v[7:8], off
	s_cbranch_execz .LBB1_462
	s_branch .LBB1_463
.LBB1_461:                              ;   in Loop: Header=BB1_141 Depth=2
                                        ; implicit-def: $vgpr5
.LBB1_462:                              ;   in Loop: Header=BB1_141 Depth=2
	s_waitcnt vmcnt(0)
	v_add_nc_u32_e32 v5, s13, v6
.LBB1_463:                              ;   in Loop: Header=BB1_141 Depth=2
	s_or_b32 s52, s52, exec_lo
	s_or_b32 exec_lo, exec_lo, s51
	s_and_saveexec_b32 s51, s52
	s_cbranch_execnz .LBB1_470
	s_branch .LBB1_471
.LBB1_464:                              ;   in Loop: Header=BB1_141 Depth=2
                                        ; implicit-def: $vgpr5
.LBB1_465:                              ;   in Loop: Header=BB1_141 Depth=2
	s_waitcnt vmcnt(0)
	v_add_nc_u32_e32 v5, s13, v6
.LBB1_466:                              ;   in Loop: Header=BB1_141 Depth=2
	s_mov_b32 s54, exec_lo
.LBB1_467:                              ;   in Loop: Header=BB1_141 Depth=2
	s_or_b32 exec_lo, exec_lo, s53
	s_delay_alu instid0(SALU_CYCLE_1)
	s_and_b32 s53, s54, exec_lo
.LBB1_468:                              ;   in Loop: Header=BB1_141 Depth=2
	s_or_b32 exec_lo, exec_lo, s52
	s_delay_alu instid0(SALU_CYCLE_1)
	s_and_b32 s52, s53, exec_lo
                                        ; implicit-def: $vgpr6
	s_and_not1_saveexec_b32 s51, s51
	s_cbranch_execnz .LBB1_457
.LBB1_469:                              ;   in Loop: Header=BB1_141 Depth=2
	s_or_b32 exec_lo, exec_lo, s51
	s_and_saveexec_b32 s51, s52
	s_cbranch_execz .LBB1_471
.LBB1_470:                              ;   in Loop: Header=BB1_141 Depth=2
	v_lshlrev_b64 v[0:1], 2, v[0:1]
	s_delay_alu instid0(VALU_DEP_1) | instskip(NEXT) | instid1(VALU_DEP_2)
	v_add_co_u32 v0, vcc_lo, s15, v0
	v_add_co_ci_u32_e32 v1, vcc_lo, s30, v1, vcc_lo
	s_waitcnt vmcnt(0)
	global_store_b32 v[0:1], v5, off
.LBB1_471:                              ;   in Loop: Header=BB1_141 Depth=2
	s_or_b32 exec_lo, exec_lo, s51
	v_cmp_gt_i32_e32 vcc_lo, 0, v3
	v_add_nc_u32_e32 v8, 3, v4
	s_mov_b32 s52, 0
	s_mov_b32 s51, exec_lo
                                        ; implicit-def: $vgpr5
                                        ; implicit-def: $vgpr6_vgpr7
	v_cndmask_b32_e64 v0, 0x7fffffff, 0, vcc_lo
	s_delay_alu instid0(VALU_DEP_1) | instskip(NEXT) | instid1(VALU_DEP_1)
	v_xor_b32_e32 v0, v0, v3
	v_cmpx_ge_u32_e64 v0, v34
	s_xor_b32 s51, exec_lo, s51
	s_cbranch_execz .LBB1_478
; %bb.472:                              ;   in Loop: Header=BB1_141 Depth=2
	s_mov_b32 s53, 0
	s_mov_b32 s52, exec_lo
                                        ; implicit-def: $vgpr5
                                        ; implicit-def: $vgpr6_vgpr7
	v_cmpx_eq_u32_e64 v0, v34
	s_cbranch_execz .LBB1_490
; %bb.473:                              ;   in Loop: Header=BB1_141 Depth=2
	s_mov_b32 s54, exec_lo
	s_mov_b32 s53, exec_lo
	v_mbcnt_lo_u32_b32 v0, s54, 0
                                        ; implicit-def: $vgpr1
	s_delay_alu instid0(VALU_DEP_1)
	v_cmpx_eq_u32_e32 0, v0
	s_cbranch_execz .LBB1_475
; %bb.474:                              ;   in Loop: Header=BB1_141 Depth=2
	s_bcnt1_i32_b32 s54, s54
	s_delay_alu instid0(SALU_CYCLE_1)
	v_mov_b32_e32 v1, s54
	global_atomic_add_u32 v1, v27, v1, s[8:9] offset:512 glc
.LBB1_475:                              ;   in Loop: Header=BB1_141 Depth=2
	s_or_b32 exec_lo, exec_lo, s53
	s_waitcnt vmcnt(0)
	v_readfirstlane_b32 s53, v1
	s_mov_b32 s54, 0
                                        ; implicit-def: $vgpr5
                                        ; implicit-def: $vgpr6_vgpr7
	s_delay_alu instid0(VALU_DEP_1) | instskip(SKIP_1) | instid1(VALU_DEP_1)
	v_add_nc_u32_e32 v0, s53, v0
	s_mov_b32 s53, exec_lo
	v_cmpx_lt_i32_e64 v0, v35
	s_cbranch_execz .LBB1_489
; %bb.476:                              ;   in Loop: Header=BB1_141 Depth=2
	v_xad_u32 v6, v0, -1, s41
	s_delay_alu instid0(VALU_DEP_1) | instskip(NEXT) | instid1(VALU_DEP_1)
	v_ashrrev_i32_e32 v7, 31, v6
	v_lshlrev_b64 v[0:1], 2, v[6:7]
	s_delay_alu instid0(VALU_DEP_1) | instskip(NEXT) | instid1(VALU_DEP_2)
	v_add_co_u32 v0, vcc_lo, s31, v0
	v_add_co_ci_u32_e32 v1, vcc_lo, s33, v1, vcc_lo
	s_and_not1_b32 vcc_lo, exec_lo, s12
	global_store_b32 v[0:1], v3, off
	s_cbranch_vccnz .LBB1_486
; %bb.477:                              ;   in Loop: Header=BB1_141 Depth=2
	v_ashrrev_i32_e32 v5, 31, v4
	s_delay_alu instid0(VALU_DEP_1) | instskip(NEXT) | instid1(VALU_DEP_1)
	v_lshlrev_b64 v[0:1], 2, v[4:5]
	v_add_co_u32 v0, vcc_lo, s37, v0
	s_delay_alu instid0(VALU_DEP_2)
	v_add_co_ci_u32_e32 v1, vcc_lo, s38, v1, vcc_lo
	global_load_b32 v5, v[0:1], off
	s_and_not1_b32 vcc_lo, exec_lo, s54
	s_cbranch_vccz .LBB1_487
	s_branch .LBB1_488
.LBB1_478:                              ;   in Loop: Header=BB1_141 Depth=2
	s_and_not1_saveexec_b32 s51, s51
	s_cbranch_execz .LBB1_491
.LBB1_479:                              ;   in Loop: Header=BB1_141 Depth=2
	s_mov_b32 s54, exec_lo
	s_mov_b32 s53, exec_lo
	v_mbcnt_lo_u32_b32 v0, s54, 0
                                        ; implicit-def: $vgpr1
	s_delay_alu instid0(VALU_DEP_1)
	v_cmpx_eq_u32_e32 0, v0
	s_cbranch_execz .LBB1_481
; %bb.480:                              ;   in Loop: Header=BB1_141 Depth=2
	s_bcnt1_i32_b32 s54, s54
	s_delay_alu instid0(SALU_CYCLE_1)
	v_mov_b32_e32 v1, s54
	global_atomic_add_u32 v1, v27, v1, s[8:9] offset:384 glc
.LBB1_481:                              ;   in Loop: Header=BB1_141 Depth=2
	s_or_b32 exec_lo, exec_lo, s53
	s_waitcnt vmcnt(0)
	v_readfirstlane_b32 s53, v1
	s_delay_alu instid0(VALU_DEP_1) | instskip(NEXT) | instid1(VALU_DEP_1)
	v_add_nc_u32_e32 v6, s53, v0
	v_ashrrev_i32_e32 v7, 31, v6
	s_delay_alu instid0(VALU_DEP_1) | instskip(NEXT) | instid1(VALU_DEP_1)
	v_lshlrev_b64 v[0:1], 2, v[6:7]
	v_add_co_u32 v0, vcc_lo, s31, v0
	s_delay_alu instid0(VALU_DEP_2)
	v_add_co_ci_u32_e32 v1, vcc_lo, s33, v1, vcc_lo
	s_and_not1_b32 vcc_lo, exec_lo, s12
	global_store_b32 v[0:1], v3, off
	s_cbranch_vccnz .LBB1_483
; %bb.482:                              ;   in Loop: Header=BB1_141 Depth=2
	v_ashrrev_i32_e32 v5, 31, v4
	s_delay_alu instid0(VALU_DEP_1) | instskip(NEXT) | instid1(VALU_DEP_1)
	v_lshlrev_b64 v[0:1], 2, v[4:5]
	v_add_co_u32 v0, vcc_lo, s37, v0
	s_delay_alu instid0(VALU_DEP_2)
	v_add_co_ci_u32_e32 v1, vcc_lo, s38, v1, vcc_lo
	global_load_b32 v5, v[0:1], off
	s_cbranch_execz .LBB1_484
	s_branch .LBB1_485
.LBB1_483:                              ;   in Loop: Header=BB1_141 Depth=2
                                        ; implicit-def: $vgpr5
.LBB1_484:                              ;   in Loop: Header=BB1_141 Depth=2
	s_waitcnt vmcnt(0)
	v_add_nc_u32_e32 v5, s13, v8
.LBB1_485:                              ;   in Loop: Header=BB1_141 Depth=2
	s_or_b32 s52, s52, exec_lo
	s_or_b32 exec_lo, exec_lo, s51
	s_and_saveexec_b32 s51, s52
	s_cbranch_execz .LBB1_140
	s_branch .LBB1_492
.LBB1_486:                              ;   in Loop: Header=BB1_141 Depth=2
                                        ; implicit-def: $vgpr5
.LBB1_487:                              ;   in Loop: Header=BB1_141 Depth=2
	s_waitcnt vmcnt(0)
	v_add_nc_u32_e32 v5, s13, v8
.LBB1_488:                              ;   in Loop: Header=BB1_141 Depth=2
	s_mov_b32 s54, exec_lo
.LBB1_489:                              ;   in Loop: Header=BB1_141 Depth=2
	s_or_b32 exec_lo, exec_lo, s53
	s_delay_alu instid0(SALU_CYCLE_1)
	s_and_b32 s53, s54, exec_lo
.LBB1_490:                              ;   in Loop: Header=BB1_141 Depth=2
	s_or_b32 exec_lo, exec_lo, s52
	s_delay_alu instid0(SALU_CYCLE_1)
	s_and_b32 s52, s53, exec_lo
                                        ; implicit-def: $vgpr8
                                        ; implicit-def: $vgpr4
                                        ; implicit-def: $vgpr0_vgpr1_vgpr2_vgpr3
	s_and_not1_saveexec_b32 s51, s51
	s_cbranch_execnz .LBB1_479
.LBB1_491:                              ;   in Loop: Header=BB1_141 Depth=2
	s_or_b32 exec_lo, exec_lo, s51
	s_and_saveexec_b32 s51, s52
	s_cbranch_execz .LBB1_140
.LBB1_492:                              ;   in Loop: Header=BB1_141 Depth=2
	v_lshlrev_b64 v[0:1], 2, v[6:7]
	s_delay_alu instid0(VALU_DEP_1) | instskip(NEXT) | instid1(VALU_DEP_2)
	v_add_co_u32 v0, vcc_lo, s15, v0
	v_add_co_ci_u32_e32 v1, vcc_lo, s30, v1, vcc_lo
	s_waitcnt vmcnt(0)
	global_store_b32 v[0:1], v5, off
	s_branch .LBB1_140
.LBB1_493:                              ;   in Loop: Header=BB1_22 Depth=1
	s_or_b32 exec_lo, exec_lo, s11
.LBB1_494:                              ;   in Loop: Header=BB1_22 Depth=1
	s_delay_alu instid0(SALU_CYCLE_1) | instskip(NEXT) | instid1(SALU_CYCLE_1)
	s_or_b32 exec_lo, exec_lo, s7
	s_mov_b32 s7, exec_lo
	v_cmpx_gt_i32_e64 s20, v36
	s_cbranch_execz .LBB1_585
; %bb.495:                              ;   in Loop: Header=BB1_22 Depth=1
	v_lshl_add_u32 v4, v36, 2, s22
	s_mov_b32 s11, 0
	s_branch .LBB1_497
.LBB1_496:                              ;   in Loop: Header=BB1_497 Depth=2
	s_or_b32 exec_lo, exec_lo, s51
	v_add_nc_u32_e32 v36, s18, v36
	v_add_nc_u32_e32 v4, s35, v4
	s_delay_alu instid0(VALU_DEP_2) | instskip(SKIP_1) | instid1(SALU_CYCLE_1)
	v_cmp_le_i32_e32 vcc_lo, s20, v36
	s_or_b32 s11, vcc_lo, s11
	s_and_not1_b32 exec_lo, exec_lo, s11
	s_cbranch_execz .LBB1_585
.LBB1_497:                              ;   Parent Loop BB1_22 Depth=1
                                        ; =>  This Inner Loop Header: Depth=2
	v_ashrrev_i32_e32 v37, 31, v36
	v_lshl_add_u32 v8, v36, 2, s22
	s_mov_b32 s52, 0
	s_mov_b32 s51, exec_lo
                                        ; implicit-def: $vgpr6_vgpr7
	s_delay_alu instid0(VALU_DEP_2) | instskip(NEXT) | instid1(VALU_DEP_1)
	v_lshlrev_b64 v[0:1], 4, v[36:37]
	v_add_co_u32 v0, vcc_lo, s28, v0
	s_delay_alu instid0(VALU_DEP_2) | instskip(SKIP_4) | instid1(VALU_DEP_1)
	v_add_co_ci_u32_e32 v1, vcc_lo, s34, v1, vcc_lo
	global_load_b128 v[0:3], v[0:1], off
	s_waitcnt vmcnt(0)
	v_cmp_gt_i32_e32 vcc_lo, 0, v0
	v_cndmask_b32_e64 v5, 0x7fffffff, 0, vcc_lo
	v_xor_b32_e32 v9, v5, v0
                                        ; implicit-def: $vgpr5
	s_waitcnt lgkmcnt(0)
	s_delay_alu instid0(VALU_DEP_1)
	v_cmpx_ge_u32_e64 v9, v34
	s_xor_b32 s51, exec_lo, s51
	s_cbranch_execz .LBB1_504
; %bb.498:                              ;   in Loop: Header=BB1_497 Depth=2
	s_mov_b32 s53, 0
	s_mov_b32 s52, exec_lo
                                        ; implicit-def: $vgpr5
                                        ; implicit-def: $vgpr6_vgpr7
	v_cmpx_eq_u32_e64 v9, v34
	s_cbranch_execz .LBB1_516
; %bb.499:                              ;   in Loop: Header=BB1_497 Depth=2
	s_mov_b32 s54, exec_lo
	s_mov_b32 s53, exec_lo
	v_mbcnt_lo_u32_b32 v5, s54, 0
                                        ; implicit-def: $vgpr6
	s_delay_alu instid0(VALU_DEP_1)
	v_cmpx_eq_u32_e32 0, v5
	s_cbranch_execz .LBB1_501
; %bb.500:                              ;   in Loop: Header=BB1_497 Depth=2
	s_bcnt1_i32_b32 s54, s54
	s_delay_alu instid0(SALU_CYCLE_1)
	v_mov_b32_e32 v6, s54
	global_atomic_add_u32 v6, v27, v6, s[8:9] offset:512 glc
.LBB1_501:                              ;   in Loop: Header=BB1_497 Depth=2
	s_or_b32 exec_lo, exec_lo, s53
	s_waitcnt vmcnt(0)
	v_readfirstlane_b32 s53, v6
	s_mov_b32 s54, 0
                                        ; implicit-def: $vgpr6_vgpr7
	s_delay_alu instid0(VALU_DEP_1) | instskip(SKIP_1) | instid1(VALU_DEP_1)
	v_add_nc_u32_e32 v9, s53, v5
	s_mov_b32 s53, exec_lo
                                        ; implicit-def: $vgpr5
	v_cmpx_lt_i32_e64 v9, v35
	s_xor_b32 s53, exec_lo, s53
	s_cbranch_execz .LBB1_515
; %bb.502:                              ;   in Loop: Header=BB1_497 Depth=2
	v_xad_u32 v6, v9, -1, s41
	s_delay_alu instid0(VALU_DEP_1) | instskip(NEXT) | instid1(VALU_DEP_1)
	v_ashrrev_i32_e32 v7, 31, v6
	v_lshlrev_b64 v[9:10], 2, v[6:7]
	s_delay_alu instid0(VALU_DEP_1) | instskip(NEXT) | instid1(VALU_DEP_2)
	v_add_co_u32 v9, vcc_lo, s31, v9
	v_add_co_ci_u32_e32 v10, vcc_lo, s33, v10, vcc_lo
	s_and_not1_b32 vcc_lo, exec_lo, s12
	global_store_b32 v[9:10], v0, off
	s_cbranch_vccnz .LBB1_512
; %bb.503:                              ;   in Loop: Header=BB1_497 Depth=2
	v_ashrrev_i32_e32 v5, 31, v4
	s_delay_alu instid0(VALU_DEP_1) | instskip(NEXT) | instid1(VALU_DEP_1)
	v_lshlrev_b64 v[9:10], 2, v[4:5]
	v_add_co_u32 v9, vcc_lo, s16, v9
	s_delay_alu instid0(VALU_DEP_2)
	v_add_co_ci_u32_e32 v10, vcc_lo, s17, v10, vcc_lo
	global_load_b32 v5, v[9:10], off
	s_and_not1_b32 vcc_lo, exec_lo, s54
	s_cbranch_vccz .LBB1_513
	s_branch .LBB1_514
.LBB1_504:                              ;   in Loop: Header=BB1_497 Depth=2
	s_and_not1_saveexec_b32 s51, s51
	s_cbranch_execz .LBB1_517
.LBB1_505:                              ;   in Loop: Header=BB1_497 Depth=2
	s_mov_b32 s54, exec_lo
	s_mov_b32 s53, exec_lo
	s_waitcnt vmcnt(0)
	v_mbcnt_lo_u32_b32 v5, s54, 0
                                        ; implicit-def: $vgpr6
	s_delay_alu instid0(VALU_DEP_1)
	v_cmpx_eq_u32_e32 0, v5
	s_cbranch_execz .LBB1_507
; %bb.506:                              ;   in Loop: Header=BB1_497 Depth=2
	s_bcnt1_i32_b32 s54, s54
	s_delay_alu instid0(SALU_CYCLE_1)
	v_mov_b32_e32 v6, s54
	global_atomic_add_u32 v6, v27, v6, s[8:9] offset:384 glc
.LBB1_507:                              ;   in Loop: Header=BB1_497 Depth=2
	s_or_b32 exec_lo, exec_lo, s53
	s_waitcnt vmcnt(0)
	v_readfirstlane_b32 s53, v6
	s_delay_alu instid0(VALU_DEP_1) | instskip(NEXT) | instid1(VALU_DEP_1)
	v_add_nc_u32_e32 v6, s53, v5
	v_ashrrev_i32_e32 v7, 31, v6
	s_delay_alu instid0(VALU_DEP_1) | instskip(NEXT) | instid1(VALU_DEP_1)
	v_lshlrev_b64 v[9:10], 2, v[6:7]
	v_add_co_u32 v9, vcc_lo, s31, v9
	s_delay_alu instid0(VALU_DEP_2)
	v_add_co_ci_u32_e32 v10, vcc_lo, s33, v10, vcc_lo
	s_and_not1_b32 vcc_lo, exec_lo, s12
	global_store_b32 v[9:10], v0, off
	s_cbranch_vccnz .LBB1_509
; %bb.508:                              ;   in Loop: Header=BB1_497 Depth=2
	v_ashrrev_i32_e32 v5, 31, v4
	s_delay_alu instid0(VALU_DEP_1) | instskip(NEXT) | instid1(VALU_DEP_1)
	v_lshlrev_b64 v[9:10], 2, v[4:5]
	v_add_co_u32 v9, vcc_lo, s16, v9
	s_delay_alu instid0(VALU_DEP_2)
	v_add_co_ci_u32_e32 v10, vcc_lo, s17, v10, vcc_lo
	global_load_b32 v5, v[9:10], off
	s_cbranch_execz .LBB1_510
	s_branch .LBB1_511
.LBB1_509:                              ;   in Loop: Header=BB1_497 Depth=2
                                        ; implicit-def: $vgpr5
.LBB1_510:                              ;   in Loop: Header=BB1_497 Depth=2
	s_waitcnt vmcnt(0)
	v_add_nc_u32_e32 v5, s13, v4
.LBB1_511:                              ;   in Loop: Header=BB1_497 Depth=2
	s_or_b32 s52, s52, exec_lo
	s_or_b32 exec_lo, exec_lo, s51
	s_and_saveexec_b32 s51, s52
	s_cbranch_execnz .LBB1_518
	s_branch .LBB1_519
.LBB1_512:                              ;   in Loop: Header=BB1_497 Depth=2
                                        ; implicit-def: $vgpr5
.LBB1_513:                              ;   in Loop: Header=BB1_497 Depth=2
	s_waitcnt vmcnt(0)
	v_add_nc_u32_e32 v5, s13, v8
.LBB1_514:                              ;   in Loop: Header=BB1_497 Depth=2
	s_mov_b32 s54, exec_lo
.LBB1_515:                              ;   in Loop: Header=BB1_497 Depth=2
	s_or_b32 exec_lo, exec_lo, s53
	s_delay_alu instid0(SALU_CYCLE_1)
	s_and_b32 s53, s54, exec_lo
.LBB1_516:                              ;   in Loop: Header=BB1_497 Depth=2
	s_or_b32 exec_lo, exec_lo, s52
	s_delay_alu instid0(SALU_CYCLE_1)
	s_and_b32 s52, s53, exec_lo
	s_and_not1_saveexec_b32 s51, s51
	s_cbranch_execnz .LBB1_505
.LBB1_517:                              ;   in Loop: Header=BB1_497 Depth=2
	s_or_b32 exec_lo, exec_lo, s51
	s_and_saveexec_b32 s51, s52
	s_cbranch_execz .LBB1_519
.LBB1_518:                              ;   in Loop: Header=BB1_497 Depth=2
	v_lshlrev_b64 v[6:7], 2, v[6:7]
	s_delay_alu instid0(VALU_DEP_1) | instskip(NEXT) | instid1(VALU_DEP_2)
	v_add_co_u32 v6, vcc_lo, s15, v6
	v_add_co_ci_u32_e32 v7, vcc_lo, s30, v7, vcc_lo
	s_waitcnt vmcnt(0)
	global_store_b32 v[6:7], v5, off
.LBB1_519:                              ;   in Loop: Header=BB1_497 Depth=2
	s_or_b32 exec_lo, exec_lo, s51
	v_cmp_gt_i32_e32 vcc_lo, 0, v1
	s_mov_b32 s52, 0
	s_mov_b32 s51, exec_lo
                                        ; implicit-def: $vgpr6_vgpr7
	v_cndmask_b32_e64 v0, 0x7fffffff, 0, vcc_lo
	s_waitcnt vmcnt(0)
	s_delay_alu instid0(VALU_DEP_1) | instskip(NEXT) | instid1(VALU_DEP_1)
	v_xor_b32_e32 v5, v0, v1
                                        ; implicit-def: $vgpr0
	v_cmpx_ge_u32_e64 v5, v34
	s_xor_b32 s51, exec_lo, s51
	s_cbranch_execz .LBB1_526
; %bb.520:                              ;   in Loop: Header=BB1_497 Depth=2
	s_mov_b32 s53, 0
	s_mov_b32 s52, exec_lo
                                        ; implicit-def: $vgpr0
                                        ; implicit-def: $vgpr6_vgpr7
	v_cmpx_eq_u32_e64 v5, v34
	s_cbranch_execz .LBB1_538
; %bb.521:                              ;   in Loop: Header=BB1_497 Depth=2
	s_mov_b32 s54, exec_lo
	s_mov_b32 s53, exec_lo
	v_mbcnt_lo_u32_b32 v0, s54, 0
                                        ; implicit-def: $vgpr5
	s_delay_alu instid0(VALU_DEP_1)
	v_cmpx_eq_u32_e32 0, v0
	s_cbranch_execz .LBB1_523
; %bb.522:                              ;   in Loop: Header=BB1_497 Depth=2
	s_bcnt1_i32_b32 s54, s54
	s_delay_alu instid0(SALU_CYCLE_1)
	v_mov_b32_e32 v5, s54
	global_atomic_add_u32 v5, v27, v5, s[8:9] offset:512 glc
.LBB1_523:                              ;   in Loop: Header=BB1_497 Depth=2
	s_or_b32 exec_lo, exec_lo, s53
	s_waitcnt vmcnt(0)
	v_readfirstlane_b32 s53, v5
	s_mov_b32 s54, 0
                                        ; implicit-def: $vgpr6_vgpr7
	s_delay_alu instid0(VALU_DEP_1) | instskip(SKIP_1) | instid1(VALU_DEP_1)
	v_add_nc_u32_e32 v5, s53, v0
	s_mov_b32 s53, exec_lo
                                        ; implicit-def: $vgpr0
	v_cmpx_lt_i32_e64 v5, v35
	s_cbranch_execz .LBB1_537
; %bb.524:                              ;   in Loop: Header=BB1_497 Depth=2
	v_xad_u32 v6, v5, -1, s41
	s_delay_alu instid0(VALU_DEP_1) | instskip(NEXT) | instid1(VALU_DEP_1)
	v_ashrrev_i32_e32 v7, 31, v6
	v_lshlrev_b64 v[9:10], 2, v[6:7]
	s_delay_alu instid0(VALU_DEP_1) | instskip(NEXT) | instid1(VALU_DEP_2)
	v_add_co_u32 v9, vcc_lo, s31, v9
	v_add_co_ci_u32_e32 v10, vcc_lo, s33, v10, vcc_lo
	s_and_not1_b32 vcc_lo, exec_lo, s12
	global_store_b32 v[9:10], v1, off
	s_cbranch_vccnz .LBB1_534
; %bb.525:                              ;   in Loop: Header=BB1_497 Depth=2
	v_ashrrev_i32_e32 v5, 31, v4
	s_delay_alu instid0(VALU_DEP_1) | instskip(NEXT) | instid1(VALU_DEP_1)
	v_lshlrev_b64 v[9:10], 2, v[4:5]
	v_add_co_u32 v9, vcc_lo, s14, v9
	s_delay_alu instid0(VALU_DEP_2)
	v_add_co_ci_u32_e32 v10, vcc_lo, s19, v10, vcc_lo
	global_load_b32 v0, v[9:10], off
	s_and_not1_b32 vcc_lo, exec_lo, s54
	s_cbranch_vccz .LBB1_535
	s_branch .LBB1_536
.LBB1_526:                              ;   in Loop: Header=BB1_497 Depth=2
	s_and_not1_saveexec_b32 s51, s51
	s_cbranch_execz .LBB1_539
.LBB1_527:                              ;   in Loop: Header=BB1_497 Depth=2
	s_mov_b32 s54, exec_lo
	s_mov_b32 s53, exec_lo
	s_waitcnt vmcnt(0)
	v_mbcnt_lo_u32_b32 v0, s54, 0
                                        ; implicit-def: $vgpr5
	s_delay_alu instid0(VALU_DEP_1)
	v_cmpx_eq_u32_e32 0, v0
	s_cbranch_execz .LBB1_529
; %bb.528:                              ;   in Loop: Header=BB1_497 Depth=2
	s_bcnt1_i32_b32 s54, s54
	s_delay_alu instid0(SALU_CYCLE_1)
	v_mov_b32_e32 v5, s54
	global_atomic_add_u32 v5, v27, v5, s[8:9] offset:384 glc
.LBB1_529:                              ;   in Loop: Header=BB1_497 Depth=2
	s_or_b32 exec_lo, exec_lo, s53
	s_waitcnt vmcnt(0)
	v_readfirstlane_b32 s53, v5
	s_delay_alu instid0(VALU_DEP_1) | instskip(NEXT) | instid1(VALU_DEP_1)
	v_add_nc_u32_e32 v6, s53, v0
	v_ashrrev_i32_e32 v7, 31, v6
	s_delay_alu instid0(VALU_DEP_1) | instskip(NEXT) | instid1(VALU_DEP_1)
	v_lshlrev_b64 v[9:10], 2, v[6:7]
	v_add_co_u32 v9, vcc_lo, s31, v9
	s_delay_alu instid0(VALU_DEP_2)
	v_add_co_ci_u32_e32 v10, vcc_lo, s33, v10, vcc_lo
	s_and_not1_b32 vcc_lo, exec_lo, s12
	global_store_b32 v[9:10], v1, off
	s_cbranch_vccnz .LBB1_531
; %bb.530:                              ;   in Loop: Header=BB1_497 Depth=2
	v_ashrrev_i32_e32 v5, 31, v4
	s_delay_alu instid0(VALU_DEP_1) | instskip(NEXT) | instid1(VALU_DEP_1)
	v_lshlrev_b64 v[0:1], 2, v[4:5]
	v_add_co_u32 v0, vcc_lo, s14, v0
	s_delay_alu instid0(VALU_DEP_2)
	v_add_co_ci_u32_e32 v1, vcc_lo, s19, v1, vcc_lo
	global_load_b32 v0, v[0:1], off
	s_cbranch_execz .LBB1_532
	s_branch .LBB1_533
.LBB1_531:                              ;   in Loop: Header=BB1_497 Depth=2
                                        ; implicit-def: $vgpr0
.LBB1_532:                              ;   in Loop: Header=BB1_497 Depth=2
	s_waitcnt vmcnt(0)
	v_add3_u32 v0, s13, v4, 1
.LBB1_533:                              ;   in Loop: Header=BB1_497 Depth=2
	s_or_b32 s52, s52, exec_lo
	s_or_b32 exec_lo, exec_lo, s51
	s_and_saveexec_b32 s51, s52
	s_cbranch_execnz .LBB1_540
	s_branch .LBB1_541
.LBB1_534:                              ;   in Loop: Header=BB1_497 Depth=2
                                        ; implicit-def: $vgpr0
.LBB1_535:                              ;   in Loop: Header=BB1_497 Depth=2
	s_waitcnt vmcnt(0)
	v_add3_u32 v0, v8, s13, 1
.LBB1_536:                              ;   in Loop: Header=BB1_497 Depth=2
	s_mov_b32 s54, exec_lo
.LBB1_537:                              ;   in Loop: Header=BB1_497 Depth=2
	s_or_b32 exec_lo, exec_lo, s53
	s_delay_alu instid0(SALU_CYCLE_1)
	s_and_b32 s53, s54, exec_lo
.LBB1_538:                              ;   in Loop: Header=BB1_497 Depth=2
	s_or_b32 exec_lo, exec_lo, s52
	s_delay_alu instid0(SALU_CYCLE_1)
	s_and_b32 s52, s53, exec_lo
	s_and_not1_saveexec_b32 s51, s51
	s_cbranch_execnz .LBB1_527
.LBB1_539:                              ;   in Loop: Header=BB1_497 Depth=2
	s_or_b32 exec_lo, exec_lo, s51
	s_and_saveexec_b32 s51, s52
	s_cbranch_execz .LBB1_541
.LBB1_540:                              ;   in Loop: Header=BB1_497 Depth=2
	v_lshlrev_b64 v[5:6], 2, v[6:7]
	s_delay_alu instid0(VALU_DEP_1) | instskip(NEXT) | instid1(VALU_DEP_2)
	v_add_co_u32 v5, vcc_lo, s15, v5
	v_add_co_ci_u32_e32 v6, vcc_lo, s30, v6, vcc_lo
	s_waitcnt vmcnt(0)
	global_store_b32 v[5:6], v0, off
.LBB1_541:                              ;   in Loop: Header=BB1_497 Depth=2
	s_or_b32 exec_lo, exec_lo, s51
	v_cmp_gt_i32_e32 vcc_lo, 0, v2
	s_mov_b32 s52, 0
	s_mov_b32 s51, exec_lo
                                        ; implicit-def: $vgpr5
	s_waitcnt vmcnt(0)
	v_cndmask_b32_e64 v0, 0x7fffffff, 0, vcc_lo
	s_delay_alu instid0(VALU_DEP_1) | instskip(NEXT) | instid1(VALU_DEP_1)
	v_xor_b32_e32 v6, v0, v2
                                        ; implicit-def: $vgpr0_vgpr1
	v_cmpx_ge_u32_e64 v6, v34
	s_xor_b32 s51, exec_lo, s51
	s_cbranch_execz .LBB1_548
; %bb.542:                              ;   in Loop: Header=BB1_497 Depth=2
	s_mov_b32 s53, 0
	s_mov_b32 s52, exec_lo
                                        ; implicit-def: $vgpr5
                                        ; implicit-def: $vgpr0_vgpr1
	v_cmpx_eq_u32_e64 v6, v34
	s_cbranch_execz .LBB1_560
; %bb.543:                              ;   in Loop: Header=BB1_497 Depth=2
	s_mov_b32 s54, exec_lo
	s_mov_b32 s53, exec_lo
	v_mbcnt_lo_u32_b32 v0, s54, 0
                                        ; implicit-def: $vgpr1
	s_delay_alu instid0(VALU_DEP_1)
	v_cmpx_eq_u32_e32 0, v0
	s_cbranch_execz .LBB1_545
; %bb.544:                              ;   in Loop: Header=BB1_497 Depth=2
	s_bcnt1_i32_b32 s54, s54
	s_delay_alu instid0(SALU_CYCLE_1)
	v_mov_b32_e32 v1, s54
	global_atomic_add_u32 v1, v27, v1, s[8:9] offset:512 glc
.LBB1_545:                              ;   in Loop: Header=BB1_497 Depth=2
	s_or_b32 exec_lo, exec_lo, s53
	s_waitcnt vmcnt(0)
	v_readfirstlane_b32 s53, v1
	s_mov_b32 s54, 0
                                        ; implicit-def: $vgpr5
	s_delay_alu instid0(VALU_DEP_1) | instskip(SKIP_1) | instid1(VALU_DEP_1)
	v_add_nc_u32_e32 v6, s53, v0
	s_mov_b32 s53, exec_lo
                                        ; implicit-def: $vgpr0_vgpr1
	v_cmpx_lt_i32_e64 v6, v35
	s_cbranch_execz .LBB1_559
; %bb.546:                              ;   in Loop: Header=BB1_497 Depth=2
	v_xad_u32 v0, v6, -1, s41
	s_delay_alu instid0(VALU_DEP_1) | instskip(NEXT) | instid1(VALU_DEP_1)
	v_ashrrev_i32_e32 v1, 31, v0
	v_lshlrev_b64 v[5:6], 2, v[0:1]
	s_delay_alu instid0(VALU_DEP_1) | instskip(NEXT) | instid1(VALU_DEP_2)
	v_add_co_u32 v5, vcc_lo, s31, v5
	v_add_co_ci_u32_e32 v6, vcc_lo, s33, v6, vcc_lo
	s_and_not1_b32 vcc_lo, exec_lo, s12
	global_store_b32 v[5:6], v2, off
	s_cbranch_vccnz .LBB1_556
; %bb.547:                              ;   in Loop: Header=BB1_497 Depth=2
	v_ashrrev_i32_e32 v5, 31, v4
	s_delay_alu instid0(VALU_DEP_1) | instskip(NEXT) | instid1(VALU_DEP_1)
	v_lshlrev_b64 v[5:6], 2, v[4:5]
	v_add_co_u32 v5, vcc_lo, s23, v5
	s_delay_alu instid0(VALU_DEP_2)
	v_add_co_ci_u32_e32 v6, vcc_lo, s36, v6, vcc_lo
	global_load_b32 v5, v[5:6], off
	s_and_not1_b32 vcc_lo, exec_lo, s54
	s_cbranch_vccz .LBB1_557
	s_branch .LBB1_558
.LBB1_548:                              ;   in Loop: Header=BB1_497 Depth=2
	s_and_not1_saveexec_b32 s51, s51
	s_cbranch_execz .LBB1_561
.LBB1_549:                              ;   in Loop: Header=BB1_497 Depth=2
	s_mov_b32 s54, exec_lo
	s_mov_b32 s53, exec_lo
	v_mbcnt_lo_u32_b32 v0, s54, 0
                                        ; implicit-def: $vgpr1
	s_delay_alu instid0(VALU_DEP_1)
	v_cmpx_eq_u32_e32 0, v0
	s_cbranch_execz .LBB1_551
; %bb.550:                              ;   in Loop: Header=BB1_497 Depth=2
	s_bcnt1_i32_b32 s54, s54
	s_delay_alu instid0(SALU_CYCLE_1)
	v_mov_b32_e32 v1, s54
	global_atomic_add_u32 v1, v27, v1, s[8:9] offset:384 glc
.LBB1_551:                              ;   in Loop: Header=BB1_497 Depth=2
	s_or_b32 exec_lo, exec_lo, s53
	s_waitcnt vmcnt(0)
	v_readfirstlane_b32 s53, v1
	s_delay_alu instid0(VALU_DEP_1) | instskip(NEXT) | instid1(VALU_DEP_1)
	v_add_nc_u32_e32 v0, s53, v0
	v_ashrrev_i32_e32 v1, 31, v0
	s_delay_alu instid0(VALU_DEP_1) | instskip(NEXT) | instid1(VALU_DEP_1)
	v_lshlrev_b64 v[5:6], 2, v[0:1]
	v_add_co_u32 v5, vcc_lo, s31, v5
	s_delay_alu instid0(VALU_DEP_2)
	v_add_co_ci_u32_e32 v6, vcc_lo, s33, v6, vcc_lo
	s_and_not1_b32 vcc_lo, exec_lo, s12
	global_store_b32 v[5:6], v2, off
	s_cbranch_vccnz .LBB1_553
; %bb.552:                              ;   in Loop: Header=BB1_497 Depth=2
	v_ashrrev_i32_e32 v5, 31, v4
	s_delay_alu instid0(VALU_DEP_1) | instskip(NEXT) | instid1(VALU_DEP_1)
	v_lshlrev_b64 v[5:6], 2, v[4:5]
	v_add_co_u32 v5, vcc_lo, s23, v5
	s_delay_alu instid0(VALU_DEP_2)
	v_add_co_ci_u32_e32 v6, vcc_lo, s36, v6, vcc_lo
	global_load_b32 v5, v[5:6], off
	s_cbranch_execz .LBB1_554
	s_branch .LBB1_555
.LBB1_553:                              ;   in Loop: Header=BB1_497 Depth=2
                                        ; implicit-def: $vgpr5
.LBB1_554:                              ;   in Loop: Header=BB1_497 Depth=2
	s_waitcnt vmcnt(0)
	v_add3_u32 v5, s13, v4, 2
.LBB1_555:                              ;   in Loop: Header=BB1_497 Depth=2
	s_or_b32 s52, s52, exec_lo
	s_or_b32 exec_lo, exec_lo, s51
	s_and_saveexec_b32 s51, s52
	s_cbranch_execnz .LBB1_562
	s_branch .LBB1_563
.LBB1_556:                              ;   in Loop: Header=BB1_497 Depth=2
                                        ; implicit-def: $vgpr5
.LBB1_557:                              ;   in Loop: Header=BB1_497 Depth=2
	s_waitcnt vmcnt(0)
	v_add3_u32 v5, v8, s13, 2
.LBB1_558:                              ;   in Loop: Header=BB1_497 Depth=2
	s_mov_b32 s54, exec_lo
.LBB1_559:                              ;   in Loop: Header=BB1_497 Depth=2
	s_or_b32 exec_lo, exec_lo, s53
	s_delay_alu instid0(SALU_CYCLE_1)
	s_and_b32 s53, s54, exec_lo
.LBB1_560:                              ;   in Loop: Header=BB1_497 Depth=2
	s_or_b32 exec_lo, exec_lo, s52
	s_delay_alu instid0(SALU_CYCLE_1)
	s_and_b32 s52, s53, exec_lo
	s_and_not1_saveexec_b32 s51, s51
	s_cbranch_execnz .LBB1_549
.LBB1_561:                              ;   in Loop: Header=BB1_497 Depth=2
	s_or_b32 exec_lo, exec_lo, s51
	s_and_saveexec_b32 s51, s52
	s_cbranch_execz .LBB1_563
.LBB1_562:                              ;   in Loop: Header=BB1_497 Depth=2
	v_lshlrev_b64 v[0:1], 2, v[0:1]
	s_delay_alu instid0(VALU_DEP_1) | instskip(NEXT) | instid1(VALU_DEP_2)
	v_add_co_u32 v0, vcc_lo, s15, v0
	v_add_co_ci_u32_e32 v1, vcc_lo, s30, v1, vcc_lo
	s_waitcnt vmcnt(0)
	global_store_b32 v[0:1], v5, off
.LBB1_563:                              ;   in Loop: Header=BB1_497 Depth=2
	s_or_b32 exec_lo, exec_lo, s51
	v_cmp_gt_i32_e32 vcc_lo, 0, v3
	s_mov_b32 s52, 0
	s_mov_b32 s51, exec_lo
                                        ; implicit-def: $vgpr5
                                        ; implicit-def: $vgpr6_vgpr7
	v_cndmask_b32_e64 v0, 0x7fffffff, 0, vcc_lo
	s_delay_alu instid0(VALU_DEP_1) | instskip(NEXT) | instid1(VALU_DEP_1)
	v_xor_b32_e32 v0, v0, v3
	v_cmpx_ge_u32_e64 v0, v34
	s_xor_b32 s51, exec_lo, s51
	s_cbranch_execz .LBB1_570
; %bb.564:                              ;   in Loop: Header=BB1_497 Depth=2
	s_mov_b32 s53, 0
	s_mov_b32 s52, exec_lo
                                        ; implicit-def: $vgpr5
                                        ; implicit-def: $vgpr6_vgpr7
	v_cmpx_eq_u32_e64 v0, v34
	s_cbranch_execz .LBB1_582
; %bb.565:                              ;   in Loop: Header=BB1_497 Depth=2
	s_mov_b32 s54, exec_lo
	s_mov_b32 s53, exec_lo
	v_mbcnt_lo_u32_b32 v0, s54, 0
                                        ; implicit-def: $vgpr1
	s_delay_alu instid0(VALU_DEP_1)
	v_cmpx_eq_u32_e32 0, v0
	s_cbranch_execz .LBB1_567
; %bb.566:                              ;   in Loop: Header=BB1_497 Depth=2
	s_bcnt1_i32_b32 s54, s54
	s_delay_alu instid0(SALU_CYCLE_1)
	v_mov_b32_e32 v1, s54
	global_atomic_add_u32 v1, v27, v1, s[8:9] offset:512 glc
.LBB1_567:                              ;   in Loop: Header=BB1_497 Depth=2
	s_or_b32 exec_lo, exec_lo, s53
	s_waitcnt vmcnt(0)
	v_readfirstlane_b32 s53, v1
	s_mov_b32 s54, 0
                                        ; implicit-def: $vgpr5
                                        ; implicit-def: $vgpr6_vgpr7
	s_delay_alu instid0(VALU_DEP_1) | instskip(SKIP_1) | instid1(VALU_DEP_1)
	v_add_nc_u32_e32 v0, s53, v0
	s_mov_b32 s53, exec_lo
	v_cmpx_lt_i32_e64 v0, v35
	s_cbranch_execz .LBB1_581
; %bb.568:                              ;   in Loop: Header=BB1_497 Depth=2
	v_xad_u32 v6, v0, -1, s41
	s_delay_alu instid0(VALU_DEP_1) | instskip(NEXT) | instid1(VALU_DEP_1)
	v_ashrrev_i32_e32 v7, 31, v6
	v_lshlrev_b64 v[0:1], 2, v[6:7]
	s_delay_alu instid0(VALU_DEP_1) | instskip(NEXT) | instid1(VALU_DEP_2)
	v_add_co_u32 v0, vcc_lo, s31, v0
	v_add_co_ci_u32_e32 v1, vcc_lo, s33, v1, vcc_lo
	s_and_not1_b32 vcc_lo, exec_lo, s12
	global_store_b32 v[0:1], v3, off
	s_cbranch_vccnz .LBB1_578
; %bb.569:                              ;   in Loop: Header=BB1_497 Depth=2
	v_ashrrev_i32_e32 v5, 31, v4
	s_delay_alu instid0(VALU_DEP_1) | instskip(NEXT) | instid1(VALU_DEP_1)
	v_lshlrev_b64 v[0:1], 2, v[4:5]
	v_add_co_u32 v0, vcc_lo, s37, v0
	s_delay_alu instid0(VALU_DEP_2)
	v_add_co_ci_u32_e32 v1, vcc_lo, s38, v1, vcc_lo
	global_load_b32 v5, v[0:1], off
	s_and_not1_b32 vcc_lo, exec_lo, s54
	s_cbranch_vccz .LBB1_579
	s_branch .LBB1_580
.LBB1_570:                              ;   in Loop: Header=BB1_497 Depth=2
	s_and_not1_saveexec_b32 s51, s51
	s_cbranch_execz .LBB1_583
.LBB1_571:                              ;   in Loop: Header=BB1_497 Depth=2
	s_mov_b32 s54, exec_lo
	s_mov_b32 s53, exec_lo
	v_mbcnt_lo_u32_b32 v0, s54, 0
                                        ; implicit-def: $vgpr1
	s_delay_alu instid0(VALU_DEP_1)
	v_cmpx_eq_u32_e32 0, v0
	s_cbranch_execz .LBB1_573
; %bb.572:                              ;   in Loop: Header=BB1_497 Depth=2
	s_bcnt1_i32_b32 s54, s54
	s_delay_alu instid0(SALU_CYCLE_1)
	v_mov_b32_e32 v1, s54
	global_atomic_add_u32 v1, v27, v1, s[8:9] offset:384 glc
.LBB1_573:                              ;   in Loop: Header=BB1_497 Depth=2
	s_or_b32 exec_lo, exec_lo, s53
	s_waitcnt vmcnt(0)
	v_readfirstlane_b32 s53, v1
	s_delay_alu instid0(VALU_DEP_1) | instskip(NEXT) | instid1(VALU_DEP_1)
	v_add_nc_u32_e32 v6, s53, v0
	v_ashrrev_i32_e32 v7, 31, v6
	s_delay_alu instid0(VALU_DEP_1) | instskip(NEXT) | instid1(VALU_DEP_1)
	v_lshlrev_b64 v[0:1], 2, v[6:7]
	v_add_co_u32 v0, vcc_lo, s31, v0
	s_delay_alu instid0(VALU_DEP_2)
	v_add_co_ci_u32_e32 v1, vcc_lo, s33, v1, vcc_lo
	s_and_not1_b32 vcc_lo, exec_lo, s12
	global_store_b32 v[0:1], v3, off
	s_cbranch_vccnz .LBB1_575
; %bb.574:                              ;   in Loop: Header=BB1_497 Depth=2
	v_ashrrev_i32_e32 v5, 31, v4
	s_delay_alu instid0(VALU_DEP_1) | instskip(NEXT) | instid1(VALU_DEP_1)
	v_lshlrev_b64 v[0:1], 2, v[4:5]
	v_add_co_u32 v0, vcc_lo, s37, v0
	s_delay_alu instid0(VALU_DEP_2)
	v_add_co_ci_u32_e32 v1, vcc_lo, s38, v1, vcc_lo
	global_load_b32 v5, v[0:1], off
	s_cbranch_execz .LBB1_576
	s_branch .LBB1_577
.LBB1_575:                              ;   in Loop: Header=BB1_497 Depth=2
                                        ; implicit-def: $vgpr5
.LBB1_576:                              ;   in Loop: Header=BB1_497 Depth=2
	s_waitcnt vmcnt(0)
	v_add3_u32 v5, s13, v4, 3
.LBB1_577:                              ;   in Loop: Header=BB1_497 Depth=2
	s_or_b32 s52, s52, exec_lo
	s_or_b32 exec_lo, exec_lo, s51
	s_and_saveexec_b32 s51, s52
	s_cbranch_execz .LBB1_496
	s_branch .LBB1_584
.LBB1_578:                              ;   in Loop: Header=BB1_497 Depth=2
                                        ; implicit-def: $vgpr5
.LBB1_579:                              ;   in Loop: Header=BB1_497 Depth=2
	s_waitcnt vmcnt(0)
	v_add3_u32 v5, v8, s13, 3
.LBB1_580:                              ;   in Loop: Header=BB1_497 Depth=2
	s_mov_b32 s54, exec_lo
.LBB1_581:                              ;   in Loop: Header=BB1_497 Depth=2
	s_or_b32 exec_lo, exec_lo, s53
	s_delay_alu instid0(SALU_CYCLE_1)
	s_and_b32 s53, s54, exec_lo
.LBB1_582:                              ;   in Loop: Header=BB1_497 Depth=2
	s_or_b32 exec_lo, exec_lo, s52
	s_delay_alu instid0(SALU_CYCLE_1)
	s_and_b32 s52, s53, exec_lo
                                        ; implicit-def: $vgpr0_vgpr1_vgpr2_vgpr3
	s_and_not1_saveexec_b32 s51, s51
	s_cbranch_execnz .LBB1_571
.LBB1_583:                              ;   in Loop: Header=BB1_497 Depth=2
	s_or_b32 exec_lo, exec_lo, s51
	s_and_saveexec_b32 s51, s52
	s_cbranch_execz .LBB1_496
.LBB1_584:                              ;   in Loop: Header=BB1_497 Depth=2
	v_lshlrev_b64 v[0:1], 2, v[6:7]
	s_delay_alu instid0(VALU_DEP_1) | instskip(NEXT) | instid1(VALU_DEP_2)
	v_add_co_u32 v0, vcc_lo, s15, v0
	v_add_co_ci_u32_e32 v1, vcc_lo, s30, v1, vcc_lo
	s_waitcnt vmcnt(0)
	global_store_b32 v[0:1], v5, off
	s_branch .LBB1_496
.LBB1_585:                              ;   in Loop: Header=BB1_22 Depth=1
	s_or_b32 exec_lo, exec_lo, s7
	s_and_saveexec_b32 s7, s1
	s_cbranch_execz .LBB1_602
; %bb.586:                              ;   in Loop: Header=BB1_22 Depth=1
	global_load_b32 v2, v[18:19], off
	s_mov_b32 s52, 0
	s_mov_b32 s51, 0
	s_mov_b32 s11, exec_lo
                                        ; implicit-def: $vgpr3
	s_waitcnt vmcnt(0)
	v_cmp_gt_i32_e32 vcc_lo, 0, v2
	v_cndmask_b32_e64 v0, 0x7fffffff, 0, vcc_lo
	s_delay_alu instid0(VALU_DEP_1) | instskip(SKIP_1) | instid1(VALU_DEP_1)
	v_xor_b32_e32 v4, v0, v2
                                        ; implicit-def: $vgpr0_vgpr1
	s_waitcnt lgkmcnt(0)
	v_cmpx_ge_u32_e64 v4, v34
	s_xor_b32 s11, exec_lo, s11
	s_cbranch_execz .LBB1_596
; %bb.587:                              ;   in Loop: Header=BB1_22 Depth=1
	s_mov_b32 s53, 0
	s_mov_b32 s51, exec_lo
                                        ; implicit-def: $vgpr0_vgpr1
	v_cmpx_eq_u32_e64 v4, v34
	s_cbranch_execz .LBB1_593
; %bb.588:                              ;   in Loop: Header=BB1_22 Depth=1
	s_mov_b32 s53, exec_lo
	s_mov_b32 s52, exec_lo
	v_mbcnt_lo_u32_b32 v0, s53, 0
                                        ; implicit-def: $vgpr1
	s_delay_alu instid0(VALU_DEP_1)
	v_cmpx_eq_u32_e32 0, v0
	s_cbranch_execz .LBB1_590
; %bb.589:                              ;   in Loop: Header=BB1_22 Depth=1
	s_bcnt1_i32_b32 s53, s53
	s_delay_alu instid0(SALU_CYCLE_1)
	v_mov_b32_e32 v1, s53
	global_atomic_add_u32 v1, v27, v1, s[8:9] offset:512 glc
.LBB1_590:                              ;   in Loop: Header=BB1_22 Depth=1
	s_or_b32 exec_lo, exec_lo, s52
	s_waitcnt vmcnt(0)
	v_readfirstlane_b32 s52, v1
	s_mov_b32 s54, 0
	s_mov_b32 s53, 0
	s_delay_alu instid0(VALU_DEP_1) | instskip(SKIP_1) | instid1(VALU_DEP_1)
	v_add_nc_u32_e32 v3, s52, v0
	s_mov_b32 s52, exec_lo
                                        ; implicit-def: $vgpr0_vgpr1
	v_cmpx_lt_i32_e64 v3, v35
	s_xor_b32 s52, exec_lo, s52
	s_cbranch_execz .LBB1_592
; %bb.591:                              ;   in Loop: Header=BB1_22 Depth=1
	v_xad_u32 v0, v3, -1, s41
	s_and_b32 s53, s49, exec_lo
	s_and_b32 s54, s12, exec_lo
	s_delay_alu instid0(VALU_DEP_1) | instskip(NEXT) | instid1(VALU_DEP_1)
	v_ashrrev_i32_e32 v1, 31, v0
	v_lshlrev_b64 v[3:4], 2, v[0:1]
	s_delay_alu instid0(VALU_DEP_1) | instskip(NEXT) | instid1(VALU_DEP_2)
	v_add_co_u32 v3, vcc_lo, s31, v3
	v_add_co_ci_u32_e32 v4, vcc_lo, s33, v4, vcc_lo
	global_store_b32 v[3:4], v2, off
.LBB1_592:                              ;   in Loop: Header=BB1_22 Depth=1
	s_or_b32 exec_lo, exec_lo, s52
	s_delay_alu instid0(SALU_CYCLE_1)
	s_and_b32 s53, s53, exec_lo
	s_and_b32 s52, s54, exec_lo
.LBB1_593:                              ;   in Loop: Header=BB1_22 Depth=1
	s_or_b32 exec_lo, exec_lo, s51
	v_mov_b32_e32 v3, v44
	s_and_b32 s51, s53, exec_lo
	s_and_b32 s52, s52, exec_lo
                                        ; implicit-def: $vgpr2
	s_and_not1_saveexec_b32 s11, s11
	s_cbranch_execnz .LBB1_597
.LBB1_594:                              ;   in Loop: Header=BB1_22 Depth=1
	s_or_b32 exec_lo, exec_lo, s11
	s_and_saveexec_b32 s11, s52
	s_cbranch_execz .LBB1_600
.LBB1_595:                              ;   in Loop: Header=BB1_22 Depth=1
	global_load_b32 v3, v[16:17], off
	s_or_b32 s51, s51, exec_lo
	s_or_b32 exec_lo, exec_lo, s11
	s_delay_alu instid0(SALU_CYCLE_1)
	s_and_b32 exec_lo, exec_lo, s51
	s_cbranch_execnz .LBB1_601
	s_branch .LBB1_602
.LBB1_596:                              ;   in Loop: Header=BB1_22 Depth=1
	s_and_not1_saveexec_b32 s11, s11
	s_cbranch_execz .LBB1_594
.LBB1_597:                              ;   in Loop: Header=BB1_22 Depth=1
	s_mov_b32 s54, exec_lo
	s_mov_b32 s53, exec_lo
	v_mbcnt_lo_u32_b32 v0, s54, 0
                                        ; implicit-def: $vgpr1
	s_delay_alu instid0(VALU_DEP_1)
	v_cmpx_eq_u32_e32 0, v0
	s_cbranch_execz .LBB1_599
; %bb.598:                              ;   in Loop: Header=BB1_22 Depth=1
	s_bcnt1_i32_b32 s54, s54
	s_delay_alu instid0(SALU_CYCLE_1)
	v_mov_b32_e32 v1, s54
	global_atomic_add_u32 v1, v27, v1, s[8:9] offset:384 glc
.LBB1_599:                              ;   in Loop: Header=BB1_22 Depth=1
	s_or_b32 exec_lo, exec_lo, s53
	s_waitcnt vmcnt(0)
	v_readfirstlane_b32 s53, v1
	s_and_not1_b32 s51, s51, exec_lo
	s_and_not1_b32 s52, s52, exec_lo
	s_and_b32 s54, s12, exec_lo
	s_delay_alu instid0(SALU_CYCLE_1) | instskip(SKIP_2) | instid1(SALU_CYCLE_1)
	s_or_b32 s52, s52, s54
	v_add_nc_u32_e32 v0, s53, v0
	s_and_b32 s53, s49, exec_lo
	s_or_b32 s51, s51, s53
	s_delay_alu instid0(VALU_DEP_1) | instskip(NEXT) | instid1(VALU_DEP_1)
	v_ashrrev_i32_e32 v1, 31, v0
	v_lshlrev_b64 v[3:4], 2, v[0:1]
	s_delay_alu instid0(VALU_DEP_1) | instskip(SKIP_1) | instid1(VALU_DEP_3)
	v_add_co_u32 v5, vcc_lo, s31, v3
	v_mov_b32_e32 v3, v44
	v_add_co_ci_u32_e32 v6, vcc_lo, s33, v4, vcc_lo
	global_store_b32 v[5:6], v2, off
	s_or_b32 exec_lo, exec_lo, s11
	s_and_saveexec_b32 s11, s52
	s_cbranch_execnz .LBB1_595
.LBB1_600:                              ;   in Loop: Header=BB1_22 Depth=1
	s_or_b32 exec_lo, exec_lo, s11
	s_delay_alu instid0(SALU_CYCLE_1)
	s_and_b32 exec_lo, exec_lo, s51
	s_cbranch_execz .LBB1_602
.LBB1_601:                              ;   in Loop: Header=BB1_22 Depth=1
	v_lshlrev_b64 v[0:1], 2, v[0:1]
	s_delay_alu instid0(VALU_DEP_1) | instskip(NEXT) | instid1(VALU_DEP_2)
	v_add_co_u32 v0, vcc_lo, s15, v0
	v_add_co_ci_u32_e32 v1, vcc_lo, s30, v1, vcc_lo
	s_waitcnt vmcnt(0)
	global_store_b32 v[0:1], v3, off
.LBB1_602:                              ;   in Loop: Header=BB1_22 Depth=1
	s_or_b32 exec_lo, exec_lo, s7
	s_and_saveexec_b32 s7, s0
	s_cbranch_execz .LBB1_619
; %bb.603:                              ;   in Loop: Header=BB1_22 Depth=1
	global_load_b32 v2, v[14:15], off
	s_mov_b32 s52, 0
	s_mov_b32 s51, 0
	s_mov_b32 s11, exec_lo
                                        ; implicit-def: $vgpr3
	s_waitcnt vmcnt(0)
	v_cmp_gt_i32_e32 vcc_lo, 0, v2
	v_cndmask_b32_e64 v0, 0x7fffffff, 0, vcc_lo
	s_delay_alu instid0(VALU_DEP_1) | instskip(SKIP_1) | instid1(VALU_DEP_1)
	v_xor_b32_e32 v4, v0, v2
                                        ; implicit-def: $vgpr0_vgpr1
	s_waitcnt lgkmcnt(0)
	v_cmpx_ge_u32_e64 v4, v34
	s_xor_b32 s11, exec_lo, s11
	s_cbranch_execz .LBB1_613
; %bb.604:                              ;   in Loop: Header=BB1_22 Depth=1
	s_mov_b32 s53, 0
	s_mov_b32 s51, exec_lo
                                        ; implicit-def: $vgpr0_vgpr1
	v_cmpx_eq_u32_e64 v4, v34
	s_cbranch_execz .LBB1_610
; %bb.605:                              ;   in Loop: Header=BB1_22 Depth=1
	s_mov_b32 s53, exec_lo
	s_mov_b32 s52, exec_lo
	v_mbcnt_lo_u32_b32 v0, s53, 0
                                        ; implicit-def: $vgpr1
	s_delay_alu instid0(VALU_DEP_1)
	v_cmpx_eq_u32_e32 0, v0
	s_cbranch_execz .LBB1_607
; %bb.606:                              ;   in Loop: Header=BB1_22 Depth=1
	s_bcnt1_i32_b32 s53, s53
	s_delay_alu instid0(SALU_CYCLE_1)
	v_mov_b32_e32 v1, s53
	global_atomic_add_u32 v1, v27, v1, s[8:9] offset:512 glc
.LBB1_607:                              ;   in Loop: Header=BB1_22 Depth=1
	s_or_b32 exec_lo, exec_lo, s52
	s_waitcnt vmcnt(0)
	v_readfirstlane_b32 s52, v1
	s_mov_b32 s54, 0
	s_mov_b32 s53, 0
	s_delay_alu instid0(VALU_DEP_1) | instskip(SKIP_1) | instid1(VALU_DEP_1)
	v_add_nc_u32_e32 v3, s52, v0
	s_mov_b32 s52, exec_lo
                                        ; implicit-def: $vgpr0_vgpr1
	v_cmpx_lt_i32_e64 v3, v35
	s_xor_b32 s52, exec_lo, s52
	s_cbranch_execz .LBB1_609
; %bb.608:                              ;   in Loop: Header=BB1_22 Depth=1
	v_xad_u32 v0, v3, -1, s41
	s_and_b32 s53, s49, exec_lo
	s_and_b32 s54, s12, exec_lo
	s_delay_alu instid0(VALU_DEP_1) | instskip(NEXT) | instid1(VALU_DEP_1)
	v_ashrrev_i32_e32 v1, 31, v0
	v_lshlrev_b64 v[3:4], 2, v[0:1]
	s_delay_alu instid0(VALU_DEP_1) | instskip(NEXT) | instid1(VALU_DEP_2)
	v_add_co_u32 v3, vcc_lo, s31, v3
	v_add_co_ci_u32_e32 v4, vcc_lo, s33, v4, vcc_lo
	global_store_b32 v[3:4], v2, off
.LBB1_609:                              ;   in Loop: Header=BB1_22 Depth=1
	s_or_b32 exec_lo, exec_lo, s52
	s_delay_alu instid0(SALU_CYCLE_1)
	s_and_b32 s53, s53, exec_lo
	s_and_b32 s52, s54, exec_lo
.LBB1_610:                              ;   in Loop: Header=BB1_22 Depth=1
	s_or_b32 exec_lo, exec_lo, s51
	v_mov_b32_e32 v3, v43
	s_and_b32 s51, s53, exec_lo
	s_and_b32 s52, s52, exec_lo
                                        ; implicit-def: $vgpr2
	s_and_not1_saveexec_b32 s11, s11
	s_cbranch_execnz .LBB1_614
.LBB1_611:                              ;   in Loop: Header=BB1_22 Depth=1
	s_or_b32 exec_lo, exec_lo, s11
	s_and_saveexec_b32 s11, s52
	s_cbranch_execz .LBB1_617
.LBB1_612:                              ;   in Loop: Header=BB1_22 Depth=1
	global_load_b32 v3, v[12:13], off
	s_or_b32 s51, s51, exec_lo
	s_or_b32 exec_lo, exec_lo, s11
	s_delay_alu instid0(SALU_CYCLE_1)
	s_and_b32 exec_lo, exec_lo, s51
	s_cbranch_execnz .LBB1_618
	s_branch .LBB1_619
.LBB1_613:                              ;   in Loop: Header=BB1_22 Depth=1
	s_and_not1_saveexec_b32 s11, s11
	s_cbranch_execz .LBB1_611
.LBB1_614:                              ;   in Loop: Header=BB1_22 Depth=1
	s_mov_b32 s54, exec_lo
	s_mov_b32 s53, exec_lo
	v_mbcnt_lo_u32_b32 v0, s54, 0
                                        ; implicit-def: $vgpr1
	s_delay_alu instid0(VALU_DEP_1)
	v_cmpx_eq_u32_e32 0, v0
	s_cbranch_execz .LBB1_616
; %bb.615:                              ;   in Loop: Header=BB1_22 Depth=1
	s_bcnt1_i32_b32 s54, s54
	s_delay_alu instid0(SALU_CYCLE_1)
	v_mov_b32_e32 v1, s54
	global_atomic_add_u32 v1, v27, v1, s[8:9] offset:384 glc
.LBB1_616:                              ;   in Loop: Header=BB1_22 Depth=1
	s_or_b32 exec_lo, exec_lo, s53
	s_waitcnt vmcnt(0)
	v_readfirstlane_b32 s53, v1
	s_and_not1_b32 s51, s51, exec_lo
	s_and_not1_b32 s52, s52, exec_lo
	s_and_b32 s54, s12, exec_lo
	s_delay_alu instid0(SALU_CYCLE_1) | instskip(SKIP_2) | instid1(SALU_CYCLE_1)
	s_or_b32 s52, s52, s54
	v_add_nc_u32_e32 v0, s53, v0
	s_and_b32 s53, s49, exec_lo
	s_or_b32 s51, s51, s53
	s_delay_alu instid0(VALU_DEP_1) | instskip(NEXT) | instid1(VALU_DEP_1)
	v_ashrrev_i32_e32 v1, 31, v0
	v_lshlrev_b64 v[3:4], 2, v[0:1]
	s_delay_alu instid0(VALU_DEP_1) | instskip(SKIP_1) | instid1(VALU_DEP_3)
	v_add_co_u32 v5, vcc_lo, s31, v3
	v_mov_b32_e32 v3, v43
	v_add_co_ci_u32_e32 v6, vcc_lo, s33, v4, vcc_lo
	global_store_b32 v[5:6], v2, off
	s_or_b32 exec_lo, exec_lo, s11
	s_and_saveexec_b32 s11, s52
	s_cbranch_execnz .LBB1_612
.LBB1_617:                              ;   in Loop: Header=BB1_22 Depth=1
	s_or_b32 exec_lo, exec_lo, s11
	s_delay_alu instid0(SALU_CYCLE_1)
	s_and_b32 exec_lo, exec_lo, s51
	s_cbranch_execz .LBB1_619
.LBB1_618:                              ;   in Loop: Header=BB1_22 Depth=1
	v_lshlrev_b64 v[0:1], 2, v[0:1]
	s_delay_alu instid0(VALU_DEP_1) | instskip(NEXT) | instid1(VALU_DEP_2)
	v_add_co_u32 v0, vcc_lo, s15, v0
	v_add_co_ci_u32_e32 v1, vcc_lo, s30, v1, vcc_lo
	s_waitcnt vmcnt(0)
	global_store_b32 v[0:1], v3, off
.LBB1_619:                              ;   in Loop: Header=BB1_22 Depth=1
	s_or_b32 exec_lo, exec_lo, s7
.LBB1_620:                              ;   in Loop: Header=BB1_22 Depth=1
	s_add_i32 s29, s29, 1
	v_add_co_u32 v32, vcc_lo, 0x2000, v32
	s_cmp_eq_u32 s29, 3
	v_add_co_ci_u32_e32 v33, vcc_lo, 0, v33, vcc_lo
	s_mov_b32 s7, -1
	s_cselect_b32 s11, -1, 0
	s_branch .LBB1_21
.LBB1_621:
	s_and_not1_b32 vcc_lo, exec_lo, s7
	s_cbranch_vccz .LBB1_803
; %bb.622:
	v_mov_b32_e32 v28, 0
	s_add_i32 s2, s10, 32
	ds_load_b32 v27, v28 offset:16896
	s_and_saveexec_b32 s3, s4
	s_cbranch_execz .LBB1_754
; %bb.623:
	s_lshl_b32 s5, -1, s2
	s_mov_b32 s4, 0
	s_branch .LBB1_627
.LBB1_624:                              ;   in Loop: Header=BB1_627 Depth=1
	s_waitcnt vmcnt(0)
	v_add3_u32 v2, v4, s13, 3
.LBB1_625:                              ;   in Loop: Header=BB1_627 Depth=1
	v_add_co_u32 v0, vcc_lo, s15, v0
	v_add_co_ci_u32_e32 v1, vcc_lo, s30, v1, vcc_lo
	s_waitcnt vmcnt(0)
	global_store_b32 v[0:1], v2, off
.LBB1_626:                              ;   in Loop: Header=BB1_627 Depth=1
	s_or_b32 exec_lo, exec_lo, s6
	v_add_nc_u32_e32 v20, s35, v20
	s_delay_alu instid0(VALU_DEP_1) | instskip(SKIP_1) | instid1(VALU_DEP_2)
	v_ashrrev_i32_e32 v21, 31, v20
	v_add_co_u32 v22, vcc_lo, s39, v20
	v_add_co_ci_u32_e32 v23, vcc_lo, s40, v21, vcc_lo
	s_delay_alu instid0(VALU_DEP_1) | instskip(SKIP_1) | instid1(SALU_CYCLE_1)
	v_cmp_le_u64_e32 vcc_lo, s[20:21], v[22:23]
	s_or_b32 s4, vcc_lo, s4
	s_and_not1_b32 exec_lo, exec_lo, s4
	s_cbranch_execz .LBB1_753
.LBB1_627:                              ; =>This Inner Loop Header: Depth=1
	v_lshlrev_b64 v[0:1], 4, v[20:21]
	s_mov_b32 s6, exec_lo
	s_delay_alu instid0(VALU_DEP_1) | instskip(SKIP_1) | instid1(VALU_DEP_2)
	v_add_co_u32 v4, vcc_lo, s28, v0
	s_waitcnt vmcnt(0)
	v_add_co_ci_u32_e32 v5, vcc_lo, s34, v1, vcc_lo
	s_delay_alu instid0(VALU_DEP_2)
	v_add_co_u32 v8, vcc_lo, v4, s24
	global_load_b128 v[0:3], v[4:5], off
	v_add_co_ci_u32_e32 v9, vcc_lo, s25, v5, vcc_lo
	global_load_b128 v[4:7], v[8:9], off
	s_waitcnt vmcnt(1)
	v_cmp_gt_i32_e32 vcc_lo, 0, v0
	v_cndmask_b32_e64 v10, 0x7fffffff, 0, vcc_lo
	s_delay_alu instid0(VALU_DEP_1) | instskip(NEXT) | instid1(VALU_DEP_1)
	v_xor_b32_e32 v10, v10, v0
	v_and_b32_e32 v11, s5, v10
	v_lshl_add_u32 v10, v20, 2, s22
	s_waitcnt lgkmcnt(0)
	s_delay_alu instid0(VALU_DEP_2)
	v_cmpx_le_u32_e64 v11, v27
	s_cbranch_execz .LBB1_635
; %bb.628:                              ;   in Loop: Header=BB1_627 Depth=1
	s_mov_b32 s10, exec_lo
	s_mov_b32 s7, exec_lo
	v_mbcnt_lo_u32_b32 v11, s10, 0
                                        ; implicit-def: $vgpr21
	s_delay_alu instid0(VALU_DEP_1)
	v_cmpx_eq_u32_e32 0, v11
	s_cbranch_execz .LBB1_630
; %bb.629:                              ;   in Loop: Header=BB1_627 Depth=1
	s_bcnt1_i32_b32 s10, s10
	s_delay_alu instid0(SALU_CYCLE_1)
	v_mov_b32_e32 v21, s10
	global_atomic_add_u32 v21, v28, v21, s[8:9] offset:384 glc
.LBB1_630:                              ;   in Loop: Header=BB1_627 Depth=1
	s_or_b32 exec_lo, exec_lo, s7
	s_waitcnt vmcnt(0)
	v_readfirstlane_b32 s7, v21
	s_delay_alu instid0(VALU_DEP_1) | instskip(NEXT) | instid1(VALU_DEP_1)
	v_add_nc_u32_e32 v24, s7, v11
	v_ashrrev_i32_e32 v25, 31, v24
	s_delay_alu instid0(VALU_DEP_1) | instskip(NEXT) | instid1(VALU_DEP_1)
	v_lshlrev_b64 v[24:25], 2, v[24:25]
	v_add_co_u32 v29, vcc_lo, s31, v24
	s_delay_alu instid0(VALU_DEP_2)
	v_add_co_ci_u32_e32 v30, vcc_lo, s33, v25, vcc_lo
	s_and_not1_b32 vcc_lo, exec_lo, s12
	global_store_b32 v[29:30], v0, off
	s_cbranch_vccnz .LBB1_632
; %bb.631:                              ;   in Loop: Header=BB1_627 Depth=1
	v_ashrrev_i32_e32 v11, 31, v10
	s_delay_alu instid0(VALU_DEP_1) | instskip(NEXT) | instid1(VALU_DEP_1)
	v_lshlrev_b64 v[29:30], 2, v[10:11]
	v_add_co_u32 v29, vcc_lo, s16, v29
	s_delay_alu instid0(VALU_DEP_2)
	v_add_co_ci_u32_e32 v30, vcc_lo, s17, v30, vcc_lo
	global_load_b32 v0, v[29:30], off
	s_cbranch_execz .LBB1_633
	s_branch .LBB1_634
.LBB1_632:                              ;   in Loop: Header=BB1_627 Depth=1
                                        ; implicit-def: $vgpr0
.LBB1_633:                              ;   in Loop: Header=BB1_627 Depth=1
	s_waitcnt vmcnt(0)
	v_add_nc_u32_e32 v0, s13, v10
.LBB1_634:                              ;   in Loop: Header=BB1_627 Depth=1
	v_add_co_u32 v24, vcc_lo, s15, v24
	v_add_co_ci_u32_e32 v25, vcc_lo, s30, v25, vcc_lo
	s_waitcnt vmcnt(0)
	global_store_b32 v[24:25], v0, off
.LBB1_635:                              ;   in Loop: Header=BB1_627 Depth=1
	s_or_b32 exec_lo, exec_lo, s6
	v_cmp_gt_i32_e32 vcc_lo, 0, v1
	s_mov_b32 s6, exec_lo
	v_cndmask_b32_e64 v0, 0x7fffffff, 0, vcc_lo
	s_delay_alu instid0(VALU_DEP_1) | instskip(NEXT) | instid1(VALU_DEP_1)
	v_xor_b32_e32 v0, v0, v1
	v_and_b32_e32 v0, s5, v0
	s_delay_alu instid0(VALU_DEP_1)
	v_cmpx_le_u32_e64 v0, v27
	s_cbranch_execz .LBB1_643
; %bb.636:                              ;   in Loop: Header=BB1_627 Depth=1
	s_mov_b32 s10, exec_lo
	s_mov_b32 s7, exec_lo
	v_mbcnt_lo_u32_b32 v0, s10, 0
                                        ; implicit-def: $vgpr11
	s_delay_alu instid0(VALU_DEP_1)
	v_cmpx_eq_u32_e32 0, v0
	s_cbranch_execz .LBB1_638
; %bb.637:                              ;   in Loop: Header=BB1_627 Depth=1
	s_bcnt1_i32_b32 s10, s10
	s_delay_alu instid0(SALU_CYCLE_1)
	v_mov_b32_e32 v11, s10
	global_atomic_add_u32 v11, v28, v11, s[8:9] offset:384 glc
.LBB1_638:                              ;   in Loop: Header=BB1_627 Depth=1
	s_or_b32 exec_lo, exec_lo, s7
	s_waitcnt vmcnt(0)
	v_readfirstlane_b32 s7, v11
	s_delay_alu instid0(VALU_DEP_1) | instskip(NEXT) | instid1(VALU_DEP_1)
	v_add_nc_u32_e32 v24, s7, v0
	v_ashrrev_i32_e32 v25, 31, v24
	s_delay_alu instid0(VALU_DEP_1) | instskip(NEXT) | instid1(VALU_DEP_1)
	v_lshlrev_b64 v[24:25], 2, v[24:25]
	v_add_co_u32 v29, vcc_lo, s31, v24
	s_delay_alu instid0(VALU_DEP_2)
	v_add_co_ci_u32_e32 v30, vcc_lo, s33, v25, vcc_lo
	s_and_not1_b32 vcc_lo, exec_lo, s12
	global_store_b32 v[29:30], v1, off
	s_cbranch_vccnz .LBB1_640
; %bb.639:                              ;   in Loop: Header=BB1_627 Depth=1
	v_ashrrev_i32_e32 v11, 31, v10
	s_delay_alu instid0(VALU_DEP_1) | instskip(NEXT) | instid1(VALU_DEP_1)
	v_lshlrev_b64 v[0:1], 2, v[10:11]
	v_add_co_u32 v0, vcc_lo, s14, v0
	s_delay_alu instid0(VALU_DEP_2)
	v_add_co_ci_u32_e32 v1, vcc_lo, s19, v1, vcc_lo
	global_load_b32 v0, v[0:1], off
	s_cbranch_execz .LBB1_641
	s_branch .LBB1_642
.LBB1_640:                              ;   in Loop: Header=BB1_627 Depth=1
                                        ; implicit-def: $vgpr0
.LBB1_641:                              ;   in Loop: Header=BB1_627 Depth=1
	s_waitcnt vmcnt(0)
	v_add3_u32 v0, v10, s13, 1
.LBB1_642:                              ;   in Loop: Header=BB1_627 Depth=1
	v_add_co_u32 v24, vcc_lo, s15, v24
	v_add_co_ci_u32_e32 v25, vcc_lo, s30, v25, vcc_lo
	s_waitcnt vmcnt(0)
	global_store_b32 v[24:25], v0, off
.LBB1_643:                              ;   in Loop: Header=BB1_627 Depth=1
	s_or_b32 exec_lo, exec_lo, s6
	v_cmp_gt_i32_e32 vcc_lo, 0, v2
	s_mov_b32 s6, exec_lo
	v_cndmask_b32_e64 v0, 0x7fffffff, 0, vcc_lo
	s_delay_alu instid0(VALU_DEP_1) | instskip(NEXT) | instid1(VALU_DEP_1)
	v_xor_b32_e32 v0, v0, v2
	v_and_b32_e32 v0, s5, v0
	s_delay_alu instid0(VALU_DEP_1)
	v_cmpx_le_u32_e64 v0, v27
	s_cbranch_execz .LBB1_651
; %bb.644:                              ;   in Loop: Header=BB1_627 Depth=1
	s_mov_b32 s10, exec_lo
	s_mov_b32 s7, exec_lo
	v_mbcnt_lo_u32_b32 v0, s10, 0
                                        ; implicit-def: $vgpr1
	s_delay_alu instid0(VALU_DEP_1)
	v_cmpx_eq_u32_e32 0, v0
	s_cbranch_execz .LBB1_646
; %bb.645:                              ;   in Loop: Header=BB1_627 Depth=1
	s_bcnt1_i32_b32 s10, s10
	s_delay_alu instid0(SALU_CYCLE_1)
	v_mov_b32_e32 v1, s10
	global_atomic_add_u32 v1, v28, v1, s[8:9] offset:384 glc
.LBB1_646:                              ;   in Loop: Header=BB1_627 Depth=1
	s_or_b32 exec_lo, exec_lo, s7
	s_waitcnt vmcnt(0)
	v_readfirstlane_b32 s7, v1
	s_delay_alu instid0(VALU_DEP_1) | instskip(NEXT) | instid1(VALU_DEP_1)
	v_add_nc_u32_e32 v0, s7, v0
	v_ashrrev_i32_e32 v1, 31, v0
	s_delay_alu instid0(VALU_DEP_1) | instskip(NEXT) | instid1(VALU_DEP_1)
	v_lshlrev_b64 v[0:1], 2, v[0:1]
	v_add_co_u32 v24, vcc_lo, s31, v0
	s_delay_alu instid0(VALU_DEP_2)
	v_add_co_ci_u32_e32 v25, vcc_lo, s33, v1, vcc_lo
	s_and_not1_b32 vcc_lo, exec_lo, s12
	global_store_b32 v[24:25], v2, off
	s_cbranch_vccnz .LBB1_648
; %bb.647:                              ;   in Loop: Header=BB1_627 Depth=1
	v_ashrrev_i32_e32 v11, 31, v10
	s_delay_alu instid0(VALU_DEP_1) | instskip(NEXT) | instid1(VALU_DEP_1)
	v_lshlrev_b64 v[24:25], 2, v[10:11]
	v_add_co_u32 v24, vcc_lo, s23, v24
	s_delay_alu instid0(VALU_DEP_2)
	v_add_co_ci_u32_e32 v25, vcc_lo, s36, v25, vcc_lo
	global_load_b32 v2, v[24:25], off
	s_cbranch_execz .LBB1_649
	s_branch .LBB1_650
.LBB1_648:                              ;   in Loop: Header=BB1_627 Depth=1
                                        ; implicit-def: $vgpr2
.LBB1_649:                              ;   in Loop: Header=BB1_627 Depth=1
	s_waitcnt vmcnt(0)
	v_add3_u32 v2, v10, s13, 2
.LBB1_650:                              ;   in Loop: Header=BB1_627 Depth=1
	v_add_co_u32 v0, vcc_lo, s15, v0
	v_add_co_ci_u32_e32 v1, vcc_lo, s30, v1, vcc_lo
	s_waitcnt vmcnt(0)
	global_store_b32 v[0:1], v2, off
.LBB1_651:                              ;   in Loop: Header=BB1_627 Depth=1
	s_or_b32 exec_lo, exec_lo, s6
	v_cmp_gt_i32_e32 vcc_lo, 0, v3
	s_mov_b32 s6, exec_lo
	v_cndmask_b32_e64 v0, 0x7fffffff, 0, vcc_lo
	s_delay_alu instid0(VALU_DEP_1) | instskip(NEXT) | instid1(VALU_DEP_1)
	v_xor_b32_e32 v0, v0, v3
	v_and_b32_e32 v0, s5, v0
	s_delay_alu instid0(VALU_DEP_1)
	v_cmpx_le_u32_e64 v0, v27
	s_cbranch_execz .LBB1_659
; %bb.652:                              ;   in Loop: Header=BB1_627 Depth=1
	s_mov_b32 s10, exec_lo
	s_mov_b32 s7, exec_lo
	v_mbcnt_lo_u32_b32 v0, s10, 0
                                        ; implicit-def: $vgpr1
	s_delay_alu instid0(VALU_DEP_1)
	v_cmpx_eq_u32_e32 0, v0
	s_cbranch_execz .LBB1_654
; %bb.653:                              ;   in Loop: Header=BB1_627 Depth=1
	s_bcnt1_i32_b32 s10, s10
	s_delay_alu instid0(SALU_CYCLE_1)
	v_mov_b32_e32 v1, s10
	global_atomic_add_u32 v1, v28, v1, s[8:9] offset:384 glc
.LBB1_654:                              ;   in Loop: Header=BB1_627 Depth=1
	s_or_b32 exec_lo, exec_lo, s7
	s_waitcnt vmcnt(0)
	v_readfirstlane_b32 s7, v1
	s_delay_alu instid0(VALU_DEP_1) | instskip(NEXT) | instid1(VALU_DEP_1)
	v_add_nc_u32_e32 v0, s7, v0
	v_ashrrev_i32_e32 v1, 31, v0
	s_delay_alu instid0(VALU_DEP_1) | instskip(NEXT) | instid1(VALU_DEP_1)
	v_lshlrev_b64 v[0:1], 2, v[0:1]
	v_add_co_u32 v24, vcc_lo, s31, v0
	s_delay_alu instid0(VALU_DEP_2)
	v_add_co_ci_u32_e32 v25, vcc_lo, s33, v1, vcc_lo
	s_and_not1_b32 vcc_lo, exec_lo, s12
	global_store_b32 v[24:25], v3, off
	s_cbranch_vccnz .LBB1_656
; %bb.655:                              ;   in Loop: Header=BB1_627 Depth=1
	v_ashrrev_i32_e32 v11, 31, v10
	s_delay_alu instid0(VALU_DEP_1) | instskip(NEXT) | instid1(VALU_DEP_1)
	v_lshlrev_b64 v[2:3], 2, v[10:11]
	v_add_co_u32 v2, vcc_lo, s37, v2
	s_delay_alu instid0(VALU_DEP_2)
	v_add_co_ci_u32_e32 v3, vcc_lo, s38, v3, vcc_lo
	global_load_b32 v2, v[2:3], off
	s_cbranch_execz .LBB1_657
	s_branch .LBB1_658
.LBB1_656:                              ;   in Loop: Header=BB1_627 Depth=1
                                        ; implicit-def: $vgpr2
.LBB1_657:                              ;   in Loop: Header=BB1_627 Depth=1
	s_waitcnt vmcnt(0)
	v_add3_u32 v2, v10, s13, 3
.LBB1_658:                              ;   in Loop: Header=BB1_627 Depth=1
	v_add_co_u32 v0, vcc_lo, s15, v0
	v_add_co_ci_u32_e32 v1, vcc_lo, s30, v1, vcc_lo
	s_waitcnt vmcnt(0)
	global_store_b32 v[0:1], v2, off
.LBB1_659:                              ;   in Loop: Header=BB1_627 Depth=1
	s_or_b32 exec_lo, exec_lo, s6
	v_lshlrev_b64 v[0:1], 4, v[22:23]
	v_add_co_u32 v2, vcc_lo, v8, s24
	v_add_co_ci_u32_e32 v3, vcc_lo, s25, v9, vcc_lo
	s_mov_b32 s6, exec_lo
	s_delay_alu instid0(VALU_DEP_3) | instskip(NEXT) | instid1(VALU_DEP_4)
	v_add_co_u32 v0, vcc_lo, s28, v0
	v_add_co_ci_u32_e32 v1, vcc_lo, s34, v1, vcc_lo
	s_waitcnt vmcnt(0)
	v_cmp_gt_i32_e32 vcc_lo, 0, v4
	s_clause 0x1
	global_load_b128 v[8:11], v[2:3], off
	global_load_b128 v[0:3], v[0:1], off
	v_cndmask_b32_e64 v21, 0x7fffffff, 0, vcc_lo
	s_delay_alu instid0(VALU_DEP_1) | instskip(SKIP_1) | instid1(VALU_DEP_2)
	v_xor_b32_e32 v23, v21, v4
	v_add_co_u32 v21, null, v20, s18
	v_and_b32_e32 v24, s5, v23
	s_delay_alu instid0(VALU_DEP_2) | instskip(NEXT) | instid1(VALU_DEP_2)
	v_lshl_add_u32 v23, v21, 2, s22
	v_cmpx_le_u32_e64 v24, v27
	s_cbranch_execz .LBB1_667
; %bb.660:                              ;   in Loop: Header=BB1_627 Depth=1
	s_mov_b32 s10, exec_lo
	s_mov_b32 s7, exec_lo
	v_mbcnt_lo_u32_b32 v24, s10, 0
                                        ; implicit-def: $vgpr25
	s_delay_alu instid0(VALU_DEP_1)
	v_cmpx_eq_u32_e32 0, v24
	s_cbranch_execz .LBB1_662
; %bb.661:                              ;   in Loop: Header=BB1_627 Depth=1
	s_bcnt1_i32_b32 s10, s10
	s_delay_alu instid0(SALU_CYCLE_1)
	v_mov_b32_e32 v25, s10
	global_atomic_add_u32 v25, v28, v25, s[8:9] offset:384 glc
.LBB1_662:                              ;   in Loop: Header=BB1_627 Depth=1
	s_or_b32 exec_lo, exec_lo, s7
	s_waitcnt vmcnt(0)
	v_readfirstlane_b32 s7, v25
	s_delay_alu instid0(VALU_DEP_1) | instskip(NEXT) | instid1(VALU_DEP_1)
	v_add_nc_u32_e32 v24, s7, v24
	v_ashrrev_i32_e32 v25, 31, v24
	s_delay_alu instid0(VALU_DEP_1) | instskip(NEXT) | instid1(VALU_DEP_1)
	v_lshlrev_b64 v[25:26], 2, v[24:25]
	v_add_co_u32 v29, vcc_lo, s31, v25
	s_delay_alu instid0(VALU_DEP_2)
	v_add_co_ci_u32_e32 v30, vcc_lo, s33, v26, vcc_lo
	s_and_not1_b32 vcc_lo, exec_lo, s12
	global_store_b32 v[29:30], v4, off
	s_cbranch_vccnz .LBB1_664
; %bb.663:                              ;   in Loop: Header=BB1_627 Depth=1
	v_ashrrev_i32_e32 v24, 31, v23
	s_delay_alu instid0(VALU_DEP_1) | instskip(NEXT) | instid1(VALU_DEP_1)
	v_lshlrev_b64 v[29:30], 2, v[23:24]
	v_add_co_u32 v29, vcc_lo, s16, v29
	s_delay_alu instid0(VALU_DEP_2)
	v_add_co_ci_u32_e32 v30, vcc_lo, s17, v30, vcc_lo
	global_load_b32 v4, v[29:30], off
	s_cbranch_execz .LBB1_665
	s_branch .LBB1_666
.LBB1_664:                              ;   in Loop: Header=BB1_627 Depth=1
                                        ; implicit-def: $vgpr4
.LBB1_665:                              ;   in Loop: Header=BB1_627 Depth=1
	s_waitcnt vmcnt(0)
	v_add_nc_u32_e32 v4, s13, v23
.LBB1_666:                              ;   in Loop: Header=BB1_627 Depth=1
	v_add_co_u32 v24, vcc_lo, s15, v25
	v_add_co_ci_u32_e32 v25, vcc_lo, s30, v26, vcc_lo
	s_waitcnt vmcnt(0)
	global_store_b32 v[24:25], v4, off
.LBB1_667:                              ;   in Loop: Header=BB1_627 Depth=1
	s_or_b32 exec_lo, exec_lo, s6
	v_cmp_gt_i32_e32 vcc_lo, 0, v5
	s_mov_b32 s6, exec_lo
	v_cndmask_b32_e64 v4, 0x7fffffff, 0, vcc_lo
	s_delay_alu instid0(VALU_DEP_1) | instskip(NEXT) | instid1(VALU_DEP_1)
	v_xor_b32_e32 v4, v4, v5
	v_and_b32_e32 v4, s5, v4
	s_delay_alu instid0(VALU_DEP_1)
	v_cmpx_le_u32_e64 v4, v27
	s_cbranch_execz .LBB1_675
; %bb.668:                              ;   in Loop: Header=BB1_627 Depth=1
	s_mov_b32 s10, exec_lo
	s_mov_b32 s7, exec_lo
	v_mbcnt_lo_u32_b32 v4, s10, 0
                                        ; implicit-def: $vgpr24
	s_delay_alu instid0(VALU_DEP_1)
	v_cmpx_eq_u32_e32 0, v4
	s_cbranch_execz .LBB1_670
; %bb.669:                              ;   in Loop: Header=BB1_627 Depth=1
	s_bcnt1_i32_b32 s10, s10
	s_delay_alu instid0(SALU_CYCLE_1)
	v_mov_b32_e32 v24, s10
	global_atomic_add_u32 v24, v28, v24, s[8:9] offset:384 glc
.LBB1_670:                              ;   in Loop: Header=BB1_627 Depth=1
	s_or_b32 exec_lo, exec_lo, s7
	s_waitcnt vmcnt(0)
	v_readfirstlane_b32 s7, v24
	s_delay_alu instid0(VALU_DEP_1) | instskip(NEXT) | instid1(VALU_DEP_1)
	v_add_nc_u32_e32 v24, s7, v4
	v_ashrrev_i32_e32 v25, 31, v24
	s_delay_alu instid0(VALU_DEP_1) | instskip(NEXT) | instid1(VALU_DEP_1)
	v_lshlrev_b64 v[25:26], 2, v[24:25]
	v_add_co_u32 v29, vcc_lo, s31, v25
	s_delay_alu instid0(VALU_DEP_2)
	v_add_co_ci_u32_e32 v30, vcc_lo, s33, v26, vcc_lo
	s_and_not1_b32 vcc_lo, exec_lo, s12
	global_store_b32 v[29:30], v5, off
	s_cbranch_vccnz .LBB1_672
; %bb.671:                              ;   in Loop: Header=BB1_627 Depth=1
	v_ashrrev_i32_e32 v24, 31, v23
	s_delay_alu instid0(VALU_DEP_1) | instskip(NEXT) | instid1(VALU_DEP_1)
	v_lshlrev_b64 v[4:5], 2, v[23:24]
	v_add_co_u32 v4, vcc_lo, s14, v4
	s_delay_alu instid0(VALU_DEP_2)
	v_add_co_ci_u32_e32 v5, vcc_lo, s19, v5, vcc_lo
	global_load_b32 v4, v[4:5], off
	s_cbranch_execz .LBB1_673
	s_branch .LBB1_674
.LBB1_672:                              ;   in Loop: Header=BB1_627 Depth=1
                                        ; implicit-def: $vgpr4
.LBB1_673:                              ;   in Loop: Header=BB1_627 Depth=1
	s_waitcnt vmcnt(0)
	v_add3_u32 v4, v23, s13, 1
.LBB1_674:                              ;   in Loop: Header=BB1_627 Depth=1
	v_add_co_u32 v24, vcc_lo, s15, v25
	v_add_co_ci_u32_e32 v25, vcc_lo, s30, v26, vcc_lo
	s_waitcnt vmcnt(0)
	global_store_b32 v[24:25], v4, off
.LBB1_675:                              ;   in Loop: Header=BB1_627 Depth=1
	s_or_b32 exec_lo, exec_lo, s6
	v_cmp_gt_i32_e32 vcc_lo, 0, v6
	s_mov_b32 s6, exec_lo
	v_cndmask_b32_e64 v4, 0x7fffffff, 0, vcc_lo
	s_delay_alu instid0(VALU_DEP_1) | instskip(NEXT) | instid1(VALU_DEP_1)
	v_xor_b32_e32 v4, v4, v6
	v_and_b32_e32 v4, s5, v4
	s_delay_alu instid0(VALU_DEP_1)
	v_cmpx_le_u32_e64 v4, v27
	s_cbranch_execz .LBB1_683
; %bb.676:                              ;   in Loop: Header=BB1_627 Depth=1
	s_mov_b32 s10, exec_lo
	s_mov_b32 s7, exec_lo
	v_mbcnt_lo_u32_b32 v4, s10, 0
                                        ; implicit-def: $vgpr5
	s_delay_alu instid0(VALU_DEP_1)
	v_cmpx_eq_u32_e32 0, v4
	s_cbranch_execz .LBB1_678
; %bb.677:                              ;   in Loop: Header=BB1_627 Depth=1
	s_bcnt1_i32_b32 s10, s10
	s_delay_alu instid0(SALU_CYCLE_1)
	v_mov_b32_e32 v5, s10
	global_atomic_add_u32 v5, v28, v5, s[8:9] offset:384 glc
.LBB1_678:                              ;   in Loop: Header=BB1_627 Depth=1
	s_or_b32 exec_lo, exec_lo, s7
	s_waitcnt vmcnt(0)
	v_readfirstlane_b32 s7, v5
	s_delay_alu instid0(VALU_DEP_1) | instskip(NEXT) | instid1(VALU_DEP_1)
	v_add_nc_u32_e32 v4, s7, v4
	v_ashrrev_i32_e32 v5, 31, v4
	s_delay_alu instid0(VALU_DEP_1) | instskip(NEXT) | instid1(VALU_DEP_1)
	v_lshlrev_b64 v[4:5], 2, v[4:5]
	v_add_co_u32 v24, vcc_lo, s31, v4
	s_delay_alu instid0(VALU_DEP_2)
	v_add_co_ci_u32_e32 v25, vcc_lo, s33, v5, vcc_lo
	s_and_not1_b32 vcc_lo, exec_lo, s12
	global_store_b32 v[24:25], v6, off
	s_cbranch_vccnz .LBB1_680
; %bb.679:                              ;   in Loop: Header=BB1_627 Depth=1
	v_ashrrev_i32_e32 v24, 31, v23
	s_delay_alu instid0(VALU_DEP_1) | instskip(NEXT) | instid1(VALU_DEP_1)
	v_lshlrev_b64 v[24:25], 2, v[23:24]
	v_add_co_u32 v24, vcc_lo, s23, v24
	s_delay_alu instid0(VALU_DEP_2)
	v_add_co_ci_u32_e32 v25, vcc_lo, s36, v25, vcc_lo
	global_load_b32 v6, v[24:25], off
	s_cbranch_execz .LBB1_681
	s_branch .LBB1_682
.LBB1_680:                              ;   in Loop: Header=BB1_627 Depth=1
                                        ; implicit-def: $vgpr6
.LBB1_681:                              ;   in Loop: Header=BB1_627 Depth=1
	s_waitcnt vmcnt(0)
	v_add3_u32 v6, v23, s13, 2
.LBB1_682:                              ;   in Loop: Header=BB1_627 Depth=1
	v_add_co_u32 v4, vcc_lo, s15, v4
	v_add_co_ci_u32_e32 v5, vcc_lo, s30, v5, vcc_lo
	s_waitcnt vmcnt(0)
	global_store_b32 v[4:5], v6, off
.LBB1_683:                              ;   in Loop: Header=BB1_627 Depth=1
	s_or_b32 exec_lo, exec_lo, s6
	v_cmp_gt_i32_e32 vcc_lo, 0, v7
	s_mov_b32 s6, exec_lo
	v_cndmask_b32_e64 v4, 0x7fffffff, 0, vcc_lo
	s_delay_alu instid0(VALU_DEP_1) | instskip(NEXT) | instid1(VALU_DEP_1)
	v_xor_b32_e32 v4, v4, v7
	v_and_b32_e32 v4, s5, v4
	s_delay_alu instid0(VALU_DEP_1)
	v_cmpx_le_u32_e64 v4, v27
	s_cbranch_execz .LBB1_691
; %bb.684:                              ;   in Loop: Header=BB1_627 Depth=1
	s_mov_b32 s10, exec_lo
	s_mov_b32 s7, exec_lo
	v_mbcnt_lo_u32_b32 v4, s10, 0
                                        ; implicit-def: $vgpr5
	s_delay_alu instid0(VALU_DEP_1)
	v_cmpx_eq_u32_e32 0, v4
	s_cbranch_execz .LBB1_686
; %bb.685:                              ;   in Loop: Header=BB1_627 Depth=1
	s_bcnt1_i32_b32 s10, s10
	s_delay_alu instid0(SALU_CYCLE_1)
	v_mov_b32_e32 v5, s10
	global_atomic_add_u32 v5, v28, v5, s[8:9] offset:384 glc
.LBB1_686:                              ;   in Loop: Header=BB1_627 Depth=1
	s_or_b32 exec_lo, exec_lo, s7
	s_waitcnt vmcnt(0)
	v_readfirstlane_b32 s7, v5
	s_delay_alu instid0(VALU_DEP_1) | instskip(NEXT) | instid1(VALU_DEP_1)
	v_add_nc_u32_e32 v4, s7, v4
	v_ashrrev_i32_e32 v5, 31, v4
	s_delay_alu instid0(VALU_DEP_1) | instskip(NEXT) | instid1(VALU_DEP_1)
	v_lshlrev_b64 v[4:5], 2, v[4:5]
	v_add_co_u32 v24, vcc_lo, s31, v4
	s_delay_alu instid0(VALU_DEP_2)
	v_add_co_ci_u32_e32 v25, vcc_lo, s33, v5, vcc_lo
	s_and_not1_b32 vcc_lo, exec_lo, s12
	global_store_b32 v[24:25], v7, off
	s_cbranch_vccnz .LBB1_688
; %bb.687:                              ;   in Loop: Header=BB1_627 Depth=1
	v_ashrrev_i32_e32 v24, 31, v23
	s_delay_alu instid0(VALU_DEP_1) | instskip(NEXT) | instid1(VALU_DEP_1)
	v_lshlrev_b64 v[6:7], 2, v[23:24]
	v_add_co_u32 v6, vcc_lo, s37, v6
	s_delay_alu instid0(VALU_DEP_2)
	v_add_co_ci_u32_e32 v7, vcc_lo, s38, v7, vcc_lo
	global_load_b32 v6, v[6:7], off
	s_cbranch_execz .LBB1_689
	s_branch .LBB1_690
.LBB1_688:                              ;   in Loop: Header=BB1_627 Depth=1
                                        ; implicit-def: $vgpr6
.LBB1_689:                              ;   in Loop: Header=BB1_627 Depth=1
	s_waitcnt vmcnt(0)
	v_add3_u32 v6, v23, s13, 3
.LBB1_690:                              ;   in Loop: Header=BB1_627 Depth=1
	v_add_co_u32 v4, vcc_lo, s15, v4
	v_add_co_ci_u32_e32 v5, vcc_lo, s30, v5, vcc_lo
	s_waitcnt vmcnt(0)
	global_store_b32 v[4:5], v6, off
.LBB1_691:                              ;   in Loop: Header=BB1_627 Depth=1
	s_or_b32 exec_lo, exec_lo, s6
	s_waitcnt vmcnt(1)
	v_cmp_gt_i32_e32 vcc_lo, 0, v8
	v_add_nc_u32_e32 v5, s18, v21
	s_mov_b32 s6, exec_lo
	v_cndmask_b32_e64 v4, 0x7fffffff, 0, vcc_lo
	s_delay_alu instid0(VALU_DEP_1) | instskip(NEXT) | instid1(VALU_DEP_1)
	v_xor_b32_e32 v4, v4, v8
	v_and_b32_e32 v6, s5, v4
	v_lshl_add_u32 v4, v5, 2, s22
	s_delay_alu instid0(VALU_DEP_2)
	v_cmpx_le_u32_e64 v6, v27
	s_cbranch_execz .LBB1_699
; %bb.692:                              ;   in Loop: Header=BB1_627 Depth=1
	s_mov_b32 s10, exec_lo
	s_mov_b32 s7, exec_lo
	v_mbcnt_lo_u32_b32 v5, s10, 0
                                        ; implicit-def: $vgpr6
	s_delay_alu instid0(VALU_DEP_1)
	v_cmpx_eq_u32_e32 0, v5
	s_cbranch_execz .LBB1_694
; %bb.693:                              ;   in Loop: Header=BB1_627 Depth=1
	s_bcnt1_i32_b32 s10, s10
	s_delay_alu instid0(SALU_CYCLE_1)
	v_mov_b32_e32 v6, s10
	global_atomic_add_u32 v6, v28, v6, s[8:9] offset:384 glc
.LBB1_694:                              ;   in Loop: Header=BB1_627 Depth=1
	s_or_b32 exec_lo, exec_lo, s7
	s_waitcnt vmcnt(0)
	v_readfirstlane_b32 s7, v6
	s_delay_alu instid0(VALU_DEP_1) | instskip(NEXT) | instid1(VALU_DEP_1)
	v_add_nc_u32_e32 v5, s7, v5
	v_ashrrev_i32_e32 v6, 31, v5
	s_delay_alu instid0(VALU_DEP_1) | instskip(NEXT) | instid1(VALU_DEP_1)
	v_lshlrev_b64 v[6:7], 2, v[5:6]
	v_add_co_u32 v23, vcc_lo, s31, v6
	s_delay_alu instid0(VALU_DEP_2)
	v_add_co_ci_u32_e32 v24, vcc_lo, s33, v7, vcc_lo
	s_and_not1_b32 vcc_lo, exec_lo, s12
	global_store_b32 v[23:24], v8, off
	s_cbranch_vccnz .LBB1_696
; %bb.695:                              ;   in Loop: Header=BB1_627 Depth=1
	v_ashrrev_i32_e32 v5, 31, v4
	s_delay_alu instid0(VALU_DEP_1) | instskip(NEXT) | instid1(VALU_DEP_1)
	v_lshlrev_b64 v[23:24], 2, v[4:5]
	v_add_co_u32 v23, vcc_lo, s16, v23
	s_delay_alu instid0(VALU_DEP_2)
	v_add_co_ci_u32_e32 v24, vcc_lo, s17, v24, vcc_lo
	global_load_b32 v5, v[23:24], off
	s_cbranch_execz .LBB1_697
	s_branch .LBB1_698
.LBB1_696:                              ;   in Loop: Header=BB1_627 Depth=1
                                        ; implicit-def: $vgpr5
.LBB1_697:                              ;   in Loop: Header=BB1_627 Depth=1
	s_waitcnt vmcnt(0)
	v_add_nc_u32_e32 v5, s13, v4
.LBB1_698:                              ;   in Loop: Header=BB1_627 Depth=1
	v_add_co_u32 v6, vcc_lo, s15, v6
	v_add_co_ci_u32_e32 v7, vcc_lo, s30, v7, vcc_lo
	s_waitcnt vmcnt(0)
	global_store_b32 v[6:7], v5, off
.LBB1_699:                              ;   in Loop: Header=BB1_627 Depth=1
	s_or_b32 exec_lo, exec_lo, s6
	v_cmp_gt_i32_e32 vcc_lo, 0, v9
	s_mov_b32 s6, exec_lo
	v_cndmask_b32_e64 v5, 0x7fffffff, 0, vcc_lo
	s_delay_alu instid0(VALU_DEP_1) | instskip(NEXT) | instid1(VALU_DEP_1)
	v_xor_b32_e32 v5, v5, v9
	v_and_b32_e32 v5, s5, v5
	s_delay_alu instid0(VALU_DEP_1)
	v_cmpx_le_u32_e64 v5, v27
	s_cbranch_execz .LBB1_707
; %bb.700:                              ;   in Loop: Header=BB1_627 Depth=1
	s_mov_b32 s10, exec_lo
	s_mov_b32 s7, exec_lo
	v_mbcnt_lo_u32_b32 v5, s10, 0
                                        ; implicit-def: $vgpr6
	s_delay_alu instid0(VALU_DEP_1)
	v_cmpx_eq_u32_e32 0, v5
	s_cbranch_execz .LBB1_702
; %bb.701:                              ;   in Loop: Header=BB1_627 Depth=1
	s_bcnt1_i32_b32 s10, s10
	s_delay_alu instid0(SALU_CYCLE_1)
	v_mov_b32_e32 v6, s10
	global_atomic_add_u32 v6, v28, v6, s[8:9] offset:384 glc
.LBB1_702:                              ;   in Loop: Header=BB1_627 Depth=1
	s_or_b32 exec_lo, exec_lo, s7
	s_waitcnt vmcnt(0)
	v_readfirstlane_b32 s7, v6
	s_delay_alu instid0(VALU_DEP_1) | instskip(NEXT) | instid1(VALU_DEP_1)
	v_add_nc_u32_e32 v5, s7, v5
	v_ashrrev_i32_e32 v6, 31, v5
	s_delay_alu instid0(VALU_DEP_1) | instskip(NEXT) | instid1(VALU_DEP_1)
	v_lshlrev_b64 v[6:7], 2, v[5:6]
	v_add_co_u32 v23, vcc_lo, s31, v6
	s_delay_alu instid0(VALU_DEP_2)
	v_add_co_ci_u32_e32 v24, vcc_lo, s33, v7, vcc_lo
	s_and_not1_b32 vcc_lo, exec_lo, s12
	global_store_b32 v[23:24], v9, off
	s_cbranch_vccnz .LBB1_704
; %bb.703:                              ;   in Loop: Header=BB1_627 Depth=1
	v_ashrrev_i32_e32 v5, 31, v4
	s_delay_alu instid0(VALU_DEP_1) | instskip(NEXT) | instid1(VALU_DEP_1)
	v_lshlrev_b64 v[8:9], 2, v[4:5]
	v_add_co_u32 v8, vcc_lo, s14, v8
	s_delay_alu instid0(VALU_DEP_2)
	v_add_co_ci_u32_e32 v9, vcc_lo, s19, v9, vcc_lo
	global_load_b32 v5, v[8:9], off
	s_cbranch_execz .LBB1_705
	s_branch .LBB1_706
.LBB1_704:                              ;   in Loop: Header=BB1_627 Depth=1
                                        ; implicit-def: $vgpr5
.LBB1_705:                              ;   in Loop: Header=BB1_627 Depth=1
	s_waitcnt vmcnt(0)
	v_add3_u32 v5, v4, s13, 1
.LBB1_706:                              ;   in Loop: Header=BB1_627 Depth=1
	v_add_co_u32 v6, vcc_lo, s15, v6
	v_add_co_ci_u32_e32 v7, vcc_lo, s30, v7, vcc_lo
	s_waitcnt vmcnt(0)
	global_store_b32 v[6:7], v5, off
.LBB1_707:                              ;   in Loop: Header=BB1_627 Depth=1
	s_or_b32 exec_lo, exec_lo, s6
	v_cmp_gt_i32_e32 vcc_lo, 0, v10
	s_mov_b32 s6, exec_lo
	v_cndmask_b32_e64 v5, 0x7fffffff, 0, vcc_lo
	s_delay_alu instid0(VALU_DEP_1) | instskip(NEXT) | instid1(VALU_DEP_1)
	v_xor_b32_e32 v5, v5, v10
	v_and_b32_e32 v5, s5, v5
	s_delay_alu instid0(VALU_DEP_1)
	v_cmpx_le_u32_e64 v5, v27
	s_cbranch_execz .LBB1_715
; %bb.708:                              ;   in Loop: Header=BB1_627 Depth=1
	s_mov_b32 s10, exec_lo
	s_mov_b32 s7, exec_lo
	v_mbcnt_lo_u32_b32 v5, s10, 0
                                        ; implicit-def: $vgpr6
	s_delay_alu instid0(VALU_DEP_1)
	v_cmpx_eq_u32_e32 0, v5
	s_cbranch_execz .LBB1_710
; %bb.709:                              ;   in Loop: Header=BB1_627 Depth=1
	s_bcnt1_i32_b32 s10, s10
	s_delay_alu instid0(SALU_CYCLE_1)
	v_mov_b32_e32 v6, s10
	global_atomic_add_u32 v6, v28, v6, s[8:9] offset:384 glc
.LBB1_710:                              ;   in Loop: Header=BB1_627 Depth=1
	s_or_b32 exec_lo, exec_lo, s7
	s_waitcnt vmcnt(0)
	v_readfirstlane_b32 s7, v6
	s_delay_alu instid0(VALU_DEP_1) | instskip(NEXT) | instid1(VALU_DEP_1)
	v_add_nc_u32_e32 v5, s7, v5
	v_ashrrev_i32_e32 v6, 31, v5
	s_delay_alu instid0(VALU_DEP_1) | instskip(NEXT) | instid1(VALU_DEP_1)
	v_lshlrev_b64 v[6:7], 2, v[5:6]
	v_add_co_u32 v8, vcc_lo, s31, v6
	s_delay_alu instid0(VALU_DEP_2)
	v_add_co_ci_u32_e32 v9, vcc_lo, s33, v7, vcc_lo
	s_and_not1_b32 vcc_lo, exec_lo, s12
	global_store_b32 v[8:9], v10, off
	s_cbranch_vccnz .LBB1_712
; %bb.711:                              ;   in Loop: Header=BB1_627 Depth=1
	v_ashrrev_i32_e32 v5, 31, v4
	s_delay_alu instid0(VALU_DEP_1) | instskip(NEXT) | instid1(VALU_DEP_1)
	v_lshlrev_b64 v[8:9], 2, v[4:5]
	v_add_co_u32 v8, vcc_lo, s23, v8
	s_delay_alu instid0(VALU_DEP_2)
	v_add_co_ci_u32_e32 v9, vcc_lo, s36, v9, vcc_lo
	global_load_b32 v5, v[8:9], off
	s_cbranch_execz .LBB1_713
	s_branch .LBB1_714
.LBB1_712:                              ;   in Loop: Header=BB1_627 Depth=1
                                        ; implicit-def: $vgpr5
.LBB1_713:                              ;   in Loop: Header=BB1_627 Depth=1
	s_waitcnt vmcnt(0)
	v_add3_u32 v5, v4, s13, 2
.LBB1_714:                              ;   in Loop: Header=BB1_627 Depth=1
	v_add_co_u32 v6, vcc_lo, s15, v6
	v_add_co_ci_u32_e32 v7, vcc_lo, s30, v7, vcc_lo
	s_waitcnt vmcnt(0)
	global_store_b32 v[6:7], v5, off
.LBB1_715:                              ;   in Loop: Header=BB1_627 Depth=1
	;; [unrolled: 59-line block ×3, first 2 shown]
	s_or_b32 exec_lo, exec_lo, s6
	s_waitcnt vmcnt(0)
	v_cmp_gt_i32_e32 vcc_lo, 0, v0
	s_mov_b32 s6, exec_lo
	v_cndmask_b32_e64 v4, 0x7fffffff, 0, vcc_lo
	s_delay_alu instid0(VALU_DEP_1) | instskip(NEXT) | instid1(VALU_DEP_1)
	v_xor_b32_e32 v4, v4, v0
	v_and_b32_e32 v5, s5, v4
	v_lshl_add_u32 v4, v22, 2, s22
	s_delay_alu instid0(VALU_DEP_2)
	v_cmpx_le_u32_e64 v5, v27
	s_cbranch_execz .LBB1_731
; %bb.724:                              ;   in Loop: Header=BB1_627 Depth=1
	s_mov_b32 s10, exec_lo
	s_mov_b32 s7, exec_lo
	v_mbcnt_lo_u32_b32 v5, s10, 0
                                        ; implicit-def: $vgpr6
	s_delay_alu instid0(VALU_DEP_1)
	v_cmpx_eq_u32_e32 0, v5
	s_cbranch_execz .LBB1_726
; %bb.725:                              ;   in Loop: Header=BB1_627 Depth=1
	s_bcnt1_i32_b32 s10, s10
	s_delay_alu instid0(SALU_CYCLE_1)
	v_mov_b32_e32 v6, s10
	global_atomic_add_u32 v6, v28, v6, s[8:9] offset:384 glc
.LBB1_726:                              ;   in Loop: Header=BB1_627 Depth=1
	s_or_b32 exec_lo, exec_lo, s7
	s_waitcnt vmcnt(0)
	v_readfirstlane_b32 s7, v6
	s_delay_alu instid0(VALU_DEP_1) | instskip(NEXT) | instid1(VALU_DEP_1)
	v_add_nc_u32_e32 v5, s7, v5
	v_ashrrev_i32_e32 v6, 31, v5
	s_delay_alu instid0(VALU_DEP_1) | instskip(NEXT) | instid1(VALU_DEP_1)
	v_lshlrev_b64 v[6:7], 2, v[5:6]
	v_add_co_u32 v8, vcc_lo, s31, v6
	s_delay_alu instid0(VALU_DEP_2)
	v_add_co_ci_u32_e32 v9, vcc_lo, s33, v7, vcc_lo
	s_and_not1_b32 vcc_lo, exec_lo, s12
	global_store_b32 v[8:9], v0, off
	s_cbranch_vccnz .LBB1_728
; %bb.727:                              ;   in Loop: Header=BB1_627 Depth=1
	v_ashrrev_i32_e32 v5, 31, v4
	s_delay_alu instid0(VALU_DEP_1) | instskip(NEXT) | instid1(VALU_DEP_1)
	v_lshlrev_b64 v[8:9], 2, v[4:5]
	v_add_co_u32 v8, vcc_lo, s16, v8
	s_delay_alu instid0(VALU_DEP_2)
	v_add_co_ci_u32_e32 v9, vcc_lo, s17, v9, vcc_lo
	global_load_b32 v0, v[8:9], off
	s_cbranch_execz .LBB1_729
	s_branch .LBB1_730
.LBB1_728:                              ;   in Loop: Header=BB1_627 Depth=1
                                        ; implicit-def: $vgpr0
.LBB1_729:                              ;   in Loop: Header=BB1_627 Depth=1
	s_waitcnt vmcnt(0)
	v_add_nc_u32_e32 v0, s13, v4
.LBB1_730:                              ;   in Loop: Header=BB1_627 Depth=1
	v_add_co_u32 v5, vcc_lo, s15, v6
	v_add_co_ci_u32_e32 v6, vcc_lo, s30, v7, vcc_lo
	s_waitcnt vmcnt(0)
	global_store_b32 v[5:6], v0, off
.LBB1_731:                              ;   in Loop: Header=BB1_627 Depth=1
	s_or_b32 exec_lo, exec_lo, s6
	v_cmp_gt_i32_e32 vcc_lo, 0, v1
	s_mov_b32 s6, exec_lo
	v_cndmask_b32_e64 v0, 0x7fffffff, 0, vcc_lo
	s_delay_alu instid0(VALU_DEP_1) | instskip(NEXT) | instid1(VALU_DEP_1)
	v_xor_b32_e32 v0, v0, v1
	v_and_b32_e32 v0, s5, v0
	s_delay_alu instid0(VALU_DEP_1)
	v_cmpx_le_u32_e64 v0, v27
	s_cbranch_execz .LBB1_739
; %bb.732:                              ;   in Loop: Header=BB1_627 Depth=1
	s_mov_b32 s10, exec_lo
	s_mov_b32 s7, exec_lo
	v_mbcnt_lo_u32_b32 v0, s10, 0
                                        ; implicit-def: $vgpr5
	s_delay_alu instid0(VALU_DEP_1)
	v_cmpx_eq_u32_e32 0, v0
	s_cbranch_execz .LBB1_734
; %bb.733:                              ;   in Loop: Header=BB1_627 Depth=1
	s_bcnt1_i32_b32 s10, s10
	s_delay_alu instid0(SALU_CYCLE_1)
	v_mov_b32_e32 v5, s10
	global_atomic_add_u32 v5, v28, v5, s[8:9] offset:384 glc
.LBB1_734:                              ;   in Loop: Header=BB1_627 Depth=1
	s_or_b32 exec_lo, exec_lo, s7
	s_waitcnt vmcnt(0)
	v_readfirstlane_b32 s7, v5
	s_delay_alu instid0(VALU_DEP_1) | instskip(NEXT) | instid1(VALU_DEP_1)
	v_add_nc_u32_e32 v5, s7, v0
	v_ashrrev_i32_e32 v6, 31, v5
	s_delay_alu instid0(VALU_DEP_1) | instskip(NEXT) | instid1(VALU_DEP_1)
	v_lshlrev_b64 v[6:7], 2, v[5:6]
	v_add_co_u32 v8, vcc_lo, s31, v6
	s_delay_alu instid0(VALU_DEP_2)
	v_add_co_ci_u32_e32 v9, vcc_lo, s33, v7, vcc_lo
	s_and_not1_b32 vcc_lo, exec_lo, s12
	global_store_b32 v[8:9], v1, off
	s_cbranch_vccnz .LBB1_736
; %bb.735:                              ;   in Loop: Header=BB1_627 Depth=1
	v_ashrrev_i32_e32 v5, 31, v4
	s_delay_alu instid0(VALU_DEP_1) | instskip(NEXT) | instid1(VALU_DEP_1)
	v_lshlrev_b64 v[0:1], 2, v[4:5]
	v_add_co_u32 v0, vcc_lo, s14, v0
	s_delay_alu instid0(VALU_DEP_2)
	v_add_co_ci_u32_e32 v1, vcc_lo, s19, v1, vcc_lo
	global_load_b32 v0, v[0:1], off
	s_cbranch_execz .LBB1_737
	s_branch .LBB1_738
.LBB1_736:                              ;   in Loop: Header=BB1_627 Depth=1
                                        ; implicit-def: $vgpr0
.LBB1_737:                              ;   in Loop: Header=BB1_627 Depth=1
	s_waitcnt vmcnt(0)
	v_add3_u32 v0, v4, s13, 1
.LBB1_738:                              ;   in Loop: Header=BB1_627 Depth=1
	v_add_co_u32 v5, vcc_lo, s15, v6
	v_add_co_ci_u32_e32 v6, vcc_lo, s30, v7, vcc_lo
	s_waitcnt vmcnt(0)
	global_store_b32 v[5:6], v0, off
.LBB1_739:                              ;   in Loop: Header=BB1_627 Depth=1
	s_or_b32 exec_lo, exec_lo, s6
	v_cmp_gt_i32_e32 vcc_lo, 0, v2
	s_mov_b32 s6, exec_lo
	v_cndmask_b32_e64 v0, 0x7fffffff, 0, vcc_lo
	s_delay_alu instid0(VALU_DEP_1) | instskip(NEXT) | instid1(VALU_DEP_1)
	v_xor_b32_e32 v0, v0, v2
	v_and_b32_e32 v0, s5, v0
	s_delay_alu instid0(VALU_DEP_1)
	v_cmpx_le_u32_e64 v0, v27
	s_cbranch_execz .LBB1_747
; %bb.740:                              ;   in Loop: Header=BB1_627 Depth=1
	s_mov_b32 s10, exec_lo
	s_mov_b32 s7, exec_lo
	v_mbcnt_lo_u32_b32 v0, s10, 0
                                        ; implicit-def: $vgpr1
	s_delay_alu instid0(VALU_DEP_1)
	v_cmpx_eq_u32_e32 0, v0
	s_cbranch_execz .LBB1_742
; %bb.741:                              ;   in Loop: Header=BB1_627 Depth=1
	s_bcnt1_i32_b32 s10, s10
	s_delay_alu instid0(SALU_CYCLE_1)
	v_mov_b32_e32 v1, s10
	global_atomic_add_u32 v1, v28, v1, s[8:9] offset:384 glc
.LBB1_742:                              ;   in Loop: Header=BB1_627 Depth=1
	s_or_b32 exec_lo, exec_lo, s7
	s_waitcnt vmcnt(0)
	v_readfirstlane_b32 s7, v1
	s_delay_alu instid0(VALU_DEP_1) | instskip(NEXT) | instid1(VALU_DEP_1)
	v_add_nc_u32_e32 v0, s7, v0
	v_ashrrev_i32_e32 v1, 31, v0
	s_delay_alu instid0(VALU_DEP_1) | instskip(NEXT) | instid1(VALU_DEP_1)
	v_lshlrev_b64 v[0:1], 2, v[0:1]
	v_add_co_u32 v5, vcc_lo, s31, v0
	s_delay_alu instid0(VALU_DEP_2)
	v_add_co_ci_u32_e32 v6, vcc_lo, s33, v1, vcc_lo
	s_and_not1_b32 vcc_lo, exec_lo, s12
	global_store_b32 v[5:6], v2, off
	s_cbranch_vccnz .LBB1_744
; %bb.743:                              ;   in Loop: Header=BB1_627 Depth=1
	v_ashrrev_i32_e32 v5, 31, v4
	s_delay_alu instid0(VALU_DEP_1) | instskip(NEXT) | instid1(VALU_DEP_1)
	v_lshlrev_b64 v[5:6], 2, v[4:5]
	v_add_co_u32 v5, vcc_lo, s23, v5
	s_delay_alu instid0(VALU_DEP_2)
	v_add_co_ci_u32_e32 v6, vcc_lo, s36, v6, vcc_lo
	global_load_b32 v2, v[5:6], off
	s_cbranch_execz .LBB1_745
	s_branch .LBB1_746
.LBB1_744:                              ;   in Loop: Header=BB1_627 Depth=1
                                        ; implicit-def: $vgpr2
.LBB1_745:                              ;   in Loop: Header=BB1_627 Depth=1
	s_waitcnt vmcnt(0)
	v_add3_u32 v2, v4, s13, 2
.LBB1_746:                              ;   in Loop: Header=BB1_627 Depth=1
	v_add_co_u32 v0, vcc_lo, s15, v0
	v_add_co_ci_u32_e32 v1, vcc_lo, s30, v1, vcc_lo
	s_waitcnt vmcnt(0)
	global_store_b32 v[0:1], v2, off
.LBB1_747:                              ;   in Loop: Header=BB1_627 Depth=1
	s_or_b32 exec_lo, exec_lo, s6
	v_cmp_gt_i32_e32 vcc_lo, 0, v3
	s_mov_b32 s6, exec_lo
	v_cndmask_b32_e64 v0, 0x7fffffff, 0, vcc_lo
	s_delay_alu instid0(VALU_DEP_1) | instskip(NEXT) | instid1(VALU_DEP_1)
	v_xor_b32_e32 v0, v0, v3
	v_and_b32_e32 v0, s5, v0
	s_delay_alu instid0(VALU_DEP_1)
	v_cmpx_le_u32_e64 v0, v27
	s_cbranch_execz .LBB1_626
; %bb.748:                              ;   in Loop: Header=BB1_627 Depth=1
	s_mov_b32 s10, exec_lo
	s_mov_b32 s7, exec_lo
	v_mbcnt_lo_u32_b32 v0, s10, 0
                                        ; implicit-def: $vgpr1
	s_delay_alu instid0(VALU_DEP_1)
	v_cmpx_eq_u32_e32 0, v0
	s_cbranch_execz .LBB1_750
; %bb.749:                              ;   in Loop: Header=BB1_627 Depth=1
	s_bcnt1_i32_b32 s10, s10
	s_delay_alu instid0(SALU_CYCLE_1)
	v_mov_b32_e32 v1, s10
	global_atomic_add_u32 v1, v28, v1, s[8:9] offset:384 glc
.LBB1_750:                              ;   in Loop: Header=BB1_627 Depth=1
	s_or_b32 exec_lo, exec_lo, s7
	s_waitcnt vmcnt(0)
	v_readfirstlane_b32 s7, v1
	s_delay_alu instid0(VALU_DEP_1) | instskip(NEXT) | instid1(VALU_DEP_1)
	v_add_nc_u32_e32 v0, s7, v0
	v_ashrrev_i32_e32 v1, 31, v0
	s_delay_alu instid0(VALU_DEP_1) | instskip(NEXT) | instid1(VALU_DEP_1)
	v_lshlrev_b64 v[0:1], 2, v[0:1]
	v_add_co_u32 v5, vcc_lo, s31, v0
	s_delay_alu instid0(VALU_DEP_2)
	v_add_co_ci_u32_e32 v6, vcc_lo, s33, v1, vcc_lo
	s_and_not1_b32 vcc_lo, exec_lo, s12
	global_store_b32 v[5:6], v3, off
	s_cbranch_vccnz .LBB1_752
; %bb.751:                              ;   in Loop: Header=BB1_627 Depth=1
	v_ashrrev_i32_e32 v5, 31, v4
	s_delay_alu instid0(VALU_DEP_1) | instskip(NEXT) | instid1(VALU_DEP_1)
	v_lshlrev_b64 v[2:3], 2, v[4:5]
	v_add_co_u32 v2, vcc_lo, s37, v2
	s_delay_alu instid0(VALU_DEP_2)
	v_add_co_ci_u32_e32 v3, vcc_lo, s38, v3, vcc_lo
	global_load_b32 v2, v[2:3], off
	s_cbranch_execnz .LBB1_625
	s_branch .LBB1_624
.LBB1_752:                              ;   in Loop: Header=BB1_627 Depth=1
                                        ; implicit-def: $vgpr2
	s_branch .LBB1_624
.LBB1_753:
	s_or_b32 exec_lo, exec_lo, s4
	v_mov_b32_e32 v24, v20
.LBB1_754:
	s_or_b32 exec_lo, exec_lo, s3
	s_delay_alu instid0(SALU_CYCLE_1) | instskip(NEXT) | instid1(VALU_DEP_1)
	s_mov_b32 s3, exec_lo
	v_cmpx_gt_i32_e64 s20, v24
	s_cbranch_execz .LBB1_789
; %bb.755:
	v_lshl_add_u32 v4, v24, 2, s22
	v_mov_b32_e32 v8, 0
	s_lshl_b32 s4, -1, s2
	s_mov_b32 s5, 0
	s_branch .LBB1_759
.LBB1_756:                              ;   in Loop: Header=BB1_759 Depth=1
	s_waitcnt vmcnt(0)
	v_add3_u32 v2, s13, v4, 3
.LBB1_757:                              ;   in Loop: Header=BB1_759 Depth=1
	v_add_co_u32 v0, vcc_lo, s15, v0
	v_add_co_ci_u32_e32 v1, vcc_lo, s30, v1, vcc_lo
	s_waitcnt vmcnt(0)
	global_store_b32 v[0:1], v2, off
.LBB1_758:                              ;   in Loop: Header=BB1_759 Depth=1
	s_or_b32 exec_lo, exec_lo, s6
	v_add_nc_u32_e32 v24, s18, v24
	v_add_nc_u32_e32 v4, s35, v4
	s_delay_alu instid0(VALU_DEP_2) | instskip(SKIP_1) | instid1(SALU_CYCLE_1)
	v_cmp_le_i32_e32 vcc_lo, s20, v24
	s_or_b32 s5, vcc_lo, s5
	s_and_not1_b32 exec_lo, exec_lo, s5
	s_cbranch_execz .LBB1_789
.LBB1_759:                              ; =>This Inner Loop Header: Depth=1
	v_ashrrev_i32_e32 v25, 31, v24
	s_mov_b32 s6, exec_lo
	s_delay_alu instid0(VALU_DEP_1) | instskip(NEXT) | instid1(VALU_DEP_1)
	v_lshlrev_b64 v[0:1], 4, v[24:25]
	v_add_co_u32 v0, vcc_lo, s28, v0
	s_delay_alu instid0(VALU_DEP_2) | instskip(SKIP_4) | instid1(VALU_DEP_1)
	v_add_co_ci_u32_e32 v1, vcc_lo, s34, v1, vcc_lo
	global_load_b128 v[0:3], v[0:1], off
	s_waitcnt vmcnt(0)
	v_cmp_gt_i32_e32 vcc_lo, 0, v0
	v_cndmask_b32_e64 v5, 0x7fffffff, 0, vcc_lo
	v_xor_b32_e32 v5, v5, v0
	s_delay_alu instid0(VALU_DEP_1) | instskip(SKIP_1) | instid1(VALU_DEP_1)
	v_and_b32_e32 v5, s4, v5
	s_waitcnt lgkmcnt(0)
	v_cmpx_le_u32_e64 v5, v27
	s_cbranch_execz .LBB1_767
; %bb.760:                              ;   in Loop: Header=BB1_759 Depth=1
	s_mov_b32 s10, exec_lo
	s_mov_b32 s7, exec_lo
	v_mbcnt_lo_u32_b32 v5, s10, 0
                                        ; implicit-def: $vgpr6
	s_delay_alu instid0(VALU_DEP_1)
	v_cmpx_eq_u32_e32 0, v5
	s_cbranch_execz .LBB1_762
; %bb.761:                              ;   in Loop: Header=BB1_759 Depth=1
	s_bcnt1_i32_b32 s10, s10
	s_delay_alu instid0(SALU_CYCLE_1)
	v_mov_b32_e32 v6, s10
	global_atomic_add_u32 v6, v8, v6, s[8:9] offset:384 glc
.LBB1_762:                              ;   in Loop: Header=BB1_759 Depth=1
	s_or_b32 exec_lo, exec_lo, s7
	s_waitcnt vmcnt(0)
	v_readfirstlane_b32 s7, v6
	s_delay_alu instid0(VALU_DEP_1) | instskip(NEXT) | instid1(VALU_DEP_1)
	v_add_nc_u32_e32 v5, s7, v5
	v_ashrrev_i32_e32 v6, 31, v5
	s_delay_alu instid0(VALU_DEP_1) | instskip(NEXT) | instid1(VALU_DEP_1)
	v_lshlrev_b64 v[6:7], 2, v[5:6]
	v_add_co_u32 v9, vcc_lo, s31, v6
	s_delay_alu instid0(VALU_DEP_2)
	v_add_co_ci_u32_e32 v10, vcc_lo, s33, v7, vcc_lo
	s_and_not1_b32 vcc_lo, exec_lo, s12
	global_store_b32 v[9:10], v0, off
	s_cbranch_vccnz .LBB1_764
; %bb.763:                              ;   in Loop: Header=BB1_759 Depth=1
	v_ashrrev_i32_e32 v5, 31, v4
	s_delay_alu instid0(VALU_DEP_1) | instskip(NEXT) | instid1(VALU_DEP_1)
	v_lshlrev_b64 v[9:10], 2, v[4:5]
	v_add_co_u32 v9, vcc_lo, s16, v9
	s_delay_alu instid0(VALU_DEP_2)
	v_add_co_ci_u32_e32 v10, vcc_lo, s17, v10, vcc_lo
	global_load_b32 v0, v[9:10], off
	s_cbranch_execz .LBB1_765
	s_branch .LBB1_766
.LBB1_764:                              ;   in Loop: Header=BB1_759 Depth=1
                                        ; implicit-def: $vgpr0
.LBB1_765:                              ;   in Loop: Header=BB1_759 Depth=1
	s_waitcnt vmcnt(0)
	v_add_nc_u32_e32 v0, s13, v4
.LBB1_766:                              ;   in Loop: Header=BB1_759 Depth=1
	v_add_co_u32 v5, vcc_lo, s15, v6
	v_add_co_ci_u32_e32 v6, vcc_lo, s30, v7, vcc_lo
	s_waitcnt vmcnt(0)
	global_store_b32 v[5:6], v0, off
.LBB1_767:                              ;   in Loop: Header=BB1_759 Depth=1
	s_or_b32 exec_lo, exec_lo, s6
	v_cmp_gt_i32_e32 vcc_lo, 0, v1
	s_mov_b32 s6, exec_lo
	v_cndmask_b32_e64 v0, 0x7fffffff, 0, vcc_lo
	s_delay_alu instid0(VALU_DEP_1) | instskip(NEXT) | instid1(VALU_DEP_1)
	v_xor_b32_e32 v0, v0, v1
	v_and_b32_e32 v0, s4, v0
	s_delay_alu instid0(VALU_DEP_1)
	v_cmpx_le_u32_e64 v0, v27
	s_cbranch_execz .LBB1_775
; %bb.768:                              ;   in Loop: Header=BB1_759 Depth=1
	s_mov_b32 s10, exec_lo
	s_mov_b32 s7, exec_lo
	v_mbcnt_lo_u32_b32 v0, s10, 0
                                        ; implicit-def: $vgpr5
	s_delay_alu instid0(VALU_DEP_1)
	v_cmpx_eq_u32_e32 0, v0
	s_cbranch_execz .LBB1_770
; %bb.769:                              ;   in Loop: Header=BB1_759 Depth=1
	s_bcnt1_i32_b32 s10, s10
	s_delay_alu instid0(SALU_CYCLE_1)
	v_mov_b32_e32 v5, s10
	global_atomic_add_u32 v5, v8, v5, s[8:9] offset:384 glc
.LBB1_770:                              ;   in Loop: Header=BB1_759 Depth=1
	s_or_b32 exec_lo, exec_lo, s7
	s_waitcnt vmcnt(0)
	v_readfirstlane_b32 s7, v5
	s_delay_alu instid0(VALU_DEP_1) | instskip(NEXT) | instid1(VALU_DEP_1)
	v_add_nc_u32_e32 v5, s7, v0
	v_ashrrev_i32_e32 v6, 31, v5
	s_delay_alu instid0(VALU_DEP_1) | instskip(NEXT) | instid1(VALU_DEP_1)
	v_lshlrev_b64 v[6:7], 2, v[5:6]
	v_add_co_u32 v9, vcc_lo, s31, v6
	s_delay_alu instid0(VALU_DEP_2)
	v_add_co_ci_u32_e32 v10, vcc_lo, s33, v7, vcc_lo
	s_and_not1_b32 vcc_lo, exec_lo, s12
	global_store_b32 v[9:10], v1, off
	s_cbranch_vccnz .LBB1_772
; %bb.771:                              ;   in Loop: Header=BB1_759 Depth=1
	v_ashrrev_i32_e32 v5, 31, v4
	s_delay_alu instid0(VALU_DEP_1) | instskip(NEXT) | instid1(VALU_DEP_1)
	v_lshlrev_b64 v[0:1], 2, v[4:5]
	v_add_co_u32 v0, vcc_lo, s14, v0
	s_delay_alu instid0(VALU_DEP_2)
	v_add_co_ci_u32_e32 v1, vcc_lo, s19, v1, vcc_lo
	global_load_b32 v0, v[0:1], off
	s_cbranch_execz .LBB1_773
	s_branch .LBB1_774
.LBB1_772:                              ;   in Loop: Header=BB1_759 Depth=1
                                        ; implicit-def: $vgpr0
.LBB1_773:                              ;   in Loop: Header=BB1_759 Depth=1
	s_waitcnt vmcnt(0)
	v_add3_u32 v0, s13, v4, 1
.LBB1_774:                              ;   in Loop: Header=BB1_759 Depth=1
	v_add_co_u32 v5, vcc_lo, s15, v6
	v_add_co_ci_u32_e32 v6, vcc_lo, s30, v7, vcc_lo
	s_waitcnt vmcnt(0)
	global_store_b32 v[5:6], v0, off
.LBB1_775:                              ;   in Loop: Header=BB1_759 Depth=1
	s_or_b32 exec_lo, exec_lo, s6
	v_cmp_gt_i32_e32 vcc_lo, 0, v2
	s_mov_b32 s6, exec_lo
	v_cndmask_b32_e64 v0, 0x7fffffff, 0, vcc_lo
	s_delay_alu instid0(VALU_DEP_1) | instskip(NEXT) | instid1(VALU_DEP_1)
	v_xor_b32_e32 v0, v0, v2
	v_and_b32_e32 v0, s4, v0
	s_delay_alu instid0(VALU_DEP_1)
	v_cmpx_le_u32_e64 v0, v27
	s_cbranch_execz .LBB1_783
; %bb.776:                              ;   in Loop: Header=BB1_759 Depth=1
	s_mov_b32 s10, exec_lo
	s_mov_b32 s7, exec_lo
	v_mbcnt_lo_u32_b32 v0, s10, 0
                                        ; implicit-def: $vgpr1
	s_delay_alu instid0(VALU_DEP_1)
	v_cmpx_eq_u32_e32 0, v0
	s_cbranch_execz .LBB1_778
; %bb.777:                              ;   in Loop: Header=BB1_759 Depth=1
	s_bcnt1_i32_b32 s10, s10
	s_delay_alu instid0(SALU_CYCLE_1)
	v_mov_b32_e32 v1, s10
	global_atomic_add_u32 v1, v8, v1, s[8:9] offset:384 glc
.LBB1_778:                              ;   in Loop: Header=BB1_759 Depth=1
	s_or_b32 exec_lo, exec_lo, s7
	s_waitcnt vmcnt(0)
	v_readfirstlane_b32 s7, v1
	s_delay_alu instid0(VALU_DEP_1) | instskip(NEXT) | instid1(VALU_DEP_1)
	v_add_nc_u32_e32 v0, s7, v0
	v_ashrrev_i32_e32 v1, 31, v0
	s_delay_alu instid0(VALU_DEP_1) | instskip(NEXT) | instid1(VALU_DEP_1)
	v_lshlrev_b64 v[0:1], 2, v[0:1]
	v_add_co_u32 v5, vcc_lo, s31, v0
	s_delay_alu instid0(VALU_DEP_2)
	v_add_co_ci_u32_e32 v6, vcc_lo, s33, v1, vcc_lo
	s_and_not1_b32 vcc_lo, exec_lo, s12
	global_store_b32 v[5:6], v2, off
	s_cbranch_vccnz .LBB1_780
; %bb.779:                              ;   in Loop: Header=BB1_759 Depth=1
	v_ashrrev_i32_e32 v5, 31, v4
	s_delay_alu instid0(VALU_DEP_1) | instskip(NEXT) | instid1(VALU_DEP_1)
	v_lshlrev_b64 v[5:6], 2, v[4:5]
	v_add_co_u32 v5, vcc_lo, s23, v5
	s_delay_alu instid0(VALU_DEP_2)
	v_add_co_ci_u32_e32 v6, vcc_lo, s36, v6, vcc_lo
	global_load_b32 v2, v[5:6], off
	s_cbranch_execz .LBB1_781
	s_branch .LBB1_782
.LBB1_780:                              ;   in Loop: Header=BB1_759 Depth=1
                                        ; implicit-def: $vgpr2
.LBB1_781:                              ;   in Loop: Header=BB1_759 Depth=1
	s_waitcnt vmcnt(0)
	v_add3_u32 v2, s13, v4, 2
.LBB1_782:                              ;   in Loop: Header=BB1_759 Depth=1
	v_add_co_u32 v0, vcc_lo, s15, v0
	v_add_co_ci_u32_e32 v1, vcc_lo, s30, v1, vcc_lo
	s_waitcnt vmcnt(0)
	global_store_b32 v[0:1], v2, off
.LBB1_783:                              ;   in Loop: Header=BB1_759 Depth=1
	s_or_b32 exec_lo, exec_lo, s6
	v_cmp_gt_i32_e32 vcc_lo, 0, v3
	s_mov_b32 s6, exec_lo
	v_cndmask_b32_e64 v0, 0x7fffffff, 0, vcc_lo
	s_delay_alu instid0(VALU_DEP_1) | instskip(NEXT) | instid1(VALU_DEP_1)
	v_xor_b32_e32 v0, v0, v3
	v_and_b32_e32 v0, s4, v0
	s_delay_alu instid0(VALU_DEP_1)
	v_cmpx_le_u32_e64 v0, v27
	s_cbranch_execz .LBB1_758
; %bb.784:                              ;   in Loop: Header=BB1_759 Depth=1
	s_mov_b32 s10, exec_lo
	s_mov_b32 s7, exec_lo
	v_mbcnt_lo_u32_b32 v0, s10, 0
                                        ; implicit-def: $vgpr1
	s_delay_alu instid0(VALU_DEP_1)
	v_cmpx_eq_u32_e32 0, v0
	s_cbranch_execz .LBB1_786
; %bb.785:                              ;   in Loop: Header=BB1_759 Depth=1
	s_bcnt1_i32_b32 s10, s10
	s_delay_alu instid0(SALU_CYCLE_1)
	v_mov_b32_e32 v1, s10
	global_atomic_add_u32 v1, v8, v1, s[8:9] offset:384 glc
.LBB1_786:                              ;   in Loop: Header=BB1_759 Depth=1
	s_or_b32 exec_lo, exec_lo, s7
	s_waitcnt vmcnt(0)
	v_readfirstlane_b32 s7, v1
	s_delay_alu instid0(VALU_DEP_1) | instskip(NEXT) | instid1(VALU_DEP_1)
	v_add_nc_u32_e32 v0, s7, v0
	v_ashrrev_i32_e32 v1, 31, v0
	s_delay_alu instid0(VALU_DEP_1) | instskip(NEXT) | instid1(VALU_DEP_1)
	v_lshlrev_b64 v[0:1], 2, v[0:1]
	v_add_co_u32 v5, vcc_lo, s31, v0
	s_delay_alu instid0(VALU_DEP_2)
	v_add_co_ci_u32_e32 v6, vcc_lo, s33, v1, vcc_lo
	s_and_not1_b32 vcc_lo, exec_lo, s12
	global_store_b32 v[5:6], v3, off
	s_cbranch_vccnz .LBB1_788
; %bb.787:                              ;   in Loop: Header=BB1_759 Depth=1
	v_ashrrev_i32_e32 v5, 31, v4
	s_delay_alu instid0(VALU_DEP_1) | instskip(NEXT) | instid1(VALU_DEP_1)
	v_lshlrev_b64 v[2:3], 2, v[4:5]
	v_add_co_u32 v2, vcc_lo, s37, v2
	s_delay_alu instid0(VALU_DEP_2)
	v_add_co_ci_u32_e32 v3, vcc_lo, s38, v3, vcc_lo
	global_load_b32 v2, v[2:3], off
	s_cbranch_execnz .LBB1_757
	s_branch .LBB1_756
.LBB1_788:                              ;   in Loop: Header=BB1_759 Depth=1
                                        ; implicit-def: $vgpr2
	s_branch .LBB1_756
.LBB1_789:
	s_or_b32 exec_lo, exec_lo, s3
	s_and_saveexec_b32 s3, s1
	s_cbranch_execz .LBB1_796
; %bb.790:
	global_load_b32 v2, v[18:19], off
	s_lshl_b32 s1, -1, s2
	s_waitcnt vmcnt(0)
	v_cmp_gt_i32_e32 vcc_lo, 0, v2
	v_cndmask_b32_e64 v0, 0x7fffffff, 0, vcc_lo
	s_delay_alu instid0(VALU_DEP_1) | instskip(NEXT) | instid1(VALU_DEP_1)
	v_xor_b32_e32 v0, v0, v2
	v_and_b32_e32 v0, s1, v0
	s_waitcnt lgkmcnt(0)
	s_delay_alu instid0(VALU_DEP_1)
	v_cmp_le_u32_e32 vcc_lo, v0, v27
	s_and_b32 exec_lo, exec_lo, vcc_lo
	s_cbranch_execz .LBB1_796
; %bb.791:
	s_mov_b32 s4, exec_lo
	s_mov_b32 s1, exec_lo
	v_mbcnt_lo_u32_b32 v0, s4, 0
                                        ; implicit-def: $vgpr1
	s_delay_alu instid0(VALU_DEP_1)
	v_cmpx_eq_u32_e32 0, v0
	s_cbranch_execz .LBB1_793
; %bb.792:
	s_bcnt1_i32_b32 s4, s4
	v_mov_b32_e32 v1, 0
	v_mov_b32_e32 v3, s4
	global_atomic_add_u32 v1, v1, v3, s[8:9] offset:384 glc
.LBB1_793:
	s_or_b32 exec_lo, exec_lo, s1
	s_waitcnt vmcnt(0)
	v_readfirstlane_b32 s1, v1
	s_delay_alu instid0(VALU_DEP_1) | instskip(NEXT) | instid1(VALU_DEP_1)
	v_add_nc_u32_e32 v0, s1, v0
	v_ashrrev_i32_e32 v1, 31, v0
	s_delay_alu instid0(VALU_DEP_1) | instskip(NEXT) | instid1(VALU_DEP_1)
	v_lshlrev_b64 v[0:1], 2, v[0:1]
	v_add_co_u32 v3, vcc_lo, s31, v0
	s_delay_alu instid0(VALU_DEP_2)
	v_add_co_ci_u32_e32 v4, vcc_lo, s33, v1, vcc_lo
	s_and_not1_b32 vcc_lo, exec_lo, s12
	global_store_b32 v[3:4], v2, off
	s_cbranch_vccnz .LBB1_795
; %bb.794:
	global_load_b32 v44, v[16:17], off
.LBB1_795:
	v_add_co_u32 v0, vcc_lo, s15, v0
	v_add_co_ci_u32_e32 v1, vcc_lo, s30, v1, vcc_lo
	s_waitcnt vmcnt(0)
	global_store_b32 v[0:1], v44, off
.LBB1_796:
	s_or_b32 exec_lo, exec_lo, s3
	s_and_saveexec_b32 s1, s0
	s_cbranch_execz .LBB1_803
; %bb.797:
	global_load_b32 v2, v[14:15], off
	s_lshl_b32 s0, -1, s2
	s_waitcnt vmcnt(0)
	v_cmp_gt_i32_e32 vcc_lo, 0, v2
	v_cndmask_b32_e64 v0, 0x7fffffff, 0, vcc_lo
	s_delay_alu instid0(VALU_DEP_1) | instskip(NEXT) | instid1(VALU_DEP_1)
	v_xor_b32_e32 v0, v0, v2
	v_and_b32_e32 v0, s0, v0
	s_waitcnt lgkmcnt(0)
	s_delay_alu instid0(VALU_DEP_1)
	v_cmp_le_u32_e32 vcc_lo, v0, v27
	s_and_b32 exec_lo, exec_lo, vcc_lo
	s_cbranch_execz .LBB1_803
; %bb.798:
	s_mov_b32 s1, exec_lo
	s_mov_b32 s0, exec_lo
	v_mbcnt_lo_u32_b32 v0, s1, 0
                                        ; implicit-def: $vgpr1
	s_delay_alu instid0(VALU_DEP_1)
	v_cmpx_eq_u32_e32 0, v0
	s_cbranch_execz .LBB1_800
; %bb.799:
	s_bcnt1_i32_b32 s1, s1
	v_mov_b32_e32 v1, 0
	v_mov_b32_e32 v3, s1
	global_atomic_add_u32 v1, v1, v3, s[8:9] offset:384 glc
.LBB1_800:
	s_or_b32 exec_lo, exec_lo, s0
	s_waitcnt vmcnt(0)
	v_readfirstlane_b32 s0, v1
	s_delay_alu instid0(VALU_DEP_1) | instskip(NEXT) | instid1(VALU_DEP_1)
	v_add_nc_u32_e32 v0, s0, v0
	v_ashrrev_i32_e32 v1, 31, v0
	s_delay_alu instid0(VALU_DEP_1) | instskip(NEXT) | instid1(VALU_DEP_1)
	v_lshlrev_b64 v[0:1], 2, v[0:1]
	v_add_co_u32 v3, vcc_lo, s31, v0
	s_delay_alu instid0(VALU_DEP_2)
	v_add_co_ci_u32_e32 v4, vcc_lo, s33, v1, vcc_lo
	s_and_not1_b32 vcc_lo, exec_lo, s12
	global_store_b32 v[3:4], v2, off
	s_cbranch_vccnz .LBB1_802
; %bb.801:
	global_load_b32 v43, v[12:13], off
.LBB1_802:
	v_add_co_u32 v0, vcc_lo, s15, v0
	v_add_co_ci_u32_e32 v1, vcc_lo, s30, v1, vcc_lo
	s_waitcnt vmcnt(0)
	global_store_b32 v[0:1], v43, off
.LBB1_803:
	s_nop 0
	s_sendmsg sendmsg(MSG_DEALLOC_VGPRS)
	s_endpgm
	.section	.rodata,"a",@progbits
	.p2align	6, 0x0
	.amdhsa_kernel _ZN5aiter2mb23radix_kernel_persistentIfiLi11ELi1024ELb1ELb0ELNS0_5PhaseE0EEEvPKT_PKT0_PS3_PS6_PNS0_7CounterIS3_S6_EESA_S6_S8_S8_S6_S6_b
		.amdhsa_group_segment_fixed_size 16912
		.amdhsa_private_segment_fixed_size 0
		.amdhsa_kernarg_size 344
		.amdhsa_user_sgpr_count 14
		.amdhsa_user_sgpr_dispatch_ptr 0
		.amdhsa_user_sgpr_queue_ptr 0
		.amdhsa_user_sgpr_kernarg_segment_ptr 1
		.amdhsa_user_sgpr_dispatch_id 0
		.amdhsa_user_sgpr_private_segment_size 0
		.amdhsa_wavefront_size32 1
		.amdhsa_uses_dynamic_stack 0
		.amdhsa_enable_private_segment 0
		.amdhsa_system_sgpr_workgroup_id_x 1
		.amdhsa_system_sgpr_workgroup_id_y 1
		.amdhsa_system_sgpr_workgroup_id_z 0
		.amdhsa_system_sgpr_workgroup_info 0
		.amdhsa_system_vgpr_workitem_id 2
		.amdhsa_next_free_vgpr 74
		.amdhsa_next_free_sgpr 55
		.amdhsa_reserve_vcc 1
		.amdhsa_float_round_mode_32 0
		.amdhsa_float_round_mode_16_64 0
		.amdhsa_float_denorm_mode_32 3
		.amdhsa_float_denorm_mode_16_64 3
		.amdhsa_dx10_clamp 1
		.amdhsa_ieee_mode 1
		.amdhsa_fp16_overflow 0
		.amdhsa_workgroup_processor_mode 1
		.amdhsa_memory_ordered 1
		.amdhsa_forward_progress 0
		.amdhsa_shared_vgpr_count 0
		.amdhsa_exception_fp_ieee_invalid_op 0
		.amdhsa_exception_fp_denorm_src 0
		.amdhsa_exception_fp_ieee_div_zero 0
		.amdhsa_exception_fp_ieee_overflow 0
		.amdhsa_exception_fp_ieee_underflow 0
		.amdhsa_exception_fp_ieee_inexact 0
		.amdhsa_exception_int_div_zero 0
	.end_amdhsa_kernel
	.section	.text._ZN5aiter2mb23radix_kernel_persistentIfiLi11ELi1024ELb1ELb0ELNS0_5PhaseE0EEEvPKT_PKT0_PS3_PS6_PNS0_7CounterIS3_S6_EESA_S6_S8_S8_S6_S6_b,"axG",@progbits,_ZN5aiter2mb23radix_kernel_persistentIfiLi11ELi1024ELb1ELb0ELNS0_5PhaseE0EEEvPKT_PKT0_PS3_PS6_PNS0_7CounterIS3_S6_EESA_S6_S8_S8_S6_S6_b,comdat
.Lfunc_end1:
	.size	_ZN5aiter2mb23radix_kernel_persistentIfiLi11ELi1024ELb1ELb0ELNS0_5PhaseE0EEEvPKT_PKT0_PS3_PS6_PNS0_7CounterIS3_S6_EESA_S6_S8_S8_S6_S6_b, .Lfunc_end1-_ZN5aiter2mb23radix_kernel_persistentIfiLi11ELi1024ELb1ELb0ELNS0_5PhaseE0EEEvPKT_PKT0_PS3_PS6_PNS0_7CounterIS3_S6_EESA_S6_S8_S8_S6_S6_b
                                        ; -- End function
	.section	.AMDGPU.csdata,"",@progbits
; Kernel info:
; codeLenInByte = 26020
; NumSgprs: 57
; NumVgprs: 74
; ScratchSize: 0
; MemoryBound: 0
; FloatMode: 240
; IeeeMode: 1
; LDSByteSize: 16912 bytes/workgroup (compile time only)
; SGPRBlocks: 7
; VGPRBlocks: 9
; NumSGPRsForWavesPerEU: 57
; NumVGPRsForWavesPerEU: 74
; Occupancy: 16
; WaveLimiterHint : 0
; COMPUTE_PGM_RSRC2:SCRATCH_EN: 0
; COMPUTE_PGM_RSRC2:USER_SGPR: 14
; COMPUTE_PGM_RSRC2:TRAP_HANDLER: 0
; COMPUTE_PGM_RSRC2:TGID_X_EN: 1
; COMPUTE_PGM_RSRC2:TGID_Y_EN: 1
; COMPUTE_PGM_RSRC2:TGID_Z_EN: 0
; COMPUTE_PGM_RSRC2:TIDIG_COMP_CNT: 2
	.section	.text._ZN5aiter2mb23radix_kernel_persistentIfiLi10ELi1024ELb1ELb0ELNS0_5PhaseE0EEEvPKT_PKT0_PS3_PS6_PNS0_7CounterIS3_S6_EESA_S6_S8_S8_S6_S6_b,"axG",@progbits,_ZN5aiter2mb23radix_kernel_persistentIfiLi10ELi1024ELb1ELb0ELNS0_5PhaseE0EEEvPKT_PKT0_PS3_PS6_PNS0_7CounterIS3_S6_EESA_S6_S8_S8_S6_S6_b,comdat
	.protected	_ZN5aiter2mb23radix_kernel_persistentIfiLi10ELi1024ELb1ELb0ELNS0_5PhaseE0EEEvPKT_PKT0_PS3_PS6_PNS0_7CounterIS3_S6_EESA_S6_S8_S8_S6_S6_b ; -- Begin function _ZN5aiter2mb23radix_kernel_persistentIfiLi10ELi1024ELb1ELb0ELNS0_5PhaseE0EEEvPKT_PKT0_PS3_PS6_PNS0_7CounterIS3_S6_EESA_S6_S8_S8_S6_S6_b
	.globl	_ZN5aiter2mb23radix_kernel_persistentIfiLi10ELi1024ELb1ELb0ELNS0_5PhaseE0EEEvPKT_PKT0_PS3_PS6_PNS0_7CounterIS3_S6_EESA_S6_S8_S8_S6_S6_b
	.p2align	8
	.type	_ZN5aiter2mb23radix_kernel_persistentIfiLi10ELi1024ELb1ELb0ELNS0_5PhaseE0EEEvPKT_PKT0_PS3_PS6_PNS0_7CounterIS3_S6_EESA_S6_S8_S8_S6_S6_b,@function
_ZN5aiter2mb23radix_kernel_persistentIfiLi10ELi1024ELb1ELb0ELNS0_5PhaseE0EEEvPKT_PKT0_PS3_PS6_PNS0_7CounterIS3_S6_EESA_S6_S8_S8_S6_S6_b: ; @_ZN5aiter2mb23radix_kernel_persistentIfiLi10ELi1024ELb1ELb0ELNS0_5PhaseE0EEEvPKT_PKT0_PS3_PS6_PNS0_7CounterIS3_S6_EESA_S6_S8_S8_S6_S6_b
; %bb.0:
	s_clause 0x1
	s_load_b128 s[4:7], s[0:1], 0x38
	s_load_b32 s3, s[0:1], 0x30
	s_mov_b32 s12, 0
	s_mov_b32 s18, s15
	;; [unrolled: 1-line block ×3, first 2 shown]
	s_waitcnt lgkmcnt(0)
	s_cmp_lg_u64 s[4:5], 0
	s_mov_b32 s33, s3
	s_cselect_b32 s2, -1, 0
	s_cmp_eq_u64 s[4:5], 0
	s_cselect_b32 s8, -1, 0
	s_cmp_eq_u64 s[6:7], 0
	s_cselect_b32 s9, -1, 0
	s_delay_alu instid0(SALU_CYCLE_1) | instskip(NEXT) | instid1(SALU_CYCLE_1)
	s_or_b32 s8, s8, s9
	s_and_b32 vcc_lo, exec_lo, s8
	s_cbranch_vccnz .LBB2_2
; %bb.1:
	s_lshl_b64 s[8:9], s[18:19], 2
	s_delay_alu instid0(SALU_CYCLE_1)
	s_add_u32 s10, s4, s8
	s_addc_u32 s11, s5, s9
	s_add_u32 s6, s6, s8
	s_addc_u32 s7, s7, s9
	s_load_b32 s6, s[6:7], 0x0
	s_load_b32 s7, s[10:11], 0x0
	s_waitcnt lgkmcnt(0)
	s_sub_i32 s33, s6, s7
.LBB2_2:
	s_and_not1_b32 vcc_lo, exec_lo, s2
	s_cbranch_vccnz .LBB2_4
; %bb.3:
	s_lshl_b64 s[6:7], s[18:19], 2
	s_delay_alu instid0(SALU_CYCLE_1)
	s_add_u32 s4, s4, s6
	s_addc_u32 s5, s5, s7
	s_load_b32 s12, s[4:5], 0x0
.LBB2_4:
	s_clause 0x1
	s_load_b32 s39, s[0:1], 0x48
	s_load_b32 s20, s[0:1], 0x64
	v_and_b32_e32 v26, 0x3ff, v0
	s_add_u32 s24, s0, 0x58
	s_addc_u32 s25, s1, 0
	s_delay_alu instid0(VALU_DEP_1) | instskip(NEXT) | instid1(VALU_DEP_1)
	v_cmp_eq_u32_e64 s2, 0, v26
	s_and_saveexec_b32 s4, s2
	s_cbranch_execz .LBB2_6
; %bb.5:
	s_waitcnt lgkmcnt(0)
	v_dual_mov_b32 v1, 0 :: v_dual_mov_b32 v2, s39
	v_mov_b32_e32 v3, s33
	ds_store_b96 v1, v[1:3] offset:8576
.LBB2_6:
	s_or_b32 exec_lo, exec_lo, s4
	s_load_b256 s[4:11], s[0:1], 0x0
	s_ashr_i32 s13, s3, 31
	s_mul_hi_u32 s15, s3, s18
	s_mul_i32 s13, s13, s18
	s_mul_i32 s16, s3, s18
	s_add_i32 s17, s15, s13
	s_load_b32 s45, s[0:1], 0x58
	s_lshl_b64 s[16:17], s[16:17], 2
	s_waitcnt lgkmcnt(0)
	s_barrier
	buffer_gl0_inv
	s_add_u32 s3, s4, s16
	s_addc_u32 s15, s5, s17
	s_ashr_i32 s13, s12, 31
	s_delay_alu instid0(SALU_CYCLE_1) | instskip(NEXT) | instid1(SALU_CYCLE_1)
	s_lshl_b64 s[4:5], s[12:13], 2
	s_add_u32 s34, s3, s4
	s_addc_u32 s35, s15, s5
	s_add_u32 s3, s6, s16
	s_addc_u32 s13, s7, s17
	;; [unrolled: 2-line block ×3, first 2 shown]
	s_cmp_lg_u64 s[6:7], 0
	s_mul_hi_u32 s5, s39, s18
	s_cselect_b32 s17, s4, 0
	s_cselect_b32 s16, s3, 0
	s_ashr_i32 s3, s39, 31
	s_mul_i32 s4, s39, s18
	s_mul_i32 s3, s3, s18
	s_delay_alu instid0(SALU_CYCLE_1) | instskip(NEXT) | instid1(SALU_CYCLE_1)
	s_add_i32 s5, s5, s3
	s_lshl_b64 s[4:5], s[4:5], 2
	s_delay_alu instid0(SALU_CYCLE_1)
	s_add_u32 s28, s8, s4
	s_addc_u32 s29, s9, s5
	s_add_u32 s13, s10, s4
	s_addc_u32 s15, s11, s5
	s_and_b32 s40, 0xffff, s20
	s_cmp_le_i32 s33, s39
	s_mov_b32 s4, -1
	s_cbranch_scc0 .LBB2_18
; %bb.7:
	v_cmp_gt_i32_e32 vcc_lo, s39, v26
	s_cmp_eq_u32 s14, 0
	s_mov_b32 s4, 0
	s_cselect_b32 s3, -1, 0
	s_delay_alu instid0(SALU_CYCLE_1) | instskip(NEXT) | instid1(SALU_CYCLE_1)
	s_and_b32 s3, s3, vcc_lo
	s_and_saveexec_b32 s5, s3
	s_cbranch_execz .LBB2_17
; %bb.8:
	v_mov_b32_e32 v1, v26
	s_cmp_lg_u64 s[16:17], 0
	s_mov_b32 s7, 0
	s_cselect_b32 s6, -1, 0
	s_branch .LBB2_10
.LBB2_9:                                ;   in Loop: Header=BB2_10 Depth=1
	s_or_b32 exec_lo, exec_lo, s8
	v_add_nc_u32_e32 v1, s40, v1
	v_add_co_u32 v2, s3, s28, v2
	s_delay_alu instid0(VALU_DEP_1) | instskip(NEXT) | instid1(VALU_DEP_3)
	v_add_co_ci_u32_e64 v3, s3, s29, v3, s3
	v_cmp_le_i32_e32 vcc_lo, s39, v1
	s_waitcnt vmcnt(0)
	global_store_b32 v[2:3], v5, off
	s_or_b32 s7, vcc_lo, s7
	s_delay_alu instid0(SALU_CYCLE_1)
	s_and_not1_b32 exec_lo, exec_lo, s7
	s_cbranch_execz .LBB2_17
.LBB2_10:                               ; =>This Inner Loop Header: Depth=1
	v_cmp_gt_i32_e64 s3, s33, v1
	v_mov_b32_e32 v4, -1
	s_delay_alu instid0(VALU_DEP_2)
	s_and_saveexec_b32 s8, s3
	s_cbranch_execz .LBB2_14
; %bb.11:                               ;   in Loop: Header=BB2_10 Depth=1
	s_and_not1_b32 vcc_lo, exec_lo, s6
	s_cbranch_vccnz .LBB2_16
; %bb.12:                               ;   in Loop: Header=BB2_10 Depth=1
	v_ashrrev_i32_e32 v2, 31, v1
	s_delay_alu instid0(VALU_DEP_1) | instskip(NEXT) | instid1(VALU_DEP_1)
	v_lshlrev_b64 v[2:3], 2, v[1:2]
	v_add_co_u32 v2, vcc_lo, s16, v2
	s_delay_alu instid0(VALU_DEP_2)
	v_add_co_ci_u32_e32 v3, vcc_lo, s17, v3, vcc_lo
	global_load_b32 v4, v[2:3], off
	s_cbranch_execnz .LBB2_14
.LBB2_13:                               ;   in Loop: Header=BB2_10 Depth=1
	s_waitcnt vmcnt(0)
	v_add_nc_u32_e32 v4, s12, v1
.LBB2_14:                               ;   in Loop: Header=BB2_10 Depth=1
	s_or_b32 exec_lo, exec_lo, s8
	v_ashrrev_i32_e32 v2, 31, v1
	v_mov_b32_e32 v5, 0
	s_delay_alu instid0(VALU_DEP_2) | instskip(NEXT) | instid1(VALU_DEP_1)
	v_lshlrev_b64 v[2:3], 2, v[1:2]
	v_add_co_u32 v6, vcc_lo, s13, v2
	s_delay_alu instid0(VALU_DEP_2)
	v_add_co_ci_u32_e32 v7, vcc_lo, s15, v3, vcc_lo
	s_waitcnt vmcnt(0)
	global_store_b32 v[6:7], v4, off
	s_and_saveexec_b32 s8, s3
	s_cbranch_execz .LBB2_9
; %bb.15:                               ;   in Loop: Header=BB2_10 Depth=1
	v_add_co_u32 v4, vcc_lo, s34, v2
	v_add_co_ci_u32_e32 v5, vcc_lo, s35, v3, vcc_lo
	global_load_b32 v5, v[4:5], off
	s_branch .LBB2_9
.LBB2_16:                               ;   in Loop: Header=BB2_10 Depth=1
                                        ; implicit-def: $vgpr4
	s_branch .LBB2_13
.LBB2_17:
	s_or_b32 exec_lo, exec_lo, s5
.LBB2_18:
	s_delay_alu instid0(SALU_CYCLE_1)
	s_and_not1_b32 vcc_lo, exec_lo, s4
	s_cbranch_vccnz .LBB2_801
; %bb.19:
	s_load_b128 s[4:7], s[0:1], 0x20
	s_mul_i32 s1, s18, 0x300
	s_mul_hi_u32 s0, s18, 0x300
	s_mov_b32 s27, 0
	v_lshrrev_b32_e32 v1, 3, v26
	v_mov_b32_e32 v27, 0
	s_mul_hi_u32 s11, s40, s45
	s_mul_i32 s10, s40, s45
	s_mul_i32 s3, s11, 3
	v_and_b32_e32 v6, 0x7c, v1
	v_mad_u64_u32 v[24:25], null, s40, s14, v[26:27]
	s_mov_b64 s[46:47], src_shared_base
	s_mul_i32 s37, s10, 3
	v_mov_b32_e32 v29, s47
	v_bfe_u32 v43, v0, 20, 10
	v_bfe_u32 v44, v0, 10, 10
	v_dual_mov_b32 v0, v27 :: v_dual_lshlrev_b32 v45, 2, v26
	v_mov_b32_e32 v20, v24
	s_waitcnt lgkmcnt(0)
	s_add_u32 s8, s4, s1
	s_addc_u32 s9, s5, s0
	s_and_b32 s26, s34, 15
	s_lshl_b64 s[50:51], s[18:19], 14
	s_sub_i32 s0, 16, s26
	s_mul_hi_u32 s4, s10, 3
	s_lshr_b32 s0, s0, 2
	s_cmp_lg_u64 s[26:27], 0
	v_ashrrev_i32_e32 v21, 31, v24
	s_cselect_b32 s0, s0, 0
	v_lshlrev_b64 v[2:3], 2, v[24:25]
	s_min_i32 s20, s0, s33
	v_add_co_u32 v22, vcc_lo, v20, s37
	s_ashr_i32 s21, s20, 31
	v_dual_mov_b32 v1, v24 :: v_dual_add_nc_u32 v28, 0x1080, v45
	s_lshl_b64 s[0:1], s[20:21], 2
	v_dual_mov_b32 v47, 0x2184 :: v_dual_add_nc_u32 v42, s12, v24
	s_add_u32 s26, s34, s0
	s_addc_u32 s30, s35, s1
	s_sub_i32 s0, s33, s20
	s_lshl_b64 s[22:23], s[10:11], 4
	s_ashr_i32 s1, s0, 31
	s_lshl_b32 s31, s10, 2
	s_lshr_b32 s1, s1, 30
	s_add_i32 s38, s4, s3
	s_add_i32 s0, s0, s1
	v_add_co_ci_u32_e32 v23, vcc_lo, s38, v21, vcc_lo
	s_ashr_i32 s18, s0, 2
	v_add_co_u32 v18, vcc_lo, s34, v2
	s_ashr_i32 s19, s18, 31
	s_add_u32 s41, s26, s22
	s_addc_u32 s42, s30, s23
	s_add_u32 s43, s41, s22
	s_addc_u32 s44, s42, s23
	s_and_b32 s0, s0, -4
	s_add_i32 s45, s45, -1
	v_add3_u32 v4, s0, s20, v24
	s_lshl_b32 s46, s40, 8
	v_add_co_ci_u32_e32 v19, vcc_lo, s35, v3, vcc_lo
	s_cmp_eq_u64 s[16:17], 0
	s_delay_alu instid0(VALU_DEP_2)
	v_ashrrev_i32_e32 v5, 31, v4
	s_cselect_b32 s47, -1, 0
	s_cmp_lg_u64 s[16:17], 0
	v_ashrrev_i64 v[0:1], 30, v[0:1]
	v_cmp_gt_u64_e64 s1, s[20:21], v[24:25]
	v_lshlrev_b64 v[2:3], 2, v[4:5]
	v_dual_mov_b32 v48, 1 :: v_dual_add_nc_u32 v25, v45, v6
	v_or_b32_e32 v6, s14, v26
	s_cselect_b32 s11, -1, 0
	s_add_u32 s14, s16, 4
	s_addc_u32 s21, s17, 0
	v_cmp_gt_i32_e64 s0, s33, v4
	v_add_co_u32 v14, vcc_lo, s34, v2
	s_add_u32 s33, s16, 8
	s_addc_u32 s34, s17, 0
	v_add_co_ci_u32_e32 v15, vcc_lo, s35, v3, vcc_lo
	s_add_u32 s35, s16, 12
	v_lshlrev_b32_e32 v5, 7, v26
	v_add_co_u32 v16, vcc_lo, s16, v0
	s_addc_u32 s36, s17, 0
	s_lshl_b32 s48, s40, 2
	s_add_u32 s6, s6, s50
	v_add_co_ci_u32_e32 v17, vcc_lo, s17, v1, vcc_lo
	v_add_co_u32 v12, vcc_lo, s16, v2
	s_addc_u32 s7, s7, s51
	v_add_co_u32 v30, s6, s6, v45
	v_cmp_gt_u64_e64 s3, s[18:19], v[22:23]
	v_cmp_gt_u32_e64 s4, 32, v26
	v_cmp_eq_u32_e64 s5, 0, v6
	v_add_co_ci_u32_e32 v13, vcc_lo, s17, v3, vcc_lo
	v_add_nc_u32_e32 v41, s12, v4
	v_add_co_ci_u32_e64 v31, null, s7, 0, s6
	v_add_nc_u32_e32 v46, 0x107c, v45
	v_add_nc_u32_e32 v49, v45, v5
	v_mbcnt_lo_u32_b32 v50, -1, 0
	s_branch .LBB2_22
.LBB2_20:                               ;   in Loop: Header=BB2_22 Depth=1
	s_mov_b32 s6, -1
	s_mov_b32 s49, -1
                                        ; implicit-def: $sgpr27
                                        ; implicit-def: $vgpr30_vgpr31
                                        ; implicit-def: $sgpr7
.LBB2_21:                               ;   in Loop: Header=BB2_22 Depth=1
	s_delay_alu instid0(SALU_CYCLE_1)
	s_and_b32 vcc_lo, exec_lo, s49
	s_cbranch_vccnz .LBB2_619
.LBB2_22:                               ; =>This Loop Header: Depth=1
                                        ;     Child Loop BB2_24 Depth 2
                                        ;     Child Loop BB2_30 Depth 2
	;; [unrolled: 1-line block ×12, first 2 shown]
	s_waitcnt lgkmcnt(0)
	ds_load_2addr_b32 v[32:33], v47 offset1:1
	s_waitcnt lgkmcnt(0)
	v_cmp_eq_u32_e32 vcc_lo, 0, v33
	s_cbranch_vccnz .LBB2_20
; %bb.23:                               ;   in Loop: Header=BB2_22 Depth=1
	v_dual_mov_b32 v0, v28 :: v_dual_mov_b32 v1, v26
	s_mov_b32 s6, 0
.LBB2_24:                               ;   Parent Loop BB2_22 Depth=1
                                        ; =>  This Inner Loop Header: Depth=2
	s_delay_alu instid0(VALU_DEP_1) | instskip(SKIP_4) | instid1(SALU_CYCLE_1)
	v_add_nc_u32_e32 v1, s40, v1
	ds_store_b32 v0, v27
	v_add_nc_u32_e32 v0, s48, v0
	v_cmp_lt_u32_e32 vcc_lo, 0x3ff, v1
	s_or_b32 s6, vcc_lo, s6
	s_and_not1_b32 exec_lo, exec_lo, s6
	s_cbranch_execnz .LBB2_24
; %bb.25:                               ;   in Loop: Header=BB2_22 Depth=1
	s_or_b32 exec_lo, exec_lo, s6
	v_cmp_ne_u32_e32 vcc_lo, v33, v32
	s_mul_i32 s7, s27, -10
	s_waitcnt vmcnt(0) lgkmcnt(0)
	s_waitcnt_vscnt null, 0x0
	s_barrier
	buffer_gl0_inv
	s_cbranch_vccz .LBB2_62
; %bb.26:                               ;   in Loop: Header=BB2_22 Depth=1
	s_max_i32 s49, s7, 0xffffffea
	s_delay_alu instid0(SALU_CYCLE_1)
	s_add_i32 s49, s49, 22
	s_cmp_lg_u32 s27, 0
	s_cbranch_scc0 .LBB2_63
; %bb.27:                               ;   in Loop: Header=BB2_22 Depth=1
	ds_load_b32 v35, v27 offset:8576
	v_mov_b32_e32 v33, v24
	s_add_i32 s6, s7, 32
	s_and_saveexec_b32 s50, s3
	s_cbranch_execz .LBB2_65
; %bb.28:                               ;   in Loop: Header=BB2_22 Depth=1
	v_dual_mov_b32 v8, v22 :: v_dual_mov_b32 v9, v23
	v_dual_mov_b32 v34, v21 :: v_dual_mov_b32 v33, v20
	s_lshl_b32 s52, -1, s6
	s_mov_b32 s51, 0
	s_branch .LBB2_30
.LBB2_29:                               ;   in Loop: Header=BB2_30 Depth=2
	s_or_b32 exec_lo, exec_lo, s53
	v_add_nc_u32_e32 v33, s31, v33
	s_delay_alu instid0(VALU_DEP_1) | instskip(SKIP_1) | instid1(VALU_DEP_2)
	v_ashrrev_i32_e32 v34, 31, v33
	v_add_co_u32 v8, vcc_lo, s37, v33
	v_add_co_ci_u32_e32 v9, vcc_lo, s38, v34, vcc_lo
	s_delay_alu instid0(VALU_DEP_1) | instskip(SKIP_1) | instid1(SALU_CYCLE_1)
	v_cmp_le_u64_e32 vcc_lo, s[18:19], v[8:9]
	s_or_b32 s51, vcc_lo, s51
	s_and_not1_b32 exec_lo, exec_lo, s51
	s_cbranch_execz .LBB2_64
.LBB2_30:                               ;   Parent Loop BB2_22 Depth=1
                                        ; =>  This Inner Loop Header: Depth=2
	s_delay_alu instid0(VALU_DEP_1) | instskip(SKIP_1) | instid1(VALU_DEP_1)
	v_lshlrev_b64 v[10:11], 4, v[33:34]
	s_mov_b32 s53, exec_lo
	v_add_co_u32 v0, vcc_lo, s26, v10
	s_delay_alu instid0(VALU_DEP_2)
	v_add_co_ci_u32_e32 v1, vcc_lo, s30, v11, vcc_lo
	v_add_co_u32 v4, vcc_lo, s41, v10
	v_add_co_ci_u32_e32 v5, vcc_lo, s42, v11, vcc_lo
	s_clause 0x1
	global_load_b128 v[0:3], v[0:1], off
	global_load_b128 v[4:7], v[4:5], off
	s_waitcnt vmcnt(1)
	v_cmp_gt_i32_e32 vcc_lo, 0, v0
	v_cndmask_b32_e64 v34, 0x7fffffff, 0, vcc_lo
	s_delay_alu instid0(VALU_DEP_1) | instskip(NEXT) | instid1(VALU_DEP_1)
	v_xor_b32_e32 v0, v34, v0
	v_and_b32_e32 v34, s52, v0
	s_waitcnt lgkmcnt(0)
	s_delay_alu instid0(VALU_DEP_1)
	v_cmpx_eq_u32_e64 v34, v35
	s_cbranch_execz .LBB2_32
; %bb.31:                               ;   in Loop: Header=BB2_30 Depth=2
	v_bfe_u32 v0, v0, s49, 10
	s_delay_alu instid0(VALU_DEP_1)
	v_lshlrev_b32_e32 v0, 2, v0
	ds_add_u32 v0, v48 offset:4224
.LBB2_32:                               ;   in Loop: Header=BB2_30 Depth=2
	s_or_b32 exec_lo, exec_lo, s53
	v_cmp_gt_i32_e32 vcc_lo, 0, v1
	s_mov_b32 s53, exec_lo
	v_cndmask_b32_e64 v0, 0x7fffffff, 0, vcc_lo
	s_delay_alu instid0(VALU_DEP_1) | instskip(NEXT) | instid1(VALU_DEP_1)
	v_xor_b32_e32 v0, v0, v1
	v_and_b32_e32 v1, s52, v0
	s_delay_alu instid0(VALU_DEP_1)
	v_cmpx_eq_u32_e64 v1, v35
	s_cbranch_execz .LBB2_34
; %bb.33:                               ;   in Loop: Header=BB2_30 Depth=2
	v_bfe_u32 v0, v0, s49, 10
	s_delay_alu instid0(VALU_DEP_1)
	v_lshlrev_b32_e32 v0, 2, v0
	ds_add_u32 v0, v48 offset:4224
.LBB2_34:                               ;   in Loop: Header=BB2_30 Depth=2
	s_or_b32 exec_lo, exec_lo, s53
	v_cmp_gt_i32_e32 vcc_lo, 0, v2
	s_mov_b32 s53, exec_lo
	v_cndmask_b32_e64 v0, 0x7fffffff, 0, vcc_lo
	s_delay_alu instid0(VALU_DEP_1) | instskip(NEXT) | instid1(VALU_DEP_1)
	v_xor_b32_e32 v0, v0, v2
	v_and_b32_e32 v1, s52, v0
	;; [unrolled: 16-line block ×3, first 2 shown]
	s_delay_alu instid0(VALU_DEP_1)
	v_cmpx_eq_u32_e64 v1, v35
	s_cbranch_execz .LBB2_38
; %bb.37:                               ;   in Loop: Header=BB2_30 Depth=2
	v_bfe_u32 v0, v0, s49, 10
	s_delay_alu instid0(VALU_DEP_1)
	v_lshlrev_b32_e32 v0, 2, v0
	ds_add_u32 v0, v48 offset:4224
.LBB2_38:                               ;   in Loop: Header=BB2_30 Depth=2
	s_or_b32 exec_lo, exec_lo, s53
	v_lshlrev_b64 v[0:1], 4, v[8:9]
	v_add_co_u32 v2, vcc_lo, s43, v10
	v_add_co_ci_u32_e32 v3, vcc_lo, s44, v11, vcc_lo
	s_mov_b32 s53, exec_lo
	s_delay_alu instid0(VALU_DEP_3) | instskip(NEXT) | instid1(VALU_DEP_4)
	v_add_co_u32 v0, vcc_lo, s26, v0
	v_add_co_ci_u32_e32 v1, vcc_lo, s30, v1, vcc_lo
	s_waitcnt vmcnt(0)
	v_cmp_gt_i32_e32 vcc_lo, 0, v4
	s_clause 0x1
	global_load_b128 v[8:11], v[2:3], off
	global_load_b128 v[0:3], v[0:1], off
	v_cndmask_b32_e64 v34, 0x7fffffff, 0, vcc_lo
	s_delay_alu instid0(VALU_DEP_1) | instskip(NEXT) | instid1(VALU_DEP_1)
	v_xor_b32_e32 v4, v34, v4
	v_and_b32_e32 v34, s52, v4
	s_delay_alu instid0(VALU_DEP_1)
	v_cmpx_eq_u32_e64 v34, v35
	s_cbranch_execz .LBB2_40
; %bb.39:                               ;   in Loop: Header=BB2_30 Depth=2
	v_bfe_u32 v4, v4, s49, 10
	s_delay_alu instid0(VALU_DEP_1)
	v_lshlrev_b32_e32 v4, 2, v4
	ds_add_u32 v4, v48 offset:4224
.LBB2_40:                               ;   in Loop: Header=BB2_30 Depth=2
	s_or_b32 exec_lo, exec_lo, s53
	v_cmp_gt_i32_e32 vcc_lo, 0, v5
	s_mov_b32 s53, exec_lo
	v_cndmask_b32_e64 v4, 0x7fffffff, 0, vcc_lo
	s_delay_alu instid0(VALU_DEP_1) | instskip(NEXT) | instid1(VALU_DEP_1)
	v_xor_b32_e32 v4, v4, v5
	v_and_b32_e32 v5, s52, v4
	s_delay_alu instid0(VALU_DEP_1)
	v_cmpx_eq_u32_e64 v5, v35
	s_cbranch_execz .LBB2_42
; %bb.41:                               ;   in Loop: Header=BB2_30 Depth=2
	v_bfe_u32 v4, v4, s49, 10
	s_delay_alu instid0(VALU_DEP_1)
	v_lshlrev_b32_e32 v4, 2, v4
	ds_add_u32 v4, v48 offset:4224
.LBB2_42:                               ;   in Loop: Header=BB2_30 Depth=2
	s_or_b32 exec_lo, exec_lo, s53
	v_cmp_gt_i32_e32 vcc_lo, 0, v6
	s_mov_b32 s53, exec_lo
	;; [unrolled: 16-line block ×3, first 2 shown]
	v_cndmask_b32_e64 v4, 0x7fffffff, 0, vcc_lo
	s_delay_alu instid0(VALU_DEP_1) | instskip(NEXT) | instid1(VALU_DEP_1)
	v_xor_b32_e32 v4, v4, v7
	v_and_b32_e32 v5, s52, v4
	s_delay_alu instid0(VALU_DEP_1)
	v_cmpx_eq_u32_e64 v5, v35
	s_cbranch_execz .LBB2_46
; %bb.45:                               ;   in Loop: Header=BB2_30 Depth=2
	v_bfe_u32 v4, v4, s49, 10
	s_delay_alu instid0(VALU_DEP_1)
	v_lshlrev_b32_e32 v4, 2, v4
	ds_add_u32 v4, v48 offset:4224
.LBB2_46:                               ;   in Loop: Header=BB2_30 Depth=2
	s_or_b32 exec_lo, exec_lo, s53
	s_waitcnt vmcnt(1)
	v_cmp_gt_i32_e32 vcc_lo, 0, v8
	s_mov_b32 s53, exec_lo
	v_cndmask_b32_e64 v4, 0x7fffffff, 0, vcc_lo
	s_delay_alu instid0(VALU_DEP_1) | instskip(NEXT) | instid1(VALU_DEP_1)
	v_xor_b32_e32 v4, v4, v8
	v_and_b32_e32 v5, s52, v4
	s_delay_alu instid0(VALU_DEP_1)
	v_cmpx_eq_u32_e64 v5, v35
	s_cbranch_execz .LBB2_48
; %bb.47:                               ;   in Loop: Header=BB2_30 Depth=2
	v_bfe_u32 v4, v4, s49, 10
	s_delay_alu instid0(VALU_DEP_1)
	v_lshlrev_b32_e32 v4, 2, v4
	ds_add_u32 v4, v48 offset:4224
.LBB2_48:                               ;   in Loop: Header=BB2_30 Depth=2
	s_or_b32 exec_lo, exec_lo, s53
	v_cmp_gt_i32_e32 vcc_lo, 0, v9
	s_mov_b32 s53, exec_lo
	v_cndmask_b32_e64 v4, 0x7fffffff, 0, vcc_lo
	s_delay_alu instid0(VALU_DEP_1) | instskip(NEXT) | instid1(VALU_DEP_1)
	v_xor_b32_e32 v4, v4, v9
	v_and_b32_e32 v5, s52, v4
	s_delay_alu instid0(VALU_DEP_1)
	v_cmpx_eq_u32_e64 v5, v35
	s_cbranch_execz .LBB2_50
; %bb.49:                               ;   in Loop: Header=BB2_30 Depth=2
	v_bfe_u32 v4, v4, s49, 10
	s_delay_alu instid0(VALU_DEP_1)
	v_lshlrev_b32_e32 v4, 2, v4
	ds_add_u32 v4, v48 offset:4224
.LBB2_50:                               ;   in Loop: Header=BB2_30 Depth=2
	s_or_b32 exec_lo, exec_lo, s53
	;; [unrolled: 16-line block ×4, first 2 shown]
	s_waitcnt vmcnt(0)
	v_cmp_gt_i32_e32 vcc_lo, 0, v0
	s_mov_b32 s53, exec_lo
	v_cndmask_b32_e64 v4, 0x7fffffff, 0, vcc_lo
	s_delay_alu instid0(VALU_DEP_1) | instskip(NEXT) | instid1(VALU_DEP_1)
	v_xor_b32_e32 v0, v4, v0
	v_and_b32_e32 v4, s52, v0
	s_delay_alu instid0(VALU_DEP_1)
	v_cmpx_eq_u32_e64 v4, v35
	s_cbranch_execz .LBB2_56
; %bb.55:                               ;   in Loop: Header=BB2_30 Depth=2
	v_bfe_u32 v0, v0, s49, 10
	s_delay_alu instid0(VALU_DEP_1)
	v_lshlrev_b32_e32 v0, 2, v0
	ds_add_u32 v0, v48 offset:4224
.LBB2_56:                               ;   in Loop: Header=BB2_30 Depth=2
	s_or_b32 exec_lo, exec_lo, s53
	v_cmp_gt_i32_e32 vcc_lo, 0, v1
	s_mov_b32 s53, exec_lo
	v_cndmask_b32_e64 v0, 0x7fffffff, 0, vcc_lo
	s_delay_alu instid0(VALU_DEP_1) | instskip(NEXT) | instid1(VALU_DEP_1)
	v_xor_b32_e32 v0, v0, v1
	v_and_b32_e32 v1, s52, v0
	s_delay_alu instid0(VALU_DEP_1)
	v_cmpx_eq_u32_e64 v1, v35
	s_cbranch_execz .LBB2_58
; %bb.57:                               ;   in Loop: Header=BB2_30 Depth=2
	v_bfe_u32 v0, v0, s49, 10
	s_delay_alu instid0(VALU_DEP_1)
	v_lshlrev_b32_e32 v0, 2, v0
	ds_add_u32 v0, v48 offset:4224
.LBB2_58:                               ;   in Loop: Header=BB2_30 Depth=2
	s_or_b32 exec_lo, exec_lo, s53
	;; [unrolled: 16-line block ×3, first 2 shown]
	v_cmp_gt_i32_e32 vcc_lo, 0, v3
	s_mov_b32 s53, exec_lo
	v_cndmask_b32_e64 v0, 0x7fffffff, 0, vcc_lo
	s_delay_alu instid0(VALU_DEP_1) | instskip(NEXT) | instid1(VALU_DEP_1)
	v_xor_b32_e32 v0, v0, v3
	v_and_b32_e32 v1, s52, v0
	s_delay_alu instid0(VALU_DEP_1)
	v_cmpx_eq_u32_e64 v1, v35
	s_cbranch_execz .LBB2_29
; %bb.61:                               ;   in Loop: Header=BB2_30 Depth=2
	v_bfe_u32 v0, v0, s49, 10
	s_delay_alu instid0(VALU_DEP_1)
	v_lshlrev_b32_e32 v0, 2, v0
	ds_add_u32 v0, v48 offset:4224
	s_branch .LBB2_29
.LBB2_62:                               ;   in Loop: Header=BB2_22 Depth=1
	s_mov_b32 s49, -1
	s_mov_b32 s6, 0
                                        ; implicit-def: $sgpr27
                                        ; implicit-def: $vgpr30_vgpr31
	s_branch .LBB2_21
.LBB2_63:                               ;   in Loop: Header=BB2_22 Depth=1
	s_mov_b32 s50, 0
                                        ; implicit-def: $vgpr0
	s_cbranch_execnz .LBB2_84
	s_branch .LBB2_96
.LBB2_64:                               ;   in Loop: Header=BB2_22 Depth=1
	s_or_b32 exec_lo, exec_lo, s51
.LBB2_65:                               ;   in Loop: Header=BB2_22 Depth=1
	s_delay_alu instid0(SALU_CYCLE_1) | instskip(NEXT) | instid1(SALU_CYCLE_1)
	s_or_b32 exec_lo, exec_lo, s50
	s_mov_b32 s50, exec_lo
	v_cmpx_gt_i32_e64 s18, v33
	s_cbranch_execz .LBB2_76
; %bb.66:                               ;   in Loop: Header=BB2_22 Depth=1
	s_lshl_b32 s51, -1, s6
	s_mov_b32 s52, 0
	s_branch .LBB2_68
.LBB2_67:                               ;   in Loop: Header=BB2_68 Depth=2
	s_or_b32 exec_lo, exec_lo, s53
	v_add_nc_u32_e32 v33, s10, v33
	s_delay_alu instid0(VALU_DEP_1) | instskip(SKIP_1) | instid1(SALU_CYCLE_1)
	v_cmp_le_i32_e32 vcc_lo, s18, v33
	s_or_b32 s52, vcc_lo, s52
	s_and_not1_b32 exec_lo, exec_lo, s52
	s_cbranch_execz .LBB2_76
.LBB2_68:                               ;   Parent Loop BB2_22 Depth=1
                                        ; =>  This Inner Loop Header: Depth=2
	v_ashrrev_i32_e32 v34, 31, v33
	s_mov_b32 s53, exec_lo
	s_delay_alu instid0(VALU_DEP_1) | instskip(NEXT) | instid1(VALU_DEP_1)
	v_lshlrev_b64 v[0:1], 4, v[33:34]
	v_add_co_u32 v0, vcc_lo, s26, v0
	s_delay_alu instid0(VALU_DEP_2) | instskip(SKIP_4) | instid1(VALU_DEP_1)
	v_add_co_ci_u32_e32 v1, vcc_lo, s30, v1, vcc_lo
	global_load_b128 v[0:3], v[0:1], off
	s_waitcnt vmcnt(0)
	v_cmp_gt_i32_e32 vcc_lo, 0, v0
	v_cndmask_b32_e64 v4, 0x7fffffff, 0, vcc_lo
	v_xor_b32_e32 v0, v4, v0
	s_delay_alu instid0(VALU_DEP_1) | instskip(SKIP_1) | instid1(VALU_DEP_1)
	v_and_b32_e32 v4, s51, v0
	s_waitcnt lgkmcnt(0)
	v_cmpx_eq_u32_e64 v4, v35
	s_cbranch_execz .LBB2_70
; %bb.69:                               ;   in Loop: Header=BB2_68 Depth=2
	v_bfe_u32 v0, v0, s49, 10
	s_delay_alu instid0(VALU_DEP_1)
	v_lshlrev_b32_e32 v0, 2, v0
	ds_add_u32 v0, v48 offset:4224
.LBB2_70:                               ;   in Loop: Header=BB2_68 Depth=2
	s_or_b32 exec_lo, exec_lo, s53
	v_cmp_gt_i32_e32 vcc_lo, 0, v1
	s_mov_b32 s53, exec_lo
	v_cndmask_b32_e64 v0, 0x7fffffff, 0, vcc_lo
	s_delay_alu instid0(VALU_DEP_1) | instskip(NEXT) | instid1(VALU_DEP_1)
	v_xor_b32_e32 v0, v0, v1
	v_and_b32_e32 v1, s51, v0
	s_delay_alu instid0(VALU_DEP_1)
	v_cmpx_eq_u32_e64 v1, v35
	s_cbranch_execz .LBB2_72
; %bb.71:                               ;   in Loop: Header=BB2_68 Depth=2
	v_bfe_u32 v0, v0, s49, 10
	s_delay_alu instid0(VALU_DEP_1)
	v_lshlrev_b32_e32 v0, 2, v0
	ds_add_u32 v0, v48 offset:4224
.LBB2_72:                               ;   in Loop: Header=BB2_68 Depth=2
	s_or_b32 exec_lo, exec_lo, s53
	v_cmp_gt_i32_e32 vcc_lo, 0, v2
	s_mov_b32 s53, exec_lo
	v_cndmask_b32_e64 v0, 0x7fffffff, 0, vcc_lo
	s_delay_alu instid0(VALU_DEP_1) | instskip(NEXT) | instid1(VALU_DEP_1)
	v_xor_b32_e32 v0, v0, v2
	v_and_b32_e32 v1, s51, v0
	s_delay_alu instid0(VALU_DEP_1)
	;; [unrolled: 16-line block ×3, first 2 shown]
	v_cmpx_eq_u32_e64 v1, v35
	s_cbranch_execz .LBB2_67
; %bb.75:                               ;   in Loop: Header=BB2_68 Depth=2
	v_bfe_u32 v0, v0, s49, 10
	s_delay_alu instid0(VALU_DEP_1)
	v_lshlrev_b32_e32 v0, 2, v0
	ds_add_u32 v0, v48 offset:4224
	s_branch .LBB2_67
.LBB2_76:                               ;   in Loop: Header=BB2_22 Depth=1
	s_or_b32 exec_lo, exec_lo, s50
	s_and_saveexec_b32 s50, s1
	s_cbranch_execz .LBB2_79
; %bb.77:                               ;   in Loop: Header=BB2_22 Depth=1
	global_load_b32 v0, v[18:19], off
	s_lshl_b32 s51, -1, s6
	s_waitcnt vmcnt(0)
	v_cmp_gt_i32_e32 vcc_lo, 0, v0
	v_cndmask_b32_e64 v1, 0x7fffffff, 0, vcc_lo
	s_delay_alu instid0(VALU_DEP_1) | instskip(NEXT) | instid1(VALU_DEP_1)
	v_xor_b32_e32 v0, v1, v0
	v_and_b32_e32 v1, s51, v0
	s_waitcnt lgkmcnt(0)
	s_delay_alu instid0(VALU_DEP_1)
	v_cmp_eq_u32_e32 vcc_lo, v1, v35
	s_and_b32 exec_lo, exec_lo, vcc_lo
	s_cbranch_execz .LBB2_79
; %bb.78:                               ;   in Loop: Header=BB2_22 Depth=1
	v_bfe_u32 v0, v0, s49, 10
	s_delay_alu instid0(VALU_DEP_1)
	v_lshlrev_b32_e32 v0, 2, v0
	ds_add_u32 v0, v48 offset:4224
.LBB2_79:                               ;   in Loop: Header=BB2_22 Depth=1
	s_or_b32 exec_lo, exec_lo, s50
	s_mov_b32 s51, 0
	s_mov_b32 s50, 0
                                        ; implicit-def: $vgpr0
	s_and_saveexec_b32 s52, s0
	s_cbranch_execz .LBB2_83
; %bb.80:                               ;   in Loop: Header=BB2_22 Depth=1
	global_load_b32 v0, v[14:15], off
	s_lshl_b32 s6, -1, s6
	s_waitcnt vmcnt(0)
	v_cmp_gt_i32_e32 vcc_lo, 0, v0
	v_cndmask_b32_e64 v1, 0x7fffffff, 0, vcc_lo
	s_delay_alu instid0(VALU_DEP_1) | instskip(NEXT) | instid1(VALU_DEP_1)
	v_xor_b32_e32 v1, v1, v0
	v_and_b32_e32 v0, s6, v1
	s_mov_b32 s6, 0
	s_waitcnt lgkmcnt(0)
	s_delay_alu instid0(VALU_DEP_1) | instskip(SKIP_1) | instid1(SALU_CYCLE_1)
	v_cmp_eq_u32_e32 vcc_lo, v0, v35
                                        ; implicit-def: $vgpr0
	s_and_saveexec_b32 s50, vcc_lo
	s_xor_b32 s50, exec_lo, s50
; %bb.81:                               ;   in Loop: Header=BB2_22 Depth=1
	s_mov_b32 s6, exec_lo
	v_bfe_u32 v0, v1, s49, 10
; %bb.82:                               ;   in Loop: Header=BB2_22 Depth=1
	s_or_b32 exec_lo, exec_lo, s50
	s_delay_alu instid0(SALU_CYCLE_1)
	s_and_b32 s50, s6, exec_lo
.LBB2_83:                               ;   in Loop: Header=BB2_22 Depth=1
	s_or_b32 exec_lo, exec_lo, s52
	s_delay_alu instid0(SALU_CYCLE_1)
	s_and_b32 vcc_lo, exec_lo, s51
	s_cbranch_vccz .LBB2_96
.LBB2_84:                               ;   in Loop: Header=BB2_22 Depth=1
	v_mov_b32_e32 v0, v24
	s_and_saveexec_b32 s6, s3
	s_cbranch_execz .LBB2_88
; %bb.85:                               ;   in Loop: Header=BB2_22 Depth=1
	v_dual_mov_b32 v2, v22 :: v_dual_mov_b32 v3, v23
	v_dual_mov_b32 v0, v20 :: v_dual_mov_b32 v1, v21
	s_mov_b32 s51, 0
.LBB2_86:                               ;   Parent Loop BB2_22 Depth=1
                                        ; =>  This Inner Loop Header: Depth=2
	s_delay_alu instid0(VALU_DEP_1) | instskip(NEXT) | instid1(VALU_DEP_3)
	v_lshlrev_b64 v[8:9], 4, v[0:1]
	v_lshlrev_b64 v[1:2], 4, v[2:3]
	v_add_nc_u32_e32 v0, s31, v0
	s_delay_alu instid0(VALU_DEP_3) | instskip(NEXT) | instid1(VALU_DEP_4)
	v_add_co_u32 v4, vcc_lo, s26, v8
	v_add_co_ci_u32_e32 v5, vcc_lo, s30, v9, vcc_lo
	v_add_co_u32 v10, vcc_lo, s41, v8
	v_add_co_ci_u32_e32 v11, vcc_lo, s42, v9, vcc_lo
	global_load_b128 v[4:7], v[4:5], off
	v_add_co_u32 v33, vcc_lo, s43, v8
	v_add_co_ci_u32_e32 v34, vcc_lo, s44, v9, vcc_lo
	global_load_b128 v[8:11], v[10:11], off
	s_waitcnt lgkmcnt(0)
	v_add_co_u32 v35, vcc_lo, s26, v1
	v_add_co_ci_u32_e32 v36, vcc_lo, s30, v2, vcc_lo
	s_waitcnt vmcnt(1)
	v_cmp_gt_i32_e32 vcc_lo, 0, v4
	v_cndmask_b32_e64 v1, 0x7fffffff, 0, vcc_lo
	v_cmp_gt_i32_e32 vcc_lo, 0, v5
	s_delay_alu instid0(VALU_DEP_2) | instskip(SKIP_2) | instid1(VALU_DEP_3)
	v_xor_b32_e32 v1, v1, v4
	v_cndmask_b32_e64 v2, 0x7fffffff, 0, vcc_lo
	v_cmp_gt_i32_e32 vcc_lo, 0, v6
	v_bfe_u32 v1, v1, s49, 10
	s_delay_alu instid0(VALU_DEP_3) | instskip(SKIP_2) | instid1(VALU_DEP_4)
	v_xor_b32_e32 v2, v2, v5
	v_cndmask_b32_e64 v3, 0x7fffffff, 0, vcc_lo
	v_cmp_gt_i32_e32 vcc_lo, 0, v7
	v_lshlrev_b32_e32 v1, 2, v1
	s_delay_alu instid0(VALU_DEP_4) | instskip(NEXT) | instid1(VALU_DEP_4)
	v_bfe_u32 v2, v2, s49, 10
	v_xor_b32_e32 v3, v3, v6
	v_cndmask_b32_e64 v37, 0x7fffffff, 0, vcc_lo
	s_waitcnt vmcnt(0)
	v_cmp_gt_i32_e32 vcc_lo, 0, v8
	v_lshlrev_b32_e32 v2, 2, v2
	v_bfe_u32 v3, v3, s49, 10
	v_xor_b32_e32 v4, v37, v7
	v_cndmask_b32_e64 v5, 0x7fffffff, 0, vcc_lo
	v_cmp_gt_i32_e32 vcc_lo, 0, v9
	s_delay_alu instid0(VALU_DEP_4) | instskip(NEXT) | instid1(VALU_DEP_4)
	v_lshlrev_b32_e32 v3, 2, v3
	v_bfe_u32 v4, v4, s49, 10
	s_delay_alu instid0(VALU_DEP_4) | instskip(SKIP_2) | instid1(VALU_DEP_4)
	v_xor_b32_e32 v5, v5, v8
	v_cndmask_b32_e64 v6, 0x7fffffff, 0, vcc_lo
	v_cmp_gt_i32_e32 vcc_lo, 0, v10
	v_lshlrev_b32_e32 v4, 2, v4
	ds_add_u32 v1, v48 offset:4224
	ds_add_u32 v2, v48 offset:4224
	;; [unrolled: 1-line block ×4, first 2 shown]
	s_clause 0x1
	global_load_b128 v[1:4], v[33:34], off
	global_load_b128 v[33:36], v[35:36], off
	v_cndmask_b32_e64 v7, 0x7fffffff, 0, vcc_lo
	v_cmp_gt_i32_e32 vcc_lo, 0, v11
	v_xor_b32_e32 v6, v6, v9
	v_bfe_u32 v5, v5, s49, 10
	s_delay_alu instid0(VALU_DEP_4) | instskip(SKIP_1) | instid1(VALU_DEP_4)
	v_xor_b32_e32 v7, v7, v10
	v_cndmask_b32_e64 v37, 0x7fffffff, 0, vcc_lo
	v_bfe_u32 v6, v6, s49, 10
	s_delay_alu instid0(VALU_DEP_4) | instskip(NEXT) | instid1(VALU_DEP_4)
	v_lshlrev_b32_e32 v5, 2, v5
	v_bfe_u32 v7, v7, s49, 10
	s_delay_alu instid0(VALU_DEP_4) | instskip(NEXT) | instid1(VALU_DEP_4)
	v_xor_b32_e32 v8, v37, v11
	v_lshlrev_b32_e32 v6, 2, v6
	s_delay_alu instid0(VALU_DEP_3) | instskip(NEXT) | instid1(VALU_DEP_3)
	v_lshlrev_b32_e32 v7, 2, v7
	v_bfe_u32 v8, v8, s49, 10
	s_delay_alu instid0(VALU_DEP_1)
	v_lshlrev_b32_e32 v8, 2, v8
	ds_add_u32 v5, v48 offset:4224
	ds_add_u32 v6, v48 offset:4224
	;; [unrolled: 1-line block ×4, first 2 shown]
	s_waitcnt vmcnt(1)
	v_cmp_gt_i32_e32 vcc_lo, 0, v1
	v_cndmask_b32_e64 v5, 0x7fffffff, 0, vcc_lo
	v_cmp_gt_i32_e32 vcc_lo, 0, v2
	s_delay_alu instid0(VALU_DEP_2) | instskip(SKIP_2) | instid1(VALU_DEP_3)
	v_xor_b32_e32 v1, v5, v1
	v_cndmask_b32_e64 v6, 0x7fffffff, 0, vcc_lo
	v_cmp_gt_i32_e32 vcc_lo, 0, v3
	v_bfe_u32 v1, v1, s49, 10
	s_delay_alu instid0(VALU_DEP_3) | instskip(SKIP_2) | instid1(VALU_DEP_4)
	v_xor_b32_e32 v2, v6, v2
	v_cndmask_b32_e64 v7, 0x7fffffff, 0, vcc_lo
	v_cmp_gt_i32_e32 vcc_lo, 0, v4
	v_lshlrev_b32_e32 v1, 2, v1
	s_delay_alu instid0(VALU_DEP_4) | instskip(NEXT) | instid1(VALU_DEP_4)
	v_bfe_u32 v2, v2, s49, 10
	v_xor_b32_e32 v3, v7, v3
	v_cndmask_b32_e64 v8, 0x7fffffff, 0, vcc_lo
	s_waitcnt vmcnt(0)
	v_cmp_gt_i32_e32 vcc_lo, 0, v33
	v_lshlrev_b32_e32 v2, 2, v2
	v_bfe_u32 v3, v3, s49, 10
	v_xor_b32_e32 v4, v8, v4
	v_cndmask_b32_e64 v9, 0x7fffffff, 0, vcc_lo
	v_cmp_gt_i32_e32 vcc_lo, 0, v34
	s_delay_alu instid0(VALU_DEP_4) | instskip(NEXT) | instid1(VALU_DEP_4)
	v_lshlrev_b32_e32 v3, 2, v3
	v_bfe_u32 v4, v4, s49, 10
	s_delay_alu instid0(VALU_DEP_4) | instskip(SKIP_2) | instid1(VALU_DEP_4)
	v_xor_b32_e32 v5, v9, v33
	v_cndmask_b32_e64 v10, 0x7fffffff, 0, vcc_lo
	v_cmp_gt_i32_e32 vcc_lo, 0, v35
	v_lshlrev_b32_e32 v4, 2, v4
	s_delay_alu instid0(VALU_DEP_4) | instskip(NEXT) | instid1(VALU_DEP_4)
	v_bfe_u32 v5, v5, s49, 10
	v_xor_b32_e32 v6, v10, v34
	v_cndmask_b32_e64 v11, 0x7fffffff, 0, vcc_lo
	v_cmp_gt_i32_e32 vcc_lo, 0, v36
	s_delay_alu instid0(VALU_DEP_4) | instskip(NEXT) | instid1(VALU_DEP_4)
	v_lshlrev_b32_e32 v5, 2, v5
	v_bfe_u32 v6, v6, s49, 10
	s_delay_alu instid0(VALU_DEP_4) | instskip(SKIP_1) | instid1(VALU_DEP_3)
	v_xor_b32_e32 v7, v11, v35
	v_cndmask_b32_e64 v37, 0x7fffffff, 0, vcc_lo
	v_lshlrev_b32_e32 v6, 2, v6
	s_delay_alu instid0(VALU_DEP_3) | instskip(NEXT) | instid1(VALU_DEP_3)
	v_bfe_u32 v7, v7, s49, 10
	v_xor_b32_e32 v8, v37, v36
	s_delay_alu instid0(VALU_DEP_2) | instskip(NEXT) | instid1(VALU_DEP_2)
	v_lshlrev_b32_e32 v7, 2, v7
	v_bfe_u32 v8, v8, s49, 10
	s_delay_alu instid0(VALU_DEP_1)
	v_lshlrev_b32_e32 v8, 2, v8
	ds_add_u32 v1, v48 offset:4224
	ds_add_u32 v2, v48 offset:4224
	;; [unrolled: 1-line block ×8, first 2 shown]
	v_ashrrev_i32_e32 v1, 31, v0
	v_add_co_u32 v2, vcc_lo, s37, v0
	s_delay_alu instid0(VALU_DEP_2) | instskip(NEXT) | instid1(VALU_DEP_1)
	v_add_co_ci_u32_e32 v3, vcc_lo, s38, v1, vcc_lo
	v_cmp_le_u64_e32 vcc_lo, s[18:19], v[2:3]
	s_or_b32 s51, vcc_lo, s51
	s_delay_alu instid0(SALU_CYCLE_1)
	s_and_not1_b32 exec_lo, exec_lo, s51
	s_cbranch_execnz .LBB2_86
; %bb.87:                               ;   in Loop: Header=BB2_22 Depth=1
	s_or_b32 exec_lo, exec_lo, s51
.LBB2_88:                               ;   in Loop: Header=BB2_22 Depth=1
	s_delay_alu instid0(SALU_CYCLE_1) | instskip(NEXT) | instid1(SALU_CYCLE_1)
	s_or_b32 exec_lo, exec_lo, s6
	s_mov_b32 s6, exec_lo
	v_cmpx_gt_i32_e64 s18, v0
	s_cbranch_execz .LBB2_91
; %bb.89:                               ;   in Loop: Header=BB2_22 Depth=1
	s_mov_b32 s51, 0
.LBB2_90:                               ;   Parent Loop BB2_22 Depth=1
                                        ; =>  This Inner Loop Header: Depth=2
	v_ashrrev_i32_e32 v1, 31, v0
	s_delay_alu instid0(VALU_DEP_1) | instskip(SKIP_1) | instid1(VALU_DEP_2)
	v_lshlrev_b64 v[1:2], 4, v[0:1]
	v_add_nc_u32_e32 v0, s10, v0
	v_add_co_u32 v1, vcc_lo, s26, v1
	s_delay_alu instid0(VALU_DEP_3)
	v_add_co_ci_u32_e32 v2, vcc_lo, s30, v2, vcc_lo
	global_load_b128 v[1:4], v[1:2], off
	s_waitcnt vmcnt(0)
	v_cmp_gt_i32_e32 vcc_lo, 0, v1
	v_cndmask_b32_e64 v5, 0x7fffffff, 0, vcc_lo
	v_cmp_gt_i32_e32 vcc_lo, 0, v2
	s_delay_alu instid0(VALU_DEP_2) | instskip(SKIP_2) | instid1(VALU_DEP_3)
	v_xor_b32_e32 v1, v5, v1
	v_cndmask_b32_e64 v6, 0x7fffffff, 0, vcc_lo
	v_cmp_gt_i32_e32 vcc_lo, 0, v3
	v_bfe_u32 v1, v1, s49, 10
	s_delay_alu instid0(VALU_DEP_3) | instskip(SKIP_2) | instid1(VALU_DEP_4)
	v_xor_b32_e32 v2, v6, v2
	v_cndmask_b32_e64 v7, 0x7fffffff, 0, vcc_lo
	v_cmp_gt_i32_e32 vcc_lo, 0, v4
	v_lshlrev_b32_e32 v1, 2, v1
	s_delay_alu instid0(VALU_DEP_4) | instskip(NEXT) | instid1(VALU_DEP_4)
	v_bfe_u32 v2, v2, s49, 10
	v_xor_b32_e32 v3, v7, v3
	v_cndmask_b32_e64 v8, 0x7fffffff, 0, vcc_lo
	v_cmp_le_i32_e32 vcc_lo, s18, v0
	s_delay_alu instid0(VALU_DEP_4) | instskip(NEXT) | instid1(VALU_DEP_4)
	v_lshlrev_b32_e32 v2, 2, v2
	v_bfe_u32 v3, v3, s49, 10
	s_delay_alu instid0(VALU_DEP_4) | instskip(SKIP_1) | instid1(VALU_DEP_2)
	v_xor_b32_e32 v4, v8, v4
	s_or_b32 s51, vcc_lo, s51
	v_lshlrev_b32_e32 v3, 2, v3
	s_delay_alu instid0(VALU_DEP_2) | instskip(NEXT) | instid1(VALU_DEP_1)
	v_bfe_u32 v4, v4, s49, 10
	v_lshlrev_b32_e32 v4, 2, v4
	ds_add_u32 v1, v48 offset:4224
	ds_add_u32 v2, v48 offset:4224
	;; [unrolled: 1-line block ×4, first 2 shown]
	s_and_not1_b32 exec_lo, exec_lo, s51
	s_cbranch_execnz .LBB2_90
.LBB2_91:                               ;   in Loop: Header=BB2_22 Depth=1
	s_or_b32 exec_lo, exec_lo, s6
	s_and_saveexec_b32 s6, s1
	s_cbranch_execz .LBB2_93
; %bb.92:                               ;   in Loop: Header=BB2_22 Depth=1
	global_load_b32 v0, v[18:19], off
	s_waitcnt vmcnt(0)
	v_cmp_gt_i32_e32 vcc_lo, 0, v0
	v_cndmask_b32_e64 v1, 0x7fffffff, 0, vcc_lo
	s_delay_alu instid0(VALU_DEP_1) | instskip(NEXT) | instid1(VALU_DEP_1)
	v_xor_b32_e32 v0, v1, v0
	v_bfe_u32 v0, v0, s49, 10
	s_delay_alu instid0(VALU_DEP_1)
	v_lshlrev_b32_e32 v0, 2, v0
	ds_add_u32 v0, v48 offset:4224
.LBB2_93:                               ;   in Loop: Header=BB2_22 Depth=1
	s_or_b32 exec_lo, exec_lo, s6
                                        ; implicit-def: $vgpr0
	s_and_saveexec_b32 s6, s0
	s_cbranch_execz .LBB2_95
; %bb.94:                               ;   in Loop: Header=BB2_22 Depth=1
	global_load_b32 v0, v[14:15], off
	s_or_b32 s50, s50, exec_lo
	s_waitcnt vmcnt(0)
	v_cmp_gt_i32_e32 vcc_lo, 0, v0
	v_cndmask_b32_e64 v1, 0x7fffffff, 0, vcc_lo
	s_delay_alu instid0(VALU_DEP_1) | instskip(NEXT) | instid1(VALU_DEP_1)
	v_xor_b32_e32 v0, v1, v0
	v_bfe_u32 v0, v0, s49, 10
.LBB2_95:                               ;   in Loop: Header=BB2_22 Depth=1
	s_or_b32 exec_lo, exec_lo, s6
.LBB2_96:                               ;   in Loop: Header=BB2_22 Depth=1
	s_and_saveexec_b32 s6, s50
	s_cbranch_execz .LBB2_98
; %bb.97:                               ;   in Loop: Header=BB2_22 Depth=1
	s_delay_alu instid0(VALU_DEP_1)
	v_lshlrev_b32_e32 v0, 2, v0
	ds_add_u32 v0, v48 offset:4224
.LBB2_98:                               ;   in Loop: Header=BB2_22 Depth=1
	s_or_b32 exec_lo, exec_lo, s6
	v_mov_b32_e32 v0, v30
	v_dual_mov_b32 v2, v28 :: v_dual_mov_b32 v1, v31
	v_mov_b32_e32 v3, v26
	s_mov_b32 s50, 0
	s_waitcnt lgkmcnt(0)
	s_barrier
	buffer_gl0_inv
	s_branch .LBB2_100
	.p2align	6
.LBB2_99:                               ;   in Loop: Header=BB2_100 Depth=2
	s_or_b32 exec_lo, exec_lo, s6
	v_add_nc_u32_e32 v3, s40, v3
	v_add_co_u32 v0, s6, v0, s48
	s_delay_alu instid0(VALU_DEP_1) | instskip(NEXT) | instid1(VALU_DEP_3)
	v_add_co_ci_u32_e64 v1, s6, 0, v1, s6
	v_cmp_lt_u32_e32 vcc_lo, 0x3ff, v3
	v_add_nc_u32_e32 v2, s48, v2
	s_or_b32 s50, vcc_lo, s50
	s_delay_alu instid0(SALU_CYCLE_1)
	s_and_not1_b32 exec_lo, exec_lo, s50
	s_cbranch_execz .LBB2_102
.LBB2_100:                              ;   Parent Loop BB2_22 Depth=1
                                        ; =>  This Inner Loop Header: Depth=2
	ds_load_b32 v4, v2
	s_mov_b32 s6, exec_lo
	s_waitcnt lgkmcnt(0)
	v_cmpx_ne_u32_e32 0, v4
	s_cbranch_execz .LBB2_99
; %bb.101:                              ;   in Loop: Header=BB2_100 Depth=2
	global_atomic_add_u32 v[0:1], v4, off
	s_branch .LBB2_99
.LBB2_102:                              ;   in Loop: Header=BB2_22 Depth=1
	s_or_b32 exec_lo, exec_lo, s50
	s_mov_b32 s6, 0
	s_waitcnt_vscnt null, 0x0
	s_barrier
	buffer_gl0_inv
	s_and_saveexec_b32 s50, s2
	s_cbranch_execz .LBB2_104
; %bb.103:                              ;   in Loop: Header=BB2_22 Depth=1
	v_mov_b32_e32 v0, s45
	global_atomic_inc_u32 v0, v27, v0, s[8:9] offset:256 glc
	s_waitcnt vmcnt(0)
	v_cmp_eq_u32_e32 vcc_lo, s45, v0
	s_and_b32 s6, vcc_lo, exec_lo
.LBB2_104:                              ;   in Loop: Header=BB2_22 Depth=1
	s_or_b32 exec_lo, exec_lo, s50
	global_load_b32 v0, v27, s[24:25] offset:14
	v_cndmask_b32_e64 v1, 0, 1, s6
	s_delay_alu instid0(VALU_DEP_1) | instskip(NEXT) | instid1(VALU_DEP_1)
	v_or_b32_dpp v1, v1, v1 row_shl:1 row_mask:0xf bank_mask:0xf bound_ctrl:1
	v_or_b32_dpp v1, v1, v1 row_shl:2 row_mask:0xf bank_mask:0xf bound_ctrl:1
	s_delay_alu instid0(VALU_DEP_1) | instskip(NEXT) | instid1(VALU_DEP_1)
	v_or_b32_dpp v1, v1, v1 row_shl:4 row_mask:0xf bank_mask:0xf bound_ctrl:1
	v_or_b32_dpp v1, v1, v1 row_shl:8 row_mask:0xf bank_mask:0xf bound_ctrl:1
	s_waitcnt vmcnt(0)
	v_readfirstlane_b32 s50, v0
	s_delay_alu instid0(VALU_DEP_2) | instskip(NEXT) | instid1(VALU_DEP_2)
	v_mov_b32_dpp v0, v1 row_share:0 row_mask:0xf bank_mask:0xf bound_ctrl:1
	s_and_b32 s6, s50, 0xffff
	s_lshr_b32 s50, s50, 16
	s_mul_i32 s51, s46, s6
	s_delay_alu instid0(VALU_DEP_1) | instskip(SKIP_1) | instid1(SALU_CYCLE_1)
	v_permlanex16_b32 v1, v0, 0, 0 op_sel:[0,1]
	s_ashr_i32 s51, s51, 8
	s_mul_i32 s50, s51, s50
	s_delay_alu instid0(VALU_DEP_1) | instskip(SKIP_1) | instid1(SALU_CYCLE_1)
	v_or_b32_e32 v2, v1, v0
	s_add_i32 s50, s50, 31
	s_and_not1_b32 s50, s50, 31
	s_delay_alu instid0(SALU_CYCLE_1)
	s_cmp_eq_u32 s50, 32
	s_cbranch_scc1 .LBB2_113
; %bb.105:                              ;   in Loop: Header=BB2_22 Depth=1
	v_mad_u32_u24 v3, v43, s6, v44
	s_mov_b32 s6, exec_lo
	s_delay_alu instid0(VALU_DEP_1) | instskip(NEXT) | instid1(VALU_DEP_1)
	v_mad_u64_u32 v[0:1], null, v3, s40, v[26:27]
	v_lshrrev_b32_e32 v1, 5, v0
	s_delay_alu instid0(VALU_DEP_1) | instskip(NEXT) | instid1(VALU_DEP_1)
	v_or_b32_e32 v1, v50, v1
	v_cmpx_eq_u32_e32 0, v1
	s_cbranch_execz .LBB2_107
; %bb.106:                              ;   in Loop: Header=BB2_22 Depth=1
	ds_store_b32 v27, v2 offset:8320
.LBB2_107:                              ;   in Loop: Header=BB2_22 Depth=1
	s_or_b32 exec_lo, exec_lo, s6
	v_cmp_eq_u32_e32 vcc_lo, 0, v50
	v_cmp_lt_u32_e64 s6, 31, v0
	s_waitcnt lgkmcnt(0)
	s_barrier
	buffer_gl0_inv
	s_and_b32 s50, s6, vcc_lo
	s_delay_alu instid0(SALU_CYCLE_1)
	s_and_saveexec_b32 s6, s50
	s_cbranch_execz .LBB2_112
; %bb.108:                              ;   in Loop: Header=BB2_22 Depth=1
	s_mov_b32 s51, exec_lo
	s_mov_b32 s50, 0
.LBB2_109:                              ;   Parent Loop BB2_22 Depth=1
                                        ; =>  This Inner Loop Header: Depth=2
	s_ctz_i32_b32 s52, s51
	s_delay_alu instid0(SALU_CYCLE_1) | instskip(SKIP_1) | instid1(SALU_CYCLE_1)
	v_readlane_b32 s53, v2, s52
	s_lshl_b32 s52, 1, s52
	s_and_not1_b32 s51, s51, s52
	s_delay_alu instid0(VALU_DEP_1)
	s_or_b32 s50, s50, s53
	s_cmp_lg_u32 s51, 0
	s_cbranch_scc1 .LBB2_109
; %bb.110:                              ;   in Loop: Header=BB2_22 Depth=1
	v_mbcnt_lo_u32_b32 v0, exec_lo, 0
	s_mov_b32 s51, exec_lo
	s_delay_alu instid0(VALU_DEP_1)
	v_cmpx_eq_u32_e32 0, v0
	s_xor_b32 s51, exec_lo, s51
	s_cbranch_execz .LBB2_112
; %bb.111:                              ;   in Loop: Header=BB2_22 Depth=1
	v_mov_b32_e32 v0, s50
	ds_or_b32 v27, v0 offset:8320
.LBB2_112:                              ;   in Loop: Header=BB2_22 Depth=1
	s_or_b32 exec_lo, exec_lo, s6
	s_waitcnt lgkmcnt(0)
	s_barrier
	buffer_gl0_inv
	ds_load_b32 v2, v27 offset:8320
	s_waitcnt lgkmcnt(0)
	s_barrier
	buffer_gl0_inv
.LBB2_113:                              ;   in Loop: Header=BB2_22 Depth=1
	s_mov_b32 s6, exec_lo
	v_cmpx_ne_u32_e32 0, v2
	s_xor_b32 s6, exec_lo, s6
	s_cbranch_execz .LBB2_117
; %bb.114:                              ;   in Loop: Header=BB2_22 Depth=1
	s_and_saveexec_b32 s50, s2
	s_cbranch_execz .LBB2_116
; %bb.115:                              ;   in Loop: Header=BB2_22 Depth=1
	s_add_i32 s51, s27, 1
	v_dual_mov_b32 v0, s8 :: v_dual_mov_b32 v1, s9
	v_mov_b32_e32 v2, s51
	flat_store_b32 v[0:1], v2 offset:640
.LBB2_116:                              ;   in Loop: Header=BB2_22 Depth=1
	s_or_b32 exec_lo, exec_lo, s50
.LBB2_117:                              ;   in Loop: Header=BB2_22 Depth=1
	s_and_not1_saveexec_b32 s6, s6
	s_cbranch_execz .LBB2_123
; %bb.118:                              ;   in Loop: Header=BB2_22 Depth=1
	s_and_saveexec_b32 s50, s2
	s_cbranch_execz .LBB2_122
; %bb.119:                              ;   in Loop: Header=BB2_22 Depth=1
	v_dual_mov_b32 v0, s8 :: v_dual_mov_b32 v1, s9
	flat_load_b32 v0, v[0:1] offset:640 glc
	s_waitcnt vmcnt(0) lgkmcnt(0)
	buffer_gl1_inv
	buffer_gl0_inv
	v_cmp_ge_u32_e32 vcc_lo, s27, v0
	s_and_b32 exec_lo, exec_lo, vcc_lo
	s_cbranch_execz .LBB2_122
; %bb.120:                              ;   in Loop: Header=BB2_22 Depth=1
	s_mov_b32 s51, 0
.LBB2_121:                              ;   Parent Loop BB2_22 Depth=1
                                        ; =>  This Inner Loop Header: Depth=2
	v_dual_mov_b32 v0, s8 :: v_dual_mov_b32 v1, s9
	s_sleep 1
	flat_load_b32 v0, v[0:1] offset:640 glc
	s_waitcnt vmcnt(0) lgkmcnt(0)
	buffer_gl1_inv
	buffer_gl0_inv
	v_readfirstlane_b32 s52, v0
	s_delay_alu instid0(VALU_DEP_1) | instskip(SKIP_1) | instid1(SALU_CYCLE_1)
	s_cmp_gt_u32 s52, s27
	s_cselect_b32 s52, -1, 0
	s_and_b32 s52, exec_lo, s52
	s_delay_alu instid0(SALU_CYCLE_1) | instskip(NEXT) | instid1(SALU_CYCLE_1)
	s_or_b32 s51, s52, s51
	s_and_not1_b32 exec_lo, exec_lo, s51
	s_cbranch_execnz .LBB2_121
.LBB2_122:                              ;   in Loop: Header=BB2_22 Depth=1
	s_or_b32 exec_lo, exec_lo, s50
	s_waitcnt lgkmcnt(0)
	s_waitcnt_vscnt null, 0x0
	s_barrier
	buffer_gl0_inv
.LBB2_123:                              ;   in Loop: Header=BB2_22 Depth=1
	s_or_b32 exec_lo, exec_lo, s6
	v_mov_b32_e32 v0, v30
	v_dual_mov_b32 v2, v28 :: v_dual_mov_b32 v1, v31
	v_mov_b32_e32 v3, v26
	s_mov_b32 s50, 0
.LBB2_124:                              ;   Parent Loop BB2_22 Depth=1
                                        ; =>  This Inner Loop Header: Depth=2
	global_load_b32 v4, v[0:1], off
	v_add_nc_u32_e32 v3, s40, v3
	v_add_co_u32 v0, vcc_lo, v0, s48
	v_add_co_ci_u32_e32 v1, vcc_lo, 0, v1, vcc_lo
	s_delay_alu instid0(VALU_DEP_3) | instskip(NEXT) | instid1(VALU_DEP_1)
	v_cmp_lt_u32_e64 s6, 0x3ff, v3
	s_or_b32 s50, s6, s50
	s_waitcnt vmcnt(0)
	ds_store_b32 v2, v4
	v_add_nc_u32_e32 v2, s48, v2
	s_and_not1_b32 exec_lo, exec_lo, s50
	s_cbranch_execnz .LBB2_124
; %bb.125:                              ;   in Loop: Header=BB2_22 Depth=1
	s_or_b32 exec_lo, exec_lo, s50
	s_waitcnt lgkmcnt(0)
	s_waitcnt_vscnt null, 0x0
	s_barrier
	buffer_gl0_inv
	flat_load_b32 v0, v[28:29] glc dlc
	s_waitcnt vmcnt(0) lgkmcnt(0)
	ds_store_b32 v45, v0
	s_waitcnt lgkmcnt(0)
	s_barrier
	buffer_gl0_inv
	ds_load_b32 v0, v45
	s_waitcnt lgkmcnt(0)
	s_barrier
	buffer_gl0_inv
	ds_store_b32 v25, v0
	s_waitcnt lgkmcnt(0)
	s_barrier
	buffer_gl0_inv
	s_and_saveexec_b32 s6, s4
	s_cbranch_execz .LBB2_127
; %bb.126:                              ;   in Loop: Header=BB2_22 Depth=1
	ds_load_2addr_b32 v[1:2], v49 offset1:1
	ds_load_2addr_b32 v[3:4], v49 offset0:2 offset1:3
	ds_load_2addr_b32 v[5:6], v49 offset0:4 offset1:5
	;; [unrolled: 1-line block ×3, first 2 shown]
	v_and_b32_e32 v65, 15, v50
	ds_load_2addr_b32 v[9:10], v49 offset0:8 offset1:9
	ds_load_2addr_b32 v[33:34], v49 offset0:10 offset1:11
	;; [unrolled: 1-line block ×4, first 2 shown]
	v_cmp_ne_u32_e32 vcc_lo, 0, v65
	ds_load_2addr_b32 v[39:40], v49 offset0:16 offset1:17
	ds_load_2addr_b32 v[51:52], v49 offset0:18 offset1:19
	;; [unrolled: 1-line block ×8, first 2 shown]
	v_bfe_i32 v67, v50, 4, 1
	s_waitcnt lgkmcnt(15)
	v_add_nc_u32_e32 v11, v2, v1
	s_waitcnt lgkmcnt(14)
	s_delay_alu instid0(VALU_DEP_1) | instskip(SKIP_1) | instid1(VALU_DEP_1)
	v_add3_u32 v11, v11, v3, v4
	s_waitcnt lgkmcnt(13)
	v_add3_u32 v11, v11, v5, v6
	s_waitcnt lgkmcnt(12)
	s_delay_alu instid0(VALU_DEP_1) | instskip(SKIP_1) | instid1(VALU_DEP_1)
	v_add3_u32 v11, v11, v7, v8
	s_waitcnt lgkmcnt(11)
	v_add3_u32 v11, v11, v9, v10
	;; [unrolled: 5-line block ×7, first 2 shown]
	s_waitcnt lgkmcnt(0)
	s_delay_alu instid0(VALU_DEP_1) | instskip(NEXT) | instid1(VALU_DEP_1)
	v_add3_u32 v11, v11, v63, v64
	v_mov_b32_dpp v66, v11 row_shr:1 row_mask:0xf bank_mask:0xf
	s_delay_alu instid0(VALU_DEP_1) | instskip(SKIP_1) | instid1(VALU_DEP_2)
	v_cndmask_b32_e32 v66, 0, v66, vcc_lo
	v_cmp_lt_u32_e32 vcc_lo, 1, v65
	v_add_nc_u32_e32 v11, v66, v11
	s_delay_alu instid0(VALU_DEP_1) | instskip(NEXT) | instid1(VALU_DEP_1)
	v_mov_b32_dpp v66, v11 row_shr:2 row_mask:0xf bank_mask:0xf
	v_cndmask_b32_e32 v66, 0, v66, vcc_lo
	v_cmp_lt_u32_e32 vcc_lo, 3, v65
	s_delay_alu instid0(VALU_DEP_2) | instskip(NEXT) | instid1(VALU_DEP_1)
	v_add_nc_u32_e32 v11, v11, v66
	v_mov_b32_dpp v66, v11 row_shr:4 row_mask:0xf bank_mask:0xf
	s_delay_alu instid0(VALU_DEP_1) | instskip(SKIP_1) | instid1(VALU_DEP_2)
	v_cndmask_b32_e32 v66, 0, v66, vcc_lo
	v_cmp_lt_u32_e32 vcc_lo, 7, v65
	v_add_nc_u32_e32 v11, v11, v66
	s_delay_alu instid0(VALU_DEP_1) | instskip(NEXT) | instid1(VALU_DEP_1)
	v_mov_b32_dpp v66, v11 row_shr:8 row_mask:0xf bank_mask:0xf
	v_cndmask_b32_e32 v65, 0, v66, vcc_lo
	v_add_nc_u32_e32 v66, -1, v50
	s_delay_alu instid0(VALU_DEP_2) | instskip(NEXT) | instid1(VALU_DEP_2)
	v_add_nc_u32_e32 v11, v11, v65
	v_cmp_gt_i32_e32 vcc_lo, 0, v66
	ds_swizzle_b32 v65, v11 offset:swizzle(BROADCAST,32,15)
	s_waitcnt lgkmcnt(0)
	v_dual_cndmask_b32 v66, v66, v50 :: v_dual_and_b32 v65, v67, v65
	s_delay_alu instid0(VALU_DEP_1) | instskip(NEXT) | instid1(VALU_DEP_2)
	v_lshlrev_b32_e32 v66, 2, v66
	v_add_nc_u32_e32 v11, v11, v65
	ds_bpermute_b32 v11, v66, v11
	s_waitcnt lgkmcnt(0)
	v_add_nc_u32_e32 v1, v11, v1
	s_delay_alu instid0(VALU_DEP_1) | instskip(NEXT) | instid1(VALU_DEP_1)
	v_cndmask_b32_e64 v0, v1, v0, s2
	v_add_nc_u32_e32 v1, v0, v2
	s_delay_alu instid0(VALU_DEP_1) | instskip(NEXT) | instid1(VALU_DEP_1)
	v_add_nc_u32_e32 v2, v1, v3
	v_add_nc_u32_e32 v3, v2, v4
	s_delay_alu instid0(VALU_DEP_1) | instskip(NEXT) | instid1(VALU_DEP_1)
	v_add_nc_u32_e32 v4, v3, v5
	;; [unrolled: 3-line block ×3, first 2 shown]
	v_add_nc_u32_e32 v7, v6, v8
	ds_store_2addr_b32 v49, v0, v1 offset1:1
	ds_store_2addr_b32 v49, v2, v3 offset0:2 offset1:3
	ds_store_2addr_b32 v49, v4, v5 offset0:4 offset1:5
	;; [unrolled: 1-line block ×3, first 2 shown]
	v_add_nc_u32_e32 v8, v7, v9
	s_delay_alu instid0(VALU_DEP_1) | instskip(NEXT) | instid1(VALU_DEP_1)
	v_add_nc_u32_e32 v9, v8, v10
	v_add_nc_u32_e32 v10, v9, v33
	s_delay_alu instid0(VALU_DEP_1) | instskip(NEXT) | instid1(VALU_DEP_1)
	v_add_nc_u32_e32 v11, v10, v34
	;; [unrolled: 3-line block ×3, first 2 shown]
	v_add_nc_u32_e32 v35, v34, v37
	s_delay_alu instid0(VALU_DEP_1)
	v_add_nc_u32_e32 v36, v35, v38
	ds_store_2addr_b32 v49, v8, v9 offset0:8 offset1:9
	ds_store_2addr_b32 v49, v10, v11 offset0:10 offset1:11
	;; [unrolled: 1-line block ×4, first 2 shown]
	v_add_nc_u32_e32 v37, v36, v39
	s_delay_alu instid0(VALU_DEP_1) | instskip(NEXT) | instid1(VALU_DEP_1)
	v_add_nc_u32_e32 v38, v37, v40
	v_add_nc_u32_e32 v39, v38, v51
	s_delay_alu instid0(VALU_DEP_1) | instskip(NEXT) | instid1(VALU_DEP_1)
	v_add_nc_u32_e32 v40, v39, v52
	;; [unrolled: 3-line block ×7, first 2 shown]
	v_add_nc_u32_e32 v0, v60, v63
	s_delay_alu instid0(VALU_DEP_1)
	v_add_nc_u32_e32 v1, v0, v64
	ds_store_2addr_b32 v49, v37, v38 offset0:16 offset1:17
	ds_store_2addr_b32 v49, v39, v40 offset0:18 offset1:19
	ds_store_2addr_b32 v49, v51, v52 offset0:20 offset1:21
	ds_store_2addr_b32 v49, v53, v54 offset0:22 offset1:23
	ds_store_2addr_b32 v49, v55, v56 offset0:24 offset1:25
	ds_store_2addr_b32 v49, v57, v58 offset0:26 offset1:27
	ds_store_2addr_b32 v49, v59, v60 offset0:28 offset1:29
	ds_store_2addr_b32 v49, v0, v1 offset0:30 offset1:31
.LBB2_127:                              ;   in Loop: Header=BB2_22 Depth=1
	s_or_b32 exec_lo, exec_lo, s6
	s_waitcnt lgkmcnt(0)
	s_barrier
	buffer_gl0_inv
	ds_load_b32 v0, v25
	s_waitcnt lgkmcnt(0)
	s_barrier
	buffer_gl0_inv
	v_mov_b32_e32 v3, v46
	v_mov_b32_e32 v4, v26
	s_mov_b32 s50, 0
	ds_store_b32 v45, v0
	s_waitcnt lgkmcnt(0)
	s_barrier
	buffer_gl0_inv
	ds_load_b32 v0, v45
	s_waitcnt lgkmcnt(0)
	flat_store_b32 v[28:29], v0 dlc
	s_waitcnt_vscnt null, 0x0
	s_waitcnt lgkmcnt(0)
	s_barrier
	buffer_gl0_inv
	ds_load_b32 v0, v27 offset:8576
	s_set_inst_prefetch_distance 0x1
	s_branch .LBB2_129
	.p2align	6
.LBB2_128:                              ;   in Loop: Header=BB2_129 Depth=2
	s_or_b32 exec_lo, exec_lo, s6
	v_add_nc_u32_e32 v4, s40, v4
	v_add_nc_u32_e32 v3, s48, v3
	s_delay_alu instid0(VALU_DEP_2) | instskip(SKIP_1) | instid1(SALU_CYCLE_1)
	v_cmp_lt_u32_e32 vcc_lo, 0x3ff, v4
	s_or_b32 s50, vcc_lo, s50
	s_and_not1_b32 exec_lo, exec_lo, s50
	s_cbranch_execz .LBB2_133
.LBB2_129:                              ;   Parent Loop BB2_22 Depth=1
                                        ; =>  This Inner Loop Header: Depth=2
	v_mov_b32_e32 v2, 0
	s_mov_b32 s6, exec_lo
	v_cmpx_ne_u32_e32 0, v4
	s_cbranch_execz .LBB2_131
; %bb.130:                              ;   in Loop: Header=BB2_129 Depth=2
	ds_load_b32 v2, v3
.LBB2_131:                              ;   in Loop: Header=BB2_129 Depth=2
	s_or_b32 exec_lo, exec_lo, s6
	ds_load_b32 v5, v3 offset:4
	s_waitcnt lgkmcnt(1)
	v_cmp_gt_i32_e32 vcc_lo, v32, v2
	s_waitcnt lgkmcnt(0)
	v_cmp_ge_i32_e64 s6, v5, v32
	s_delay_alu instid0(VALU_DEP_1) | instskip(NEXT) | instid1(SALU_CYCLE_1)
	s_and_b32 s51, vcc_lo, s6
	s_and_saveexec_b32 s6, s51
	s_cbranch_execz .LBB2_128
; %bb.132:                              ;   in Loop: Header=BB2_129 Depth=2
	v_sub_nc_u32_e32 v1, v32, v2
	v_sub_nc_u32_e32 v2, v5, v2
	v_lshl_or_b32 v0, v4, s49, v0
	ds_store_b96 v27, v[0:2] offset:8576
	s_branch .LBB2_128
.LBB2_133:                              ;   in Loop: Header=BB2_22 Depth=1
	s_set_inst_prefetch_distance 0x2
	s_or_b32 exec_lo, exec_lo, s50
	s_cmp_eq_u32 s27, 3
	s_waitcnt lgkmcnt(0)
	s_barrier
	buffer_gl0_inv
	s_cbranch_scc0 .LBB2_618
; %bb.134:                              ;   in Loop: Header=BB2_22 Depth=1
	ds_load_b64 v[32:33], v27 offset:8576
	s_and_saveexec_b32 s6, s5
	s_cbranch_execz .LBB2_136
; %bb.135:                              ;   in Loop: Header=BB2_22 Depth=1
	s_waitcnt lgkmcnt(0)
	s_clause 0x1
	global_store_b32 v27, v33, s[8:9]
	global_store_b32 v27, v32, s[8:9] offset:12
.LBB2_136:                              ;   in Loop: Header=BB2_22 Depth=1
	s_or_b32 exec_lo, exec_lo, s6
	v_mov_b32_e32 v34, v24
	s_and_saveexec_b32 s6, s3
	s_cbranch_execz .LBB2_492
; %bb.137:                              ;   in Loop: Header=BB2_22 Depth=1
	v_dual_mov_b32 v37, v23 :: v_dual_mov_b32 v36, v22
	v_dual_mov_b32 v35, v21 :: v_dual_mov_b32 v34, v20
	s_mov_b32 s49, 0
	s_branch .LBB2_139
.LBB2_138:                              ;   in Loop: Header=BB2_139 Depth=2
	s_or_b32 exec_lo, exec_lo, s50
	v_add_nc_u32_e32 v34, s31, v34
	s_delay_alu instid0(VALU_DEP_1) | instskip(SKIP_1) | instid1(VALU_DEP_2)
	v_ashrrev_i32_e32 v35, 31, v34
	v_add_co_u32 v36, vcc_lo, s37, v34
	v_add_co_ci_u32_e32 v37, vcc_lo, s38, v35, vcc_lo
	s_delay_alu instid0(VALU_DEP_1) | instskip(SKIP_1) | instid1(SALU_CYCLE_1)
	v_cmp_le_u64_e32 vcc_lo, s[18:19], v[36:37]
	s_or_b32 s49, vcc_lo, s49
	s_and_not1_b32 exec_lo, exec_lo, s49
	s_cbranch_execz .LBB2_491
.LBB2_139:                              ;   Parent Loop BB2_22 Depth=1
                                        ; =>  This Inner Loop Header: Depth=2
	s_delay_alu instid0(VALU_DEP_1) | instskip(SKIP_2) | instid1(VALU_DEP_1)
	v_lshlrev_b64 v[0:1], 4, v[34:35]
	s_mov_b32 s51, 0
	s_mov_b32 s50, exec_lo
                                        ; implicit-def: $vgpr11
                                        ; implicit-def: $vgpr38_vgpr39
	v_add_co_u32 v4, vcc_lo, s26, v0
	s_waitcnt vmcnt(0)
	s_delay_alu instid0(VALU_DEP_2) | instskip(NEXT) | instid1(VALU_DEP_2)
	v_add_co_ci_u32_e32 v5, vcc_lo, s30, v1, vcc_lo
	v_add_co_u32 v8, vcc_lo, v4, s22
	global_load_b128 v[0:3], v[4:5], off
	v_add_co_ci_u32_e32 v9, vcc_lo, s23, v5, vcc_lo
	global_load_b128 v[4:7], v[8:9], off
	s_waitcnt vmcnt(1)
	v_cmp_gt_i32_e32 vcc_lo, 0, v0
	v_cndmask_b32_e64 v10, 0x7fffffff, 0, vcc_lo
	s_delay_alu instid0(VALU_DEP_1) | instskip(SKIP_2) | instid1(VALU_DEP_2)
	v_xor_b32_e32 v35, v10, v0
	v_lshl_add_u32 v10, v34, 2, s20
	s_waitcnt lgkmcnt(0)
	v_cmpx_ge_u32_e64 v35, v32
	s_xor_b32 s50, exec_lo, s50
	s_cbranch_execz .LBB2_146
; %bb.140:                              ;   in Loop: Header=BB2_139 Depth=2
	s_mov_b32 s52, 0
	s_mov_b32 s51, exec_lo
                                        ; implicit-def: $vgpr11
                                        ; implicit-def: $vgpr38_vgpr39
	v_cmpx_eq_u32_e64 v35, v32
	s_cbranch_execz .LBB2_158
; %bb.141:                              ;   in Loop: Header=BB2_139 Depth=2
	s_mov_b32 s53, exec_lo
	s_mov_b32 s52, exec_lo
	v_mbcnt_lo_u32_b32 v11, s53, 0
                                        ; implicit-def: $vgpr35
	s_delay_alu instid0(VALU_DEP_1)
	v_cmpx_eq_u32_e32 0, v11
	s_cbranch_execz .LBB2_143
; %bb.142:                              ;   in Loop: Header=BB2_139 Depth=2
	s_bcnt1_i32_b32 s53, s53
	s_delay_alu instid0(SALU_CYCLE_1)
	v_mov_b32_e32 v35, s53
	global_atomic_add_u32 v35, v27, v35, s[8:9] offset:512 glc
.LBB2_143:                              ;   in Loop: Header=BB2_139 Depth=2
	s_or_b32 exec_lo, exec_lo, s52
	s_waitcnt vmcnt(0)
	v_readfirstlane_b32 s52, v35
	s_mov_b32 s53, 0
                                        ; implicit-def: $vgpr38_vgpr39
	s_delay_alu instid0(VALU_DEP_1) | instskip(SKIP_1) | instid1(VALU_DEP_1)
	v_add_nc_u32_e32 v35, s52, v11
	s_mov_b32 s52, exec_lo
                                        ; implicit-def: $vgpr11
	v_cmpx_lt_i32_e64 v35, v33
	s_xor_b32 s52, exec_lo, s52
	s_cbranch_execz .LBB2_157
; %bb.144:                              ;   in Loop: Header=BB2_139 Depth=2
	v_xad_u32 v38, v35, -1, s39
	s_delay_alu instid0(VALU_DEP_1) | instskip(NEXT) | instid1(VALU_DEP_1)
	v_ashrrev_i32_e32 v39, 31, v38
	v_lshlrev_b64 v[51:52], 2, v[38:39]
	s_delay_alu instid0(VALU_DEP_1) | instskip(NEXT) | instid1(VALU_DEP_2)
	v_add_co_u32 v51, vcc_lo, s28, v51
	v_add_co_ci_u32_e32 v52, vcc_lo, s29, v52, vcc_lo
	s_and_not1_b32 vcc_lo, exec_lo, s11
	global_store_b32 v[51:52], v0, off
	s_cbranch_vccnz .LBB2_154
; %bb.145:                              ;   in Loop: Header=BB2_139 Depth=2
	v_ashrrev_i32_e32 v11, 31, v10
	s_delay_alu instid0(VALU_DEP_1) | instskip(NEXT) | instid1(VALU_DEP_1)
	v_lshlrev_b64 v[51:52], 2, v[10:11]
	v_add_co_u32 v51, vcc_lo, s16, v51
	s_delay_alu instid0(VALU_DEP_2)
	v_add_co_ci_u32_e32 v52, vcc_lo, s17, v52, vcc_lo
	global_load_b32 v11, v[51:52], off
	s_and_not1_b32 vcc_lo, exec_lo, s53
	s_cbranch_vccz .LBB2_155
	s_branch .LBB2_156
.LBB2_146:                              ;   in Loop: Header=BB2_139 Depth=2
	s_and_not1_saveexec_b32 s50, s50
	s_cbranch_execz .LBB2_159
.LBB2_147:                              ;   in Loop: Header=BB2_139 Depth=2
	s_mov_b32 s53, exec_lo
	s_mov_b32 s52, exec_lo
	s_waitcnt vmcnt(0)
	v_mbcnt_lo_u32_b32 v11, s53, 0
                                        ; implicit-def: $vgpr35
	s_delay_alu instid0(VALU_DEP_1)
	v_cmpx_eq_u32_e32 0, v11
	s_cbranch_execz .LBB2_149
; %bb.148:                              ;   in Loop: Header=BB2_139 Depth=2
	s_bcnt1_i32_b32 s53, s53
	s_delay_alu instid0(SALU_CYCLE_1)
	v_mov_b32_e32 v35, s53
	global_atomic_add_u32 v35, v27, v35, s[8:9] offset:384 glc
.LBB2_149:                              ;   in Loop: Header=BB2_139 Depth=2
	s_or_b32 exec_lo, exec_lo, s52
	s_waitcnt vmcnt(0)
	v_readfirstlane_b32 s52, v35
	s_delay_alu instid0(VALU_DEP_1) | instskip(NEXT) | instid1(VALU_DEP_1)
	v_add_nc_u32_e32 v38, s52, v11
	v_ashrrev_i32_e32 v39, 31, v38
	s_delay_alu instid0(VALU_DEP_1) | instskip(NEXT) | instid1(VALU_DEP_1)
	v_lshlrev_b64 v[51:52], 2, v[38:39]
	v_add_co_u32 v51, vcc_lo, s28, v51
	s_delay_alu instid0(VALU_DEP_2)
	v_add_co_ci_u32_e32 v52, vcc_lo, s29, v52, vcc_lo
	s_and_not1_b32 vcc_lo, exec_lo, s11
	global_store_b32 v[51:52], v0, off
	s_cbranch_vccnz .LBB2_151
; %bb.150:                              ;   in Loop: Header=BB2_139 Depth=2
	v_ashrrev_i32_e32 v11, 31, v10
	s_delay_alu instid0(VALU_DEP_1) | instskip(NEXT) | instid1(VALU_DEP_1)
	v_lshlrev_b64 v[51:52], 2, v[10:11]
	v_add_co_u32 v51, vcc_lo, s16, v51
	s_delay_alu instid0(VALU_DEP_2)
	v_add_co_ci_u32_e32 v52, vcc_lo, s17, v52, vcc_lo
	global_load_b32 v11, v[51:52], off
	s_cbranch_execz .LBB2_152
	s_branch .LBB2_153
.LBB2_151:                              ;   in Loop: Header=BB2_139 Depth=2
                                        ; implicit-def: $vgpr11
.LBB2_152:                              ;   in Loop: Header=BB2_139 Depth=2
	s_waitcnt vmcnt(0)
	v_add_nc_u32_e32 v11, s12, v10
.LBB2_153:                              ;   in Loop: Header=BB2_139 Depth=2
	s_or_b32 s51, s51, exec_lo
	s_or_b32 exec_lo, exec_lo, s50
	s_and_saveexec_b32 s50, s51
	s_cbranch_execnz .LBB2_160
	s_branch .LBB2_161
.LBB2_154:                              ;   in Loop: Header=BB2_139 Depth=2
                                        ; implicit-def: $vgpr11
.LBB2_155:                              ;   in Loop: Header=BB2_139 Depth=2
	s_waitcnt vmcnt(0)
	v_add_nc_u32_e32 v11, s12, v10
.LBB2_156:                              ;   in Loop: Header=BB2_139 Depth=2
	s_mov_b32 s53, exec_lo
.LBB2_157:                              ;   in Loop: Header=BB2_139 Depth=2
	s_or_b32 exec_lo, exec_lo, s52
	s_delay_alu instid0(SALU_CYCLE_1)
	s_and_b32 s52, s53, exec_lo
.LBB2_158:                              ;   in Loop: Header=BB2_139 Depth=2
	s_or_b32 exec_lo, exec_lo, s51
	s_delay_alu instid0(SALU_CYCLE_1)
	s_and_b32 s51, s52, exec_lo
	s_and_not1_saveexec_b32 s50, s50
	s_cbranch_execnz .LBB2_147
.LBB2_159:                              ;   in Loop: Header=BB2_139 Depth=2
	s_or_b32 exec_lo, exec_lo, s50
	s_and_saveexec_b32 s50, s51
	s_cbranch_execz .LBB2_161
.LBB2_160:                              ;   in Loop: Header=BB2_139 Depth=2
	v_lshlrev_b64 v[38:39], 2, v[38:39]
	s_delay_alu instid0(VALU_DEP_1) | instskip(NEXT) | instid1(VALU_DEP_2)
	v_add_co_u32 v38, vcc_lo, s13, v38
	v_add_co_ci_u32_e32 v39, vcc_lo, s15, v39, vcc_lo
	s_waitcnt vmcnt(0)
	global_store_b32 v[38:39], v11, off
.LBB2_161:                              ;   in Loop: Header=BB2_139 Depth=2
	s_or_b32 exec_lo, exec_lo, s50
	v_cmp_gt_i32_e32 vcc_lo, 0, v1
	s_mov_b32 s51, 0
	s_mov_b32 s50, exec_lo
                                        ; implicit-def: $vgpr11
                                        ; implicit-def: $vgpr38_vgpr39
	v_cndmask_b32_e64 v0, 0x7fffffff, 0, vcc_lo
	s_delay_alu instid0(VALU_DEP_1) | instskip(SKIP_1) | instid1(VALU_DEP_2)
	v_xor_b32_e32 v35, v0, v1
	v_add_nc_u32_e32 v0, 1, v10
	v_cmpx_ge_u32_e64 v35, v32
	s_xor_b32 s50, exec_lo, s50
	s_cbranch_execz .LBB2_168
; %bb.162:                              ;   in Loop: Header=BB2_139 Depth=2
	s_mov_b32 s52, 0
	s_mov_b32 s51, exec_lo
                                        ; implicit-def: $vgpr11
                                        ; implicit-def: $vgpr38_vgpr39
	v_cmpx_eq_u32_e64 v35, v32
	s_cbranch_execz .LBB2_180
; %bb.163:                              ;   in Loop: Header=BB2_139 Depth=2
	s_mov_b32 s53, exec_lo
	s_mov_b32 s52, exec_lo
	s_waitcnt vmcnt(0)
	v_mbcnt_lo_u32_b32 v11, s53, 0
                                        ; implicit-def: $vgpr35
	s_delay_alu instid0(VALU_DEP_1)
	v_cmpx_eq_u32_e32 0, v11
	s_cbranch_execz .LBB2_165
; %bb.164:                              ;   in Loop: Header=BB2_139 Depth=2
	s_bcnt1_i32_b32 s53, s53
	s_delay_alu instid0(SALU_CYCLE_1)
	v_mov_b32_e32 v35, s53
	global_atomic_add_u32 v35, v27, v35, s[8:9] offset:512 glc
.LBB2_165:                              ;   in Loop: Header=BB2_139 Depth=2
	s_or_b32 exec_lo, exec_lo, s52
	s_waitcnt vmcnt(0)
	v_readfirstlane_b32 s52, v35
	s_mov_b32 s53, 0
                                        ; implicit-def: $vgpr38_vgpr39
	s_delay_alu instid0(VALU_DEP_1) | instskip(SKIP_1) | instid1(VALU_DEP_1)
	v_add_nc_u32_e32 v35, s52, v11
	s_mov_b32 s52, exec_lo
                                        ; implicit-def: $vgpr11
	v_cmpx_lt_i32_e64 v35, v33
	s_cbranch_execz .LBB2_179
; %bb.166:                              ;   in Loop: Header=BB2_139 Depth=2
	v_xad_u32 v38, v35, -1, s39
	s_delay_alu instid0(VALU_DEP_1) | instskip(NEXT) | instid1(VALU_DEP_1)
	v_ashrrev_i32_e32 v39, 31, v38
	v_lshlrev_b64 v[51:52], 2, v[38:39]
	s_delay_alu instid0(VALU_DEP_1) | instskip(NEXT) | instid1(VALU_DEP_2)
	v_add_co_u32 v51, vcc_lo, s28, v51
	v_add_co_ci_u32_e32 v52, vcc_lo, s29, v52, vcc_lo
	s_and_not1_b32 vcc_lo, exec_lo, s11
	global_store_b32 v[51:52], v1, off
	s_cbranch_vccnz .LBB2_176
; %bb.167:                              ;   in Loop: Header=BB2_139 Depth=2
	v_ashrrev_i32_e32 v11, 31, v10
	s_delay_alu instid0(VALU_DEP_1) | instskip(NEXT) | instid1(VALU_DEP_1)
	v_lshlrev_b64 v[51:52], 2, v[10:11]
	v_add_co_u32 v51, vcc_lo, s14, v51
	s_delay_alu instid0(VALU_DEP_2)
	v_add_co_ci_u32_e32 v52, vcc_lo, s21, v52, vcc_lo
	global_load_b32 v11, v[51:52], off
	s_and_not1_b32 vcc_lo, exec_lo, s53
	s_cbranch_vccz .LBB2_177
	s_branch .LBB2_178
.LBB2_168:                              ;   in Loop: Header=BB2_139 Depth=2
	s_and_not1_saveexec_b32 s50, s50
	s_cbranch_execz .LBB2_181
.LBB2_169:                              ;   in Loop: Header=BB2_139 Depth=2
	s_mov_b32 s53, exec_lo
	s_mov_b32 s52, exec_lo
	s_waitcnt vmcnt(0)
	v_mbcnt_lo_u32_b32 v11, s53, 0
                                        ; implicit-def: $vgpr35
	s_delay_alu instid0(VALU_DEP_1)
	v_cmpx_eq_u32_e32 0, v11
	s_cbranch_execz .LBB2_171
; %bb.170:                              ;   in Loop: Header=BB2_139 Depth=2
	s_bcnt1_i32_b32 s53, s53
	s_delay_alu instid0(SALU_CYCLE_1)
	v_mov_b32_e32 v35, s53
	global_atomic_add_u32 v35, v27, v35, s[8:9] offset:384 glc
.LBB2_171:                              ;   in Loop: Header=BB2_139 Depth=2
	s_or_b32 exec_lo, exec_lo, s52
	s_waitcnt vmcnt(0)
	v_readfirstlane_b32 s52, v35
	s_delay_alu instid0(VALU_DEP_1) | instskip(NEXT) | instid1(VALU_DEP_1)
	v_add_nc_u32_e32 v38, s52, v11
	v_ashrrev_i32_e32 v39, 31, v38
	s_delay_alu instid0(VALU_DEP_1) | instskip(NEXT) | instid1(VALU_DEP_1)
	v_lshlrev_b64 v[51:52], 2, v[38:39]
	v_add_co_u32 v51, vcc_lo, s28, v51
	s_delay_alu instid0(VALU_DEP_2)
	v_add_co_ci_u32_e32 v52, vcc_lo, s29, v52, vcc_lo
	s_and_not1_b32 vcc_lo, exec_lo, s11
	global_store_b32 v[51:52], v1, off
	s_cbranch_vccnz .LBB2_173
; %bb.172:                              ;   in Loop: Header=BB2_139 Depth=2
	v_ashrrev_i32_e32 v11, 31, v10
	s_delay_alu instid0(VALU_DEP_1) | instskip(NEXT) | instid1(VALU_DEP_1)
	v_lshlrev_b64 v[51:52], 2, v[10:11]
	v_add_co_u32 v51, vcc_lo, s14, v51
	s_delay_alu instid0(VALU_DEP_2)
	v_add_co_ci_u32_e32 v52, vcc_lo, s21, v52, vcc_lo
	global_load_b32 v11, v[51:52], off
	s_cbranch_execz .LBB2_174
	s_branch .LBB2_175
.LBB2_173:                              ;   in Loop: Header=BB2_139 Depth=2
                                        ; implicit-def: $vgpr11
.LBB2_174:                              ;   in Loop: Header=BB2_139 Depth=2
	s_waitcnt vmcnt(0)
	v_add_nc_u32_e32 v11, s12, v0
.LBB2_175:                              ;   in Loop: Header=BB2_139 Depth=2
	s_or_b32 s51, s51, exec_lo
	s_or_b32 exec_lo, exec_lo, s50
	s_and_saveexec_b32 s50, s51
	s_cbranch_execnz .LBB2_182
	s_branch .LBB2_183
.LBB2_176:                              ;   in Loop: Header=BB2_139 Depth=2
                                        ; implicit-def: $vgpr11
.LBB2_177:                              ;   in Loop: Header=BB2_139 Depth=2
	s_waitcnt vmcnt(0)
	v_add_nc_u32_e32 v11, s12, v0
.LBB2_178:                              ;   in Loop: Header=BB2_139 Depth=2
	s_mov_b32 s53, exec_lo
.LBB2_179:                              ;   in Loop: Header=BB2_139 Depth=2
	s_or_b32 exec_lo, exec_lo, s52
	s_delay_alu instid0(SALU_CYCLE_1)
	s_and_b32 s52, s53, exec_lo
.LBB2_180:                              ;   in Loop: Header=BB2_139 Depth=2
	s_or_b32 exec_lo, exec_lo, s51
	s_delay_alu instid0(SALU_CYCLE_1)
	s_and_b32 s51, s52, exec_lo
                                        ; implicit-def: $vgpr0
	s_and_not1_saveexec_b32 s50, s50
	s_cbranch_execnz .LBB2_169
.LBB2_181:                              ;   in Loop: Header=BB2_139 Depth=2
	s_or_b32 exec_lo, exec_lo, s50
	s_and_saveexec_b32 s50, s51
	s_cbranch_execz .LBB2_183
.LBB2_182:                              ;   in Loop: Header=BB2_139 Depth=2
	v_lshlrev_b64 v[0:1], 2, v[38:39]
	s_delay_alu instid0(VALU_DEP_1) | instskip(NEXT) | instid1(VALU_DEP_2)
	v_add_co_u32 v0, vcc_lo, s13, v0
	v_add_co_ci_u32_e32 v1, vcc_lo, s15, v1, vcc_lo
	s_waitcnt vmcnt(0)
	global_store_b32 v[0:1], v11, off
.LBB2_183:                              ;   in Loop: Header=BB2_139 Depth=2
	s_or_b32 exec_lo, exec_lo, s50
	v_cmp_gt_i32_e32 vcc_lo, 0, v2
	v_add_nc_u32_e32 v35, 2, v10
	s_mov_b32 s51, 0
	s_mov_b32 s50, exec_lo
                                        ; implicit-def: $vgpr11
	v_cndmask_b32_e64 v0, 0x7fffffff, 0, vcc_lo
	s_delay_alu instid0(VALU_DEP_1) | instskip(NEXT) | instid1(VALU_DEP_1)
	v_xor_b32_e32 v38, v0, v2
                                        ; implicit-def: $vgpr0_vgpr1
	v_cmpx_ge_u32_e64 v38, v32
	s_xor_b32 s50, exec_lo, s50
	s_cbranch_execz .LBB2_190
; %bb.184:                              ;   in Loop: Header=BB2_139 Depth=2
	s_mov_b32 s52, 0
	s_mov_b32 s51, exec_lo
                                        ; implicit-def: $vgpr11
                                        ; implicit-def: $vgpr0_vgpr1
	v_cmpx_eq_u32_e64 v38, v32
	s_cbranch_execz .LBB2_202
; %bb.185:                              ;   in Loop: Header=BB2_139 Depth=2
	s_mov_b32 s53, exec_lo
	s_mov_b32 s52, exec_lo
	v_mbcnt_lo_u32_b32 v0, s53, 0
                                        ; implicit-def: $vgpr1
	s_delay_alu instid0(VALU_DEP_1)
	v_cmpx_eq_u32_e32 0, v0
	s_cbranch_execz .LBB2_187
; %bb.186:                              ;   in Loop: Header=BB2_139 Depth=2
	s_bcnt1_i32_b32 s53, s53
	s_delay_alu instid0(SALU_CYCLE_1)
	v_mov_b32_e32 v1, s53
	global_atomic_add_u32 v1, v27, v1, s[8:9] offset:512 glc
.LBB2_187:                              ;   in Loop: Header=BB2_139 Depth=2
	s_or_b32 exec_lo, exec_lo, s52
	s_waitcnt vmcnt(0)
	v_readfirstlane_b32 s52, v1
	s_mov_b32 s53, 0
                                        ; implicit-def: $vgpr11
	s_delay_alu instid0(VALU_DEP_1) | instskip(SKIP_1) | instid1(VALU_DEP_1)
	v_add_nc_u32_e32 v38, s52, v0
	s_mov_b32 s52, exec_lo
                                        ; implicit-def: $vgpr0_vgpr1
	v_cmpx_lt_i32_e64 v38, v33
	s_cbranch_execz .LBB2_201
; %bb.188:                              ;   in Loop: Header=BB2_139 Depth=2
	v_xad_u32 v0, v38, -1, s39
	s_delay_alu instid0(VALU_DEP_1) | instskip(NEXT) | instid1(VALU_DEP_1)
	v_ashrrev_i32_e32 v1, 31, v0
	v_lshlrev_b64 v[38:39], 2, v[0:1]
	s_delay_alu instid0(VALU_DEP_1) | instskip(NEXT) | instid1(VALU_DEP_2)
	v_add_co_u32 v38, vcc_lo, s28, v38
	v_add_co_ci_u32_e32 v39, vcc_lo, s29, v39, vcc_lo
	s_and_not1_b32 vcc_lo, exec_lo, s11
	global_store_b32 v[38:39], v2, off
	s_cbranch_vccnz .LBB2_198
; %bb.189:                              ;   in Loop: Header=BB2_139 Depth=2
	v_ashrrev_i32_e32 v11, 31, v10
	s_delay_alu instid0(VALU_DEP_1) | instskip(NEXT) | instid1(VALU_DEP_1)
	v_lshlrev_b64 v[38:39], 2, v[10:11]
	v_add_co_u32 v38, vcc_lo, s33, v38
	s_delay_alu instid0(VALU_DEP_2)
	v_add_co_ci_u32_e32 v39, vcc_lo, s34, v39, vcc_lo
	global_load_b32 v11, v[38:39], off
	s_and_not1_b32 vcc_lo, exec_lo, s53
	s_cbranch_vccz .LBB2_199
	s_branch .LBB2_200
.LBB2_190:                              ;   in Loop: Header=BB2_139 Depth=2
	s_and_not1_saveexec_b32 s50, s50
	s_cbranch_execz .LBB2_203
.LBB2_191:                              ;   in Loop: Header=BB2_139 Depth=2
	s_mov_b32 s53, exec_lo
	s_mov_b32 s52, exec_lo
	v_mbcnt_lo_u32_b32 v0, s53, 0
                                        ; implicit-def: $vgpr1
	s_delay_alu instid0(VALU_DEP_1)
	v_cmpx_eq_u32_e32 0, v0
	s_cbranch_execz .LBB2_193
; %bb.192:                              ;   in Loop: Header=BB2_139 Depth=2
	s_bcnt1_i32_b32 s53, s53
	s_delay_alu instid0(SALU_CYCLE_1)
	v_mov_b32_e32 v1, s53
	global_atomic_add_u32 v1, v27, v1, s[8:9] offset:384 glc
.LBB2_193:                              ;   in Loop: Header=BB2_139 Depth=2
	s_or_b32 exec_lo, exec_lo, s52
	s_waitcnt vmcnt(0)
	v_readfirstlane_b32 s52, v1
	s_delay_alu instid0(VALU_DEP_1) | instskip(NEXT) | instid1(VALU_DEP_1)
	v_add_nc_u32_e32 v0, s52, v0
	v_ashrrev_i32_e32 v1, 31, v0
	s_delay_alu instid0(VALU_DEP_1) | instskip(NEXT) | instid1(VALU_DEP_1)
	v_lshlrev_b64 v[38:39], 2, v[0:1]
	v_add_co_u32 v38, vcc_lo, s28, v38
	s_delay_alu instid0(VALU_DEP_2)
	v_add_co_ci_u32_e32 v39, vcc_lo, s29, v39, vcc_lo
	s_and_not1_b32 vcc_lo, exec_lo, s11
	global_store_b32 v[38:39], v2, off
	s_cbranch_vccnz .LBB2_195
; %bb.194:                              ;   in Loop: Header=BB2_139 Depth=2
	v_ashrrev_i32_e32 v11, 31, v10
	s_delay_alu instid0(VALU_DEP_1) | instskip(NEXT) | instid1(VALU_DEP_1)
	v_lshlrev_b64 v[38:39], 2, v[10:11]
	v_add_co_u32 v38, vcc_lo, s33, v38
	s_delay_alu instid0(VALU_DEP_2)
	v_add_co_ci_u32_e32 v39, vcc_lo, s34, v39, vcc_lo
	global_load_b32 v11, v[38:39], off
	s_cbranch_execz .LBB2_196
	s_branch .LBB2_197
.LBB2_195:                              ;   in Loop: Header=BB2_139 Depth=2
                                        ; implicit-def: $vgpr11
.LBB2_196:                              ;   in Loop: Header=BB2_139 Depth=2
	s_waitcnt vmcnt(0)
	v_add_nc_u32_e32 v11, s12, v35
.LBB2_197:                              ;   in Loop: Header=BB2_139 Depth=2
	s_or_b32 s51, s51, exec_lo
	s_or_b32 exec_lo, exec_lo, s50
	s_and_saveexec_b32 s50, s51
	s_cbranch_execnz .LBB2_204
	s_branch .LBB2_205
.LBB2_198:                              ;   in Loop: Header=BB2_139 Depth=2
                                        ; implicit-def: $vgpr11
.LBB2_199:                              ;   in Loop: Header=BB2_139 Depth=2
	s_waitcnt vmcnt(0)
	v_add_nc_u32_e32 v11, s12, v35
.LBB2_200:                              ;   in Loop: Header=BB2_139 Depth=2
	s_mov_b32 s53, exec_lo
.LBB2_201:                              ;   in Loop: Header=BB2_139 Depth=2
	s_or_b32 exec_lo, exec_lo, s52
	s_delay_alu instid0(SALU_CYCLE_1)
	s_and_b32 s52, s53, exec_lo
.LBB2_202:                              ;   in Loop: Header=BB2_139 Depth=2
	s_or_b32 exec_lo, exec_lo, s51
	s_delay_alu instid0(SALU_CYCLE_1)
	s_and_b32 s51, s52, exec_lo
                                        ; implicit-def: $vgpr35
	s_and_not1_saveexec_b32 s50, s50
	s_cbranch_execnz .LBB2_191
.LBB2_203:                              ;   in Loop: Header=BB2_139 Depth=2
	s_or_b32 exec_lo, exec_lo, s50
	s_and_saveexec_b32 s50, s51
	s_cbranch_execz .LBB2_205
.LBB2_204:                              ;   in Loop: Header=BB2_139 Depth=2
	v_lshlrev_b64 v[0:1], 2, v[0:1]
	s_delay_alu instid0(VALU_DEP_1) | instskip(NEXT) | instid1(VALU_DEP_2)
	v_add_co_u32 v0, vcc_lo, s13, v0
	v_add_co_ci_u32_e32 v1, vcc_lo, s15, v1, vcc_lo
	s_waitcnt vmcnt(0)
	global_store_b32 v[0:1], v11, off
.LBB2_205:                              ;   in Loop: Header=BB2_139 Depth=2
	s_or_b32 exec_lo, exec_lo, s50
	v_cmp_gt_i32_e32 vcc_lo, 0, v3
	v_add_nc_u32_e32 v35, 3, v10
	s_mov_b32 s51, 0
	s_mov_b32 s50, exec_lo
                                        ; implicit-def: $vgpr11
                                        ; implicit-def: $vgpr38_vgpr39
	v_cndmask_b32_e64 v0, 0x7fffffff, 0, vcc_lo
	s_delay_alu instid0(VALU_DEP_1) | instskip(NEXT) | instid1(VALU_DEP_1)
	v_xor_b32_e32 v0, v0, v3
	v_cmpx_ge_u32_e64 v0, v32
	s_xor_b32 s50, exec_lo, s50
	s_cbranch_execz .LBB2_212
; %bb.206:                              ;   in Loop: Header=BB2_139 Depth=2
	s_mov_b32 s52, 0
	s_mov_b32 s51, exec_lo
                                        ; implicit-def: $vgpr11
                                        ; implicit-def: $vgpr38_vgpr39
	v_cmpx_eq_u32_e64 v0, v32
	s_cbranch_execz .LBB2_224
; %bb.207:                              ;   in Loop: Header=BB2_139 Depth=2
	s_mov_b32 s53, exec_lo
	s_mov_b32 s52, exec_lo
	v_mbcnt_lo_u32_b32 v0, s53, 0
                                        ; implicit-def: $vgpr1
	s_delay_alu instid0(VALU_DEP_1)
	v_cmpx_eq_u32_e32 0, v0
	s_cbranch_execz .LBB2_209
; %bb.208:                              ;   in Loop: Header=BB2_139 Depth=2
	s_bcnt1_i32_b32 s53, s53
	s_delay_alu instid0(SALU_CYCLE_1)
	v_mov_b32_e32 v1, s53
	global_atomic_add_u32 v1, v27, v1, s[8:9] offset:512 glc
.LBB2_209:                              ;   in Loop: Header=BB2_139 Depth=2
	s_or_b32 exec_lo, exec_lo, s52
	s_waitcnt vmcnt(0)
	v_readfirstlane_b32 s52, v1
	s_mov_b32 s53, 0
                                        ; implicit-def: $vgpr11
                                        ; implicit-def: $vgpr38_vgpr39
	s_delay_alu instid0(VALU_DEP_1) | instskip(SKIP_1) | instid1(VALU_DEP_1)
	v_add_nc_u32_e32 v0, s52, v0
	s_mov_b32 s52, exec_lo
	v_cmpx_lt_i32_e64 v0, v33
	s_cbranch_execz .LBB2_223
; %bb.210:                              ;   in Loop: Header=BB2_139 Depth=2
	v_xad_u32 v38, v0, -1, s39
	s_delay_alu instid0(VALU_DEP_1) | instskip(NEXT) | instid1(VALU_DEP_1)
	v_ashrrev_i32_e32 v39, 31, v38
	v_lshlrev_b64 v[0:1], 2, v[38:39]
	s_delay_alu instid0(VALU_DEP_1) | instskip(NEXT) | instid1(VALU_DEP_2)
	v_add_co_u32 v0, vcc_lo, s28, v0
	v_add_co_ci_u32_e32 v1, vcc_lo, s29, v1, vcc_lo
	s_and_not1_b32 vcc_lo, exec_lo, s11
	global_store_b32 v[0:1], v3, off
	s_cbranch_vccnz .LBB2_220
; %bb.211:                              ;   in Loop: Header=BB2_139 Depth=2
	v_ashrrev_i32_e32 v11, 31, v10
	s_delay_alu instid0(VALU_DEP_1) | instskip(NEXT) | instid1(VALU_DEP_1)
	v_lshlrev_b64 v[0:1], 2, v[10:11]
	v_add_co_u32 v0, vcc_lo, s35, v0
	s_delay_alu instid0(VALU_DEP_2)
	v_add_co_ci_u32_e32 v1, vcc_lo, s36, v1, vcc_lo
	global_load_b32 v11, v[0:1], off
	s_and_not1_b32 vcc_lo, exec_lo, s53
	s_cbranch_vccz .LBB2_221
	s_branch .LBB2_222
.LBB2_212:                              ;   in Loop: Header=BB2_139 Depth=2
	s_and_not1_saveexec_b32 s50, s50
	s_cbranch_execz .LBB2_225
.LBB2_213:                              ;   in Loop: Header=BB2_139 Depth=2
	s_mov_b32 s53, exec_lo
	s_mov_b32 s52, exec_lo
	v_mbcnt_lo_u32_b32 v0, s53, 0
                                        ; implicit-def: $vgpr1
	s_delay_alu instid0(VALU_DEP_1)
	v_cmpx_eq_u32_e32 0, v0
	s_cbranch_execz .LBB2_215
; %bb.214:                              ;   in Loop: Header=BB2_139 Depth=2
	s_bcnt1_i32_b32 s53, s53
	s_delay_alu instid0(SALU_CYCLE_1)
	v_mov_b32_e32 v1, s53
	global_atomic_add_u32 v1, v27, v1, s[8:9] offset:384 glc
.LBB2_215:                              ;   in Loop: Header=BB2_139 Depth=2
	s_or_b32 exec_lo, exec_lo, s52
	s_waitcnt vmcnt(0)
	v_readfirstlane_b32 s52, v1
	s_delay_alu instid0(VALU_DEP_1) | instskip(NEXT) | instid1(VALU_DEP_1)
	v_add_nc_u32_e32 v38, s52, v0
	v_ashrrev_i32_e32 v39, 31, v38
	s_delay_alu instid0(VALU_DEP_1) | instskip(NEXT) | instid1(VALU_DEP_1)
	v_lshlrev_b64 v[0:1], 2, v[38:39]
	v_add_co_u32 v0, vcc_lo, s28, v0
	s_delay_alu instid0(VALU_DEP_2)
	v_add_co_ci_u32_e32 v1, vcc_lo, s29, v1, vcc_lo
	s_and_not1_b32 vcc_lo, exec_lo, s11
	global_store_b32 v[0:1], v3, off
	s_cbranch_vccnz .LBB2_217
; %bb.216:                              ;   in Loop: Header=BB2_139 Depth=2
	v_ashrrev_i32_e32 v11, 31, v10
	s_delay_alu instid0(VALU_DEP_1) | instskip(NEXT) | instid1(VALU_DEP_1)
	v_lshlrev_b64 v[0:1], 2, v[10:11]
	v_add_co_u32 v0, vcc_lo, s35, v0
	s_delay_alu instid0(VALU_DEP_2)
	v_add_co_ci_u32_e32 v1, vcc_lo, s36, v1, vcc_lo
	global_load_b32 v11, v[0:1], off
	s_cbranch_execz .LBB2_218
	s_branch .LBB2_219
.LBB2_217:                              ;   in Loop: Header=BB2_139 Depth=2
                                        ; implicit-def: $vgpr11
.LBB2_218:                              ;   in Loop: Header=BB2_139 Depth=2
	s_waitcnt vmcnt(0)
	v_add_nc_u32_e32 v11, s12, v35
.LBB2_219:                              ;   in Loop: Header=BB2_139 Depth=2
	s_or_b32 s51, s51, exec_lo
	s_or_b32 exec_lo, exec_lo, s50
	s_and_saveexec_b32 s50, s51
	s_cbranch_execnz .LBB2_226
	s_branch .LBB2_227
.LBB2_220:                              ;   in Loop: Header=BB2_139 Depth=2
                                        ; implicit-def: $vgpr11
.LBB2_221:                              ;   in Loop: Header=BB2_139 Depth=2
	s_waitcnt vmcnt(0)
	v_add_nc_u32_e32 v11, s12, v35
.LBB2_222:                              ;   in Loop: Header=BB2_139 Depth=2
	s_mov_b32 s53, exec_lo
.LBB2_223:                              ;   in Loop: Header=BB2_139 Depth=2
	s_or_b32 exec_lo, exec_lo, s52
	s_delay_alu instid0(SALU_CYCLE_1)
	s_and_b32 s52, s53, exec_lo
.LBB2_224:                              ;   in Loop: Header=BB2_139 Depth=2
	s_or_b32 exec_lo, exec_lo, s51
	s_delay_alu instid0(SALU_CYCLE_1)
	s_and_b32 s51, s52, exec_lo
                                        ; implicit-def: $vgpr35
                                        ; implicit-def: $vgpr10
                                        ; implicit-def: $vgpr0_vgpr1_vgpr2_vgpr3
	s_and_not1_saveexec_b32 s50, s50
	s_cbranch_execnz .LBB2_213
.LBB2_225:                              ;   in Loop: Header=BB2_139 Depth=2
	s_or_b32 exec_lo, exec_lo, s50
	s_and_saveexec_b32 s50, s51
	s_cbranch_execz .LBB2_227
.LBB2_226:                              ;   in Loop: Header=BB2_139 Depth=2
	v_lshlrev_b64 v[0:1], 2, v[38:39]
	s_delay_alu instid0(VALU_DEP_1) | instskip(NEXT) | instid1(VALU_DEP_2)
	v_add_co_u32 v0, vcc_lo, s13, v0
	v_add_co_ci_u32_e32 v1, vcc_lo, s15, v1, vcc_lo
	s_waitcnt vmcnt(0)
	global_store_b32 v[0:1], v11, off
.LBB2_227:                              ;   in Loop: Header=BB2_139 Depth=2
	s_or_b32 exec_lo, exec_lo, s50
	v_lshlrev_b64 v[0:1], 4, v[36:37]
	v_add_co_u32 v2, vcc_lo, v8, s22
	v_add_co_ci_u32_e32 v3, vcc_lo, s23, v9, vcc_lo
	v_add_co_u32 v35, null, v34, s10
	s_delay_alu instid0(VALU_DEP_4)
	v_add_co_u32 v0, vcc_lo, s26, v0
	v_add_co_ci_u32_e32 v1, vcc_lo, s30, v1, vcc_lo
	s_waitcnt vmcnt(0)
	v_cmp_gt_i32_e32 vcc_lo, 0, v4
	s_clause 0x1
	global_load_b128 v[8:11], v[2:3], off
	global_load_b128 v[0:3], v[0:1], off
	s_mov_b32 s51, 0
	s_mov_b32 s50, exec_lo
	v_cndmask_b32_e64 v37, 0x7fffffff, 0, vcc_lo
                                        ; implicit-def: $vgpr38
                                        ; implicit-def: $vgpr39_vgpr40
	s_delay_alu instid0(VALU_DEP_1) | instskip(SKIP_1) | instid1(VALU_DEP_2)
	v_xor_b32_e32 v51, v37, v4
	v_lshl_add_u32 v37, v35, 2, s20
	v_cmpx_ge_u32_e64 v51, v32
	s_xor_b32 s50, exec_lo, s50
	s_cbranch_execz .LBB2_234
; %bb.228:                              ;   in Loop: Header=BB2_139 Depth=2
	s_mov_b32 s52, 0
	s_mov_b32 s51, exec_lo
                                        ; implicit-def: $vgpr38
                                        ; implicit-def: $vgpr39_vgpr40
	v_cmpx_eq_u32_e64 v51, v32
	s_cbranch_execz .LBB2_246
; %bb.229:                              ;   in Loop: Header=BB2_139 Depth=2
	s_mov_b32 s53, exec_lo
	s_mov_b32 s52, exec_lo
	v_mbcnt_lo_u32_b32 v38, s53, 0
                                        ; implicit-def: $vgpr39
	s_delay_alu instid0(VALU_DEP_1)
	v_cmpx_eq_u32_e32 0, v38
	s_cbranch_execz .LBB2_231
; %bb.230:                              ;   in Loop: Header=BB2_139 Depth=2
	s_bcnt1_i32_b32 s53, s53
	s_delay_alu instid0(SALU_CYCLE_1)
	v_mov_b32_e32 v39, s53
	global_atomic_add_u32 v39, v27, v39, s[8:9] offset:512 glc
.LBB2_231:                              ;   in Loop: Header=BB2_139 Depth=2
	s_or_b32 exec_lo, exec_lo, s52
	s_waitcnt vmcnt(0)
	v_readfirstlane_b32 s52, v39
	s_mov_b32 s53, 0
                                        ; implicit-def: $vgpr39_vgpr40
	s_delay_alu instid0(VALU_DEP_1) | instskip(SKIP_1) | instid1(VALU_DEP_1)
	v_add_nc_u32_e32 v51, s52, v38
	s_mov_b32 s52, exec_lo
                                        ; implicit-def: $vgpr38
	v_cmpx_lt_i32_e64 v51, v33
	s_xor_b32 s52, exec_lo, s52
	s_cbranch_execz .LBB2_245
; %bb.232:                              ;   in Loop: Header=BB2_139 Depth=2
	v_xad_u32 v39, v51, -1, s39
	s_delay_alu instid0(VALU_DEP_1) | instskip(NEXT) | instid1(VALU_DEP_1)
	v_ashrrev_i32_e32 v40, 31, v39
	v_lshlrev_b64 v[51:52], 2, v[39:40]
	s_delay_alu instid0(VALU_DEP_1) | instskip(NEXT) | instid1(VALU_DEP_2)
	v_add_co_u32 v51, vcc_lo, s28, v51
	v_add_co_ci_u32_e32 v52, vcc_lo, s29, v52, vcc_lo
	s_and_not1_b32 vcc_lo, exec_lo, s11
	global_store_b32 v[51:52], v4, off
	s_cbranch_vccnz .LBB2_242
; %bb.233:                              ;   in Loop: Header=BB2_139 Depth=2
	v_ashrrev_i32_e32 v38, 31, v37
	s_delay_alu instid0(VALU_DEP_1) | instskip(NEXT) | instid1(VALU_DEP_1)
	v_lshlrev_b64 v[51:52], 2, v[37:38]
	v_add_co_u32 v51, vcc_lo, s16, v51
	s_delay_alu instid0(VALU_DEP_2)
	v_add_co_ci_u32_e32 v52, vcc_lo, s17, v52, vcc_lo
	global_load_b32 v38, v[51:52], off
	s_and_not1_b32 vcc_lo, exec_lo, s53
	s_cbranch_vccz .LBB2_243
	s_branch .LBB2_244
.LBB2_234:                              ;   in Loop: Header=BB2_139 Depth=2
	s_and_not1_saveexec_b32 s50, s50
	s_cbranch_execz .LBB2_247
.LBB2_235:                              ;   in Loop: Header=BB2_139 Depth=2
	s_mov_b32 s53, exec_lo
	s_mov_b32 s52, exec_lo
	s_waitcnt vmcnt(0)
	v_mbcnt_lo_u32_b32 v38, s53, 0
                                        ; implicit-def: $vgpr39
	s_delay_alu instid0(VALU_DEP_1)
	v_cmpx_eq_u32_e32 0, v38
	s_cbranch_execz .LBB2_237
; %bb.236:                              ;   in Loop: Header=BB2_139 Depth=2
	s_bcnt1_i32_b32 s53, s53
	s_delay_alu instid0(SALU_CYCLE_1)
	v_mov_b32_e32 v39, s53
	global_atomic_add_u32 v39, v27, v39, s[8:9] offset:384 glc
.LBB2_237:                              ;   in Loop: Header=BB2_139 Depth=2
	s_or_b32 exec_lo, exec_lo, s52
	s_waitcnt vmcnt(0)
	v_readfirstlane_b32 s52, v39
	s_delay_alu instid0(VALU_DEP_1) | instskip(NEXT) | instid1(VALU_DEP_1)
	v_add_nc_u32_e32 v39, s52, v38
	v_ashrrev_i32_e32 v40, 31, v39
	s_delay_alu instid0(VALU_DEP_1) | instskip(NEXT) | instid1(VALU_DEP_1)
	v_lshlrev_b64 v[51:52], 2, v[39:40]
	v_add_co_u32 v51, vcc_lo, s28, v51
	s_delay_alu instid0(VALU_DEP_2)
	v_add_co_ci_u32_e32 v52, vcc_lo, s29, v52, vcc_lo
	s_and_not1_b32 vcc_lo, exec_lo, s11
	global_store_b32 v[51:52], v4, off
	s_cbranch_vccnz .LBB2_239
; %bb.238:                              ;   in Loop: Header=BB2_139 Depth=2
	v_ashrrev_i32_e32 v38, 31, v37
	s_delay_alu instid0(VALU_DEP_1) | instskip(NEXT) | instid1(VALU_DEP_1)
	v_lshlrev_b64 v[51:52], 2, v[37:38]
	v_add_co_u32 v51, vcc_lo, s16, v51
	s_delay_alu instid0(VALU_DEP_2)
	v_add_co_ci_u32_e32 v52, vcc_lo, s17, v52, vcc_lo
	global_load_b32 v38, v[51:52], off
	s_cbranch_execz .LBB2_240
	s_branch .LBB2_241
.LBB2_239:                              ;   in Loop: Header=BB2_139 Depth=2
                                        ; implicit-def: $vgpr38
.LBB2_240:                              ;   in Loop: Header=BB2_139 Depth=2
	s_waitcnt vmcnt(0)
	v_add_nc_u32_e32 v38, s12, v37
.LBB2_241:                              ;   in Loop: Header=BB2_139 Depth=2
	s_or_b32 s51, s51, exec_lo
	s_or_b32 exec_lo, exec_lo, s50
	s_and_saveexec_b32 s50, s51
	s_cbranch_execnz .LBB2_248
	s_branch .LBB2_249
.LBB2_242:                              ;   in Loop: Header=BB2_139 Depth=2
                                        ; implicit-def: $vgpr38
.LBB2_243:                              ;   in Loop: Header=BB2_139 Depth=2
	s_waitcnt vmcnt(0)
	v_add_nc_u32_e32 v38, s12, v37
.LBB2_244:                              ;   in Loop: Header=BB2_139 Depth=2
	s_mov_b32 s53, exec_lo
.LBB2_245:                              ;   in Loop: Header=BB2_139 Depth=2
	s_or_b32 exec_lo, exec_lo, s52
	s_delay_alu instid0(SALU_CYCLE_1)
	s_and_b32 s52, s53, exec_lo
.LBB2_246:                              ;   in Loop: Header=BB2_139 Depth=2
	s_or_b32 exec_lo, exec_lo, s51
	s_delay_alu instid0(SALU_CYCLE_1)
	s_and_b32 s51, s52, exec_lo
	s_and_not1_saveexec_b32 s50, s50
	s_cbranch_execnz .LBB2_235
.LBB2_247:                              ;   in Loop: Header=BB2_139 Depth=2
	s_or_b32 exec_lo, exec_lo, s50
	s_and_saveexec_b32 s50, s51
	s_cbranch_execz .LBB2_249
.LBB2_248:                              ;   in Loop: Header=BB2_139 Depth=2
	v_lshlrev_b64 v[39:40], 2, v[39:40]
	s_delay_alu instid0(VALU_DEP_1) | instskip(NEXT) | instid1(VALU_DEP_2)
	v_add_co_u32 v39, vcc_lo, s13, v39
	v_add_co_ci_u32_e32 v40, vcc_lo, s15, v40, vcc_lo
	s_waitcnt vmcnt(0)
	global_store_b32 v[39:40], v38, off
.LBB2_249:                              ;   in Loop: Header=BB2_139 Depth=2
	s_or_b32 exec_lo, exec_lo, s50
	v_cmp_gt_i32_e32 vcc_lo, 0, v5
	s_mov_b32 s51, 0
	s_mov_b32 s50, exec_lo
                                        ; implicit-def: $vgpr38
                                        ; implicit-def: $vgpr39_vgpr40
	v_cndmask_b32_e64 v4, 0x7fffffff, 0, vcc_lo
	s_delay_alu instid0(VALU_DEP_1) | instskip(SKIP_1) | instid1(VALU_DEP_2)
	v_xor_b32_e32 v51, v4, v5
	v_add_nc_u32_e32 v4, 1, v37
	v_cmpx_ge_u32_e64 v51, v32
	s_xor_b32 s50, exec_lo, s50
	s_cbranch_execz .LBB2_256
; %bb.250:                              ;   in Loop: Header=BB2_139 Depth=2
	s_mov_b32 s52, 0
	s_mov_b32 s51, exec_lo
                                        ; implicit-def: $vgpr38
                                        ; implicit-def: $vgpr39_vgpr40
	v_cmpx_eq_u32_e64 v51, v32
	s_cbranch_execz .LBB2_268
; %bb.251:                              ;   in Loop: Header=BB2_139 Depth=2
	s_mov_b32 s53, exec_lo
	s_mov_b32 s52, exec_lo
	s_waitcnt vmcnt(0)
	v_mbcnt_lo_u32_b32 v38, s53, 0
                                        ; implicit-def: $vgpr39
	s_delay_alu instid0(VALU_DEP_1)
	v_cmpx_eq_u32_e32 0, v38
	s_cbranch_execz .LBB2_253
; %bb.252:                              ;   in Loop: Header=BB2_139 Depth=2
	s_bcnt1_i32_b32 s53, s53
	s_delay_alu instid0(SALU_CYCLE_1)
	v_mov_b32_e32 v39, s53
	global_atomic_add_u32 v39, v27, v39, s[8:9] offset:512 glc
.LBB2_253:                              ;   in Loop: Header=BB2_139 Depth=2
	s_or_b32 exec_lo, exec_lo, s52
	s_waitcnt vmcnt(0)
	v_readfirstlane_b32 s52, v39
	s_mov_b32 s53, 0
                                        ; implicit-def: $vgpr39_vgpr40
	s_delay_alu instid0(VALU_DEP_1) | instskip(SKIP_1) | instid1(VALU_DEP_1)
	v_add_nc_u32_e32 v51, s52, v38
	s_mov_b32 s52, exec_lo
                                        ; implicit-def: $vgpr38
	v_cmpx_lt_i32_e64 v51, v33
	s_cbranch_execz .LBB2_267
; %bb.254:                              ;   in Loop: Header=BB2_139 Depth=2
	v_xad_u32 v39, v51, -1, s39
	s_delay_alu instid0(VALU_DEP_1) | instskip(NEXT) | instid1(VALU_DEP_1)
	v_ashrrev_i32_e32 v40, 31, v39
	v_lshlrev_b64 v[51:52], 2, v[39:40]
	s_delay_alu instid0(VALU_DEP_1) | instskip(NEXT) | instid1(VALU_DEP_2)
	v_add_co_u32 v51, vcc_lo, s28, v51
	v_add_co_ci_u32_e32 v52, vcc_lo, s29, v52, vcc_lo
	s_and_not1_b32 vcc_lo, exec_lo, s11
	global_store_b32 v[51:52], v5, off
	s_cbranch_vccnz .LBB2_264
; %bb.255:                              ;   in Loop: Header=BB2_139 Depth=2
	v_ashrrev_i32_e32 v38, 31, v37
	s_delay_alu instid0(VALU_DEP_1) | instskip(NEXT) | instid1(VALU_DEP_1)
	v_lshlrev_b64 v[51:52], 2, v[37:38]
	v_add_co_u32 v51, vcc_lo, s14, v51
	s_delay_alu instid0(VALU_DEP_2)
	v_add_co_ci_u32_e32 v52, vcc_lo, s21, v52, vcc_lo
	global_load_b32 v38, v[51:52], off
	s_and_not1_b32 vcc_lo, exec_lo, s53
	s_cbranch_vccz .LBB2_265
	s_branch .LBB2_266
.LBB2_256:                              ;   in Loop: Header=BB2_139 Depth=2
	s_and_not1_saveexec_b32 s50, s50
	s_cbranch_execz .LBB2_269
.LBB2_257:                              ;   in Loop: Header=BB2_139 Depth=2
	s_mov_b32 s53, exec_lo
	s_mov_b32 s52, exec_lo
	s_waitcnt vmcnt(0)
	v_mbcnt_lo_u32_b32 v38, s53, 0
                                        ; implicit-def: $vgpr39
	s_delay_alu instid0(VALU_DEP_1)
	v_cmpx_eq_u32_e32 0, v38
	s_cbranch_execz .LBB2_259
; %bb.258:                              ;   in Loop: Header=BB2_139 Depth=2
	s_bcnt1_i32_b32 s53, s53
	s_delay_alu instid0(SALU_CYCLE_1)
	v_mov_b32_e32 v39, s53
	global_atomic_add_u32 v39, v27, v39, s[8:9] offset:384 glc
.LBB2_259:                              ;   in Loop: Header=BB2_139 Depth=2
	s_or_b32 exec_lo, exec_lo, s52
	s_waitcnt vmcnt(0)
	v_readfirstlane_b32 s52, v39
	s_delay_alu instid0(VALU_DEP_1) | instskip(NEXT) | instid1(VALU_DEP_1)
	v_add_nc_u32_e32 v39, s52, v38
	v_ashrrev_i32_e32 v40, 31, v39
	s_delay_alu instid0(VALU_DEP_1) | instskip(NEXT) | instid1(VALU_DEP_1)
	v_lshlrev_b64 v[51:52], 2, v[39:40]
	v_add_co_u32 v51, vcc_lo, s28, v51
	s_delay_alu instid0(VALU_DEP_2)
	v_add_co_ci_u32_e32 v52, vcc_lo, s29, v52, vcc_lo
	s_and_not1_b32 vcc_lo, exec_lo, s11
	global_store_b32 v[51:52], v5, off
	s_cbranch_vccnz .LBB2_261
; %bb.260:                              ;   in Loop: Header=BB2_139 Depth=2
	v_ashrrev_i32_e32 v38, 31, v37
	s_delay_alu instid0(VALU_DEP_1) | instskip(NEXT) | instid1(VALU_DEP_1)
	v_lshlrev_b64 v[51:52], 2, v[37:38]
	v_add_co_u32 v51, vcc_lo, s14, v51
	s_delay_alu instid0(VALU_DEP_2)
	v_add_co_ci_u32_e32 v52, vcc_lo, s21, v52, vcc_lo
	global_load_b32 v38, v[51:52], off
	s_cbranch_execz .LBB2_262
	s_branch .LBB2_263
.LBB2_261:                              ;   in Loop: Header=BB2_139 Depth=2
                                        ; implicit-def: $vgpr38
.LBB2_262:                              ;   in Loop: Header=BB2_139 Depth=2
	s_waitcnt vmcnt(0)
	v_add_nc_u32_e32 v38, s12, v4
.LBB2_263:                              ;   in Loop: Header=BB2_139 Depth=2
	s_or_b32 s51, s51, exec_lo
	s_or_b32 exec_lo, exec_lo, s50
	s_and_saveexec_b32 s50, s51
	s_cbranch_execnz .LBB2_270
	s_branch .LBB2_271
.LBB2_264:                              ;   in Loop: Header=BB2_139 Depth=2
                                        ; implicit-def: $vgpr38
.LBB2_265:                              ;   in Loop: Header=BB2_139 Depth=2
	s_waitcnt vmcnt(0)
	v_add_nc_u32_e32 v38, s12, v4
.LBB2_266:                              ;   in Loop: Header=BB2_139 Depth=2
	s_mov_b32 s53, exec_lo
.LBB2_267:                              ;   in Loop: Header=BB2_139 Depth=2
	s_or_b32 exec_lo, exec_lo, s52
	s_delay_alu instid0(SALU_CYCLE_1)
	s_and_b32 s52, s53, exec_lo
.LBB2_268:                              ;   in Loop: Header=BB2_139 Depth=2
	s_or_b32 exec_lo, exec_lo, s51
	s_delay_alu instid0(SALU_CYCLE_1)
	s_and_b32 s51, s52, exec_lo
                                        ; implicit-def: $vgpr4
	s_and_not1_saveexec_b32 s50, s50
	s_cbranch_execnz .LBB2_257
.LBB2_269:                              ;   in Loop: Header=BB2_139 Depth=2
	s_or_b32 exec_lo, exec_lo, s50
	s_and_saveexec_b32 s50, s51
	s_cbranch_execz .LBB2_271
.LBB2_270:                              ;   in Loop: Header=BB2_139 Depth=2
	v_lshlrev_b64 v[4:5], 2, v[39:40]
	s_delay_alu instid0(VALU_DEP_1) | instskip(NEXT) | instid1(VALU_DEP_2)
	v_add_co_u32 v4, vcc_lo, s13, v4
	v_add_co_ci_u32_e32 v5, vcc_lo, s15, v5, vcc_lo
	s_waitcnt vmcnt(0)
	global_store_b32 v[4:5], v38, off
.LBB2_271:                              ;   in Loop: Header=BB2_139 Depth=2
	s_or_b32 exec_lo, exec_lo, s50
	v_cmp_gt_i32_e32 vcc_lo, 0, v6
	v_add_nc_u32_e32 v39, 2, v37
	s_mov_b32 s51, 0
	s_mov_b32 s50, exec_lo
                                        ; implicit-def: $vgpr38
	v_cndmask_b32_e64 v4, 0x7fffffff, 0, vcc_lo
	s_delay_alu instid0(VALU_DEP_1) | instskip(NEXT) | instid1(VALU_DEP_1)
	v_xor_b32_e32 v40, v4, v6
                                        ; implicit-def: $vgpr4_vgpr5
	v_cmpx_ge_u32_e64 v40, v32
	s_xor_b32 s50, exec_lo, s50
	s_cbranch_execz .LBB2_278
; %bb.272:                              ;   in Loop: Header=BB2_139 Depth=2
	s_mov_b32 s52, 0
	s_mov_b32 s51, exec_lo
                                        ; implicit-def: $vgpr38
                                        ; implicit-def: $vgpr4_vgpr5
	v_cmpx_eq_u32_e64 v40, v32
	s_cbranch_execz .LBB2_290
; %bb.273:                              ;   in Loop: Header=BB2_139 Depth=2
	s_mov_b32 s53, exec_lo
	s_mov_b32 s52, exec_lo
	v_mbcnt_lo_u32_b32 v4, s53, 0
                                        ; implicit-def: $vgpr5
	s_delay_alu instid0(VALU_DEP_1)
	v_cmpx_eq_u32_e32 0, v4
	s_cbranch_execz .LBB2_275
; %bb.274:                              ;   in Loop: Header=BB2_139 Depth=2
	s_bcnt1_i32_b32 s53, s53
	s_delay_alu instid0(SALU_CYCLE_1)
	v_mov_b32_e32 v5, s53
	global_atomic_add_u32 v5, v27, v5, s[8:9] offset:512 glc
.LBB2_275:                              ;   in Loop: Header=BB2_139 Depth=2
	s_or_b32 exec_lo, exec_lo, s52
	s_waitcnt vmcnt(0)
	v_readfirstlane_b32 s52, v5
	s_mov_b32 s53, 0
                                        ; implicit-def: $vgpr38
	s_delay_alu instid0(VALU_DEP_1) | instskip(SKIP_1) | instid1(VALU_DEP_1)
	v_add_nc_u32_e32 v40, s52, v4
	s_mov_b32 s52, exec_lo
                                        ; implicit-def: $vgpr4_vgpr5
	v_cmpx_lt_i32_e64 v40, v33
	s_cbranch_execz .LBB2_289
; %bb.276:                              ;   in Loop: Header=BB2_139 Depth=2
	v_xad_u32 v4, v40, -1, s39
	s_delay_alu instid0(VALU_DEP_1) | instskip(NEXT) | instid1(VALU_DEP_1)
	v_ashrrev_i32_e32 v5, 31, v4
	v_lshlrev_b64 v[51:52], 2, v[4:5]
	s_delay_alu instid0(VALU_DEP_1) | instskip(NEXT) | instid1(VALU_DEP_2)
	v_add_co_u32 v51, vcc_lo, s28, v51
	v_add_co_ci_u32_e32 v52, vcc_lo, s29, v52, vcc_lo
	s_and_not1_b32 vcc_lo, exec_lo, s11
	global_store_b32 v[51:52], v6, off
	s_cbranch_vccnz .LBB2_286
; %bb.277:                              ;   in Loop: Header=BB2_139 Depth=2
	v_ashrrev_i32_e32 v38, 31, v37
	s_delay_alu instid0(VALU_DEP_1) | instskip(NEXT) | instid1(VALU_DEP_1)
	v_lshlrev_b64 v[51:52], 2, v[37:38]
	v_add_co_u32 v51, vcc_lo, s33, v51
	s_delay_alu instid0(VALU_DEP_2)
	v_add_co_ci_u32_e32 v52, vcc_lo, s34, v52, vcc_lo
	global_load_b32 v38, v[51:52], off
	s_and_not1_b32 vcc_lo, exec_lo, s53
	s_cbranch_vccz .LBB2_287
	s_branch .LBB2_288
.LBB2_278:                              ;   in Loop: Header=BB2_139 Depth=2
	s_and_not1_saveexec_b32 s50, s50
	s_cbranch_execz .LBB2_291
.LBB2_279:                              ;   in Loop: Header=BB2_139 Depth=2
	s_mov_b32 s53, exec_lo
	s_mov_b32 s52, exec_lo
	v_mbcnt_lo_u32_b32 v4, s53, 0
                                        ; implicit-def: $vgpr5
	s_delay_alu instid0(VALU_DEP_1)
	v_cmpx_eq_u32_e32 0, v4
	s_cbranch_execz .LBB2_281
; %bb.280:                              ;   in Loop: Header=BB2_139 Depth=2
	s_bcnt1_i32_b32 s53, s53
	s_delay_alu instid0(SALU_CYCLE_1)
	v_mov_b32_e32 v5, s53
	global_atomic_add_u32 v5, v27, v5, s[8:9] offset:384 glc
.LBB2_281:                              ;   in Loop: Header=BB2_139 Depth=2
	s_or_b32 exec_lo, exec_lo, s52
	s_waitcnt vmcnt(0)
	v_readfirstlane_b32 s52, v5
	s_delay_alu instid0(VALU_DEP_1) | instskip(NEXT) | instid1(VALU_DEP_1)
	v_add_nc_u32_e32 v4, s52, v4
	v_ashrrev_i32_e32 v5, 31, v4
	s_delay_alu instid0(VALU_DEP_1) | instskip(NEXT) | instid1(VALU_DEP_1)
	v_lshlrev_b64 v[51:52], 2, v[4:5]
	v_add_co_u32 v51, vcc_lo, s28, v51
	s_delay_alu instid0(VALU_DEP_2)
	v_add_co_ci_u32_e32 v52, vcc_lo, s29, v52, vcc_lo
	s_and_not1_b32 vcc_lo, exec_lo, s11
	global_store_b32 v[51:52], v6, off
	s_cbranch_vccnz .LBB2_283
; %bb.282:                              ;   in Loop: Header=BB2_139 Depth=2
	v_ashrrev_i32_e32 v38, 31, v37
	s_delay_alu instid0(VALU_DEP_1) | instskip(NEXT) | instid1(VALU_DEP_1)
	v_lshlrev_b64 v[51:52], 2, v[37:38]
	v_add_co_u32 v51, vcc_lo, s33, v51
	s_delay_alu instid0(VALU_DEP_2)
	v_add_co_ci_u32_e32 v52, vcc_lo, s34, v52, vcc_lo
	global_load_b32 v38, v[51:52], off
	s_cbranch_execz .LBB2_284
	s_branch .LBB2_285
.LBB2_283:                              ;   in Loop: Header=BB2_139 Depth=2
                                        ; implicit-def: $vgpr38
.LBB2_284:                              ;   in Loop: Header=BB2_139 Depth=2
	s_waitcnt vmcnt(0)
	v_add_nc_u32_e32 v38, s12, v39
.LBB2_285:                              ;   in Loop: Header=BB2_139 Depth=2
	s_or_b32 s51, s51, exec_lo
	s_or_b32 exec_lo, exec_lo, s50
	s_and_saveexec_b32 s50, s51
	s_cbranch_execnz .LBB2_292
	s_branch .LBB2_293
.LBB2_286:                              ;   in Loop: Header=BB2_139 Depth=2
                                        ; implicit-def: $vgpr38
.LBB2_287:                              ;   in Loop: Header=BB2_139 Depth=2
	s_waitcnt vmcnt(0)
	v_add_nc_u32_e32 v38, s12, v39
.LBB2_288:                              ;   in Loop: Header=BB2_139 Depth=2
	s_mov_b32 s53, exec_lo
.LBB2_289:                              ;   in Loop: Header=BB2_139 Depth=2
	s_or_b32 exec_lo, exec_lo, s52
	s_delay_alu instid0(SALU_CYCLE_1)
	s_and_b32 s52, s53, exec_lo
.LBB2_290:                              ;   in Loop: Header=BB2_139 Depth=2
	s_or_b32 exec_lo, exec_lo, s51
	s_delay_alu instid0(SALU_CYCLE_1)
	s_and_b32 s51, s52, exec_lo
                                        ; implicit-def: $vgpr39
	s_and_not1_saveexec_b32 s50, s50
	s_cbranch_execnz .LBB2_279
.LBB2_291:                              ;   in Loop: Header=BB2_139 Depth=2
	s_or_b32 exec_lo, exec_lo, s50
	s_and_saveexec_b32 s50, s51
	s_cbranch_execz .LBB2_293
.LBB2_292:                              ;   in Loop: Header=BB2_139 Depth=2
	v_lshlrev_b64 v[4:5], 2, v[4:5]
	s_delay_alu instid0(VALU_DEP_1) | instskip(NEXT) | instid1(VALU_DEP_2)
	v_add_co_u32 v4, vcc_lo, s13, v4
	v_add_co_ci_u32_e32 v5, vcc_lo, s15, v5, vcc_lo
	s_waitcnt vmcnt(0)
	global_store_b32 v[4:5], v38, off
.LBB2_293:                              ;   in Loop: Header=BB2_139 Depth=2
	s_or_b32 exec_lo, exec_lo, s50
	v_cmp_gt_i32_e32 vcc_lo, 0, v7
	v_add_nc_u32_e32 v51, 3, v37
	s_mov_b32 s51, 0
	s_mov_b32 s50, exec_lo
                                        ; implicit-def: $vgpr38
                                        ; implicit-def: $vgpr39_vgpr40
	v_cndmask_b32_e64 v4, 0x7fffffff, 0, vcc_lo
	s_delay_alu instid0(VALU_DEP_1) | instskip(NEXT) | instid1(VALU_DEP_1)
	v_xor_b32_e32 v4, v4, v7
	v_cmpx_ge_u32_e64 v4, v32
	s_xor_b32 s50, exec_lo, s50
	s_cbranch_execz .LBB2_300
; %bb.294:                              ;   in Loop: Header=BB2_139 Depth=2
	s_mov_b32 s52, 0
	s_mov_b32 s51, exec_lo
                                        ; implicit-def: $vgpr38
                                        ; implicit-def: $vgpr39_vgpr40
	v_cmpx_eq_u32_e64 v4, v32
	s_cbranch_execz .LBB2_312
; %bb.295:                              ;   in Loop: Header=BB2_139 Depth=2
	s_mov_b32 s53, exec_lo
	s_mov_b32 s52, exec_lo
	v_mbcnt_lo_u32_b32 v4, s53, 0
                                        ; implicit-def: $vgpr5
	s_delay_alu instid0(VALU_DEP_1)
	v_cmpx_eq_u32_e32 0, v4
	s_cbranch_execz .LBB2_297
; %bb.296:                              ;   in Loop: Header=BB2_139 Depth=2
	s_bcnt1_i32_b32 s53, s53
	s_delay_alu instid0(SALU_CYCLE_1)
	v_mov_b32_e32 v5, s53
	global_atomic_add_u32 v5, v27, v5, s[8:9] offset:512 glc
.LBB2_297:                              ;   in Loop: Header=BB2_139 Depth=2
	s_or_b32 exec_lo, exec_lo, s52
	s_waitcnt vmcnt(0)
	v_readfirstlane_b32 s52, v5
	s_mov_b32 s53, 0
                                        ; implicit-def: $vgpr38
                                        ; implicit-def: $vgpr39_vgpr40
	s_delay_alu instid0(VALU_DEP_1) | instskip(SKIP_1) | instid1(VALU_DEP_1)
	v_add_nc_u32_e32 v4, s52, v4
	s_mov_b32 s52, exec_lo
	v_cmpx_lt_i32_e64 v4, v33
	s_cbranch_execz .LBB2_311
; %bb.298:                              ;   in Loop: Header=BB2_139 Depth=2
	v_xad_u32 v39, v4, -1, s39
	s_delay_alu instid0(VALU_DEP_1) | instskip(NEXT) | instid1(VALU_DEP_1)
	v_ashrrev_i32_e32 v40, 31, v39
	v_lshlrev_b64 v[4:5], 2, v[39:40]
	s_delay_alu instid0(VALU_DEP_1) | instskip(NEXT) | instid1(VALU_DEP_2)
	v_add_co_u32 v4, vcc_lo, s28, v4
	v_add_co_ci_u32_e32 v5, vcc_lo, s29, v5, vcc_lo
	s_and_not1_b32 vcc_lo, exec_lo, s11
	global_store_b32 v[4:5], v7, off
	s_cbranch_vccnz .LBB2_308
; %bb.299:                              ;   in Loop: Header=BB2_139 Depth=2
	v_ashrrev_i32_e32 v38, 31, v37
	s_delay_alu instid0(VALU_DEP_1) | instskip(NEXT) | instid1(VALU_DEP_1)
	v_lshlrev_b64 v[4:5], 2, v[37:38]
	v_add_co_u32 v4, vcc_lo, s35, v4
	s_delay_alu instid0(VALU_DEP_2)
	v_add_co_ci_u32_e32 v5, vcc_lo, s36, v5, vcc_lo
	global_load_b32 v38, v[4:5], off
	s_and_not1_b32 vcc_lo, exec_lo, s53
	s_cbranch_vccz .LBB2_309
	s_branch .LBB2_310
.LBB2_300:                              ;   in Loop: Header=BB2_139 Depth=2
	s_and_not1_saveexec_b32 s50, s50
	s_cbranch_execz .LBB2_313
.LBB2_301:                              ;   in Loop: Header=BB2_139 Depth=2
	s_mov_b32 s53, exec_lo
	s_mov_b32 s52, exec_lo
	v_mbcnt_lo_u32_b32 v4, s53, 0
                                        ; implicit-def: $vgpr5
	s_delay_alu instid0(VALU_DEP_1)
	v_cmpx_eq_u32_e32 0, v4
	s_cbranch_execz .LBB2_303
; %bb.302:                              ;   in Loop: Header=BB2_139 Depth=2
	s_bcnt1_i32_b32 s53, s53
	s_delay_alu instid0(SALU_CYCLE_1)
	v_mov_b32_e32 v5, s53
	global_atomic_add_u32 v5, v27, v5, s[8:9] offset:384 glc
.LBB2_303:                              ;   in Loop: Header=BB2_139 Depth=2
	s_or_b32 exec_lo, exec_lo, s52
	s_waitcnt vmcnt(0)
	v_readfirstlane_b32 s52, v5
	s_delay_alu instid0(VALU_DEP_1) | instskip(NEXT) | instid1(VALU_DEP_1)
	v_add_nc_u32_e32 v39, s52, v4
	v_ashrrev_i32_e32 v40, 31, v39
	s_delay_alu instid0(VALU_DEP_1) | instskip(NEXT) | instid1(VALU_DEP_1)
	v_lshlrev_b64 v[4:5], 2, v[39:40]
	v_add_co_u32 v4, vcc_lo, s28, v4
	s_delay_alu instid0(VALU_DEP_2)
	v_add_co_ci_u32_e32 v5, vcc_lo, s29, v5, vcc_lo
	s_and_not1_b32 vcc_lo, exec_lo, s11
	global_store_b32 v[4:5], v7, off
	s_cbranch_vccnz .LBB2_305
; %bb.304:                              ;   in Loop: Header=BB2_139 Depth=2
	v_ashrrev_i32_e32 v38, 31, v37
	s_delay_alu instid0(VALU_DEP_1) | instskip(NEXT) | instid1(VALU_DEP_1)
	v_lshlrev_b64 v[4:5], 2, v[37:38]
	v_add_co_u32 v4, vcc_lo, s35, v4
	s_delay_alu instid0(VALU_DEP_2)
	v_add_co_ci_u32_e32 v5, vcc_lo, s36, v5, vcc_lo
	global_load_b32 v38, v[4:5], off
	s_cbranch_execz .LBB2_306
	s_branch .LBB2_307
.LBB2_305:                              ;   in Loop: Header=BB2_139 Depth=2
                                        ; implicit-def: $vgpr38
.LBB2_306:                              ;   in Loop: Header=BB2_139 Depth=2
	s_waitcnt vmcnt(0)
	v_add_nc_u32_e32 v38, s12, v51
.LBB2_307:                              ;   in Loop: Header=BB2_139 Depth=2
	s_or_b32 s51, s51, exec_lo
	s_or_b32 exec_lo, exec_lo, s50
	s_and_saveexec_b32 s50, s51
	s_cbranch_execnz .LBB2_314
	s_branch .LBB2_315
.LBB2_308:                              ;   in Loop: Header=BB2_139 Depth=2
                                        ; implicit-def: $vgpr38
.LBB2_309:                              ;   in Loop: Header=BB2_139 Depth=2
	s_waitcnt vmcnt(0)
	v_add_nc_u32_e32 v38, s12, v51
.LBB2_310:                              ;   in Loop: Header=BB2_139 Depth=2
	s_mov_b32 s53, exec_lo
.LBB2_311:                              ;   in Loop: Header=BB2_139 Depth=2
	s_or_b32 exec_lo, exec_lo, s52
	s_delay_alu instid0(SALU_CYCLE_1)
	s_and_b32 s52, s53, exec_lo
.LBB2_312:                              ;   in Loop: Header=BB2_139 Depth=2
	s_or_b32 exec_lo, exec_lo, s51
	s_delay_alu instid0(SALU_CYCLE_1)
	s_and_b32 s51, s52, exec_lo
                                        ; implicit-def: $vgpr51
                                        ; implicit-def: $vgpr37
                                        ; implicit-def: $vgpr4_vgpr5_vgpr6_vgpr7
	s_and_not1_saveexec_b32 s50, s50
	s_cbranch_execnz .LBB2_301
.LBB2_313:                              ;   in Loop: Header=BB2_139 Depth=2
	s_or_b32 exec_lo, exec_lo, s50
	s_and_saveexec_b32 s50, s51
	s_cbranch_execz .LBB2_315
.LBB2_314:                              ;   in Loop: Header=BB2_139 Depth=2
	v_lshlrev_b64 v[4:5], 2, v[39:40]
	s_delay_alu instid0(VALU_DEP_1) | instskip(NEXT) | instid1(VALU_DEP_2)
	v_add_co_u32 v4, vcc_lo, s13, v4
	v_add_co_ci_u32_e32 v5, vcc_lo, s15, v5, vcc_lo
	s_waitcnt vmcnt(0)
	global_store_b32 v[4:5], v38, off
.LBB2_315:                              ;   in Loop: Header=BB2_139 Depth=2
	s_or_b32 exec_lo, exec_lo, s50
	s_waitcnt vmcnt(1)
	v_cmp_gt_i32_e32 vcc_lo, 0, v8
	v_add_nc_u32_e32 v5, s10, v35
	s_mov_b32 s51, 0
	s_mov_b32 s50, exec_lo
                                        ; implicit-def: $vgpr6_vgpr7
	v_cndmask_b32_e64 v4, 0x7fffffff, 0, vcc_lo
	s_delay_alu instid0(VALU_DEP_1) | instskip(SKIP_1) | instid1(VALU_DEP_2)
	v_xor_b32_e32 v35, v4, v8
	v_lshl_add_u32 v4, v5, 2, s20
                                        ; implicit-def: $vgpr5
	v_cmpx_ge_u32_e64 v35, v32
	s_xor_b32 s50, exec_lo, s50
	s_cbranch_execz .LBB2_322
; %bb.316:                              ;   in Loop: Header=BB2_139 Depth=2
	s_mov_b32 s52, 0
	s_mov_b32 s51, exec_lo
                                        ; implicit-def: $vgpr5
                                        ; implicit-def: $vgpr6_vgpr7
	v_cmpx_eq_u32_e64 v35, v32
	s_cbranch_execz .LBB2_334
; %bb.317:                              ;   in Loop: Header=BB2_139 Depth=2
	s_mov_b32 s53, exec_lo
	s_mov_b32 s52, exec_lo
	v_mbcnt_lo_u32_b32 v5, s53, 0
                                        ; implicit-def: $vgpr6
	s_delay_alu instid0(VALU_DEP_1)
	v_cmpx_eq_u32_e32 0, v5
	s_cbranch_execz .LBB2_319
; %bb.318:                              ;   in Loop: Header=BB2_139 Depth=2
	s_bcnt1_i32_b32 s53, s53
	s_delay_alu instid0(SALU_CYCLE_1)
	v_mov_b32_e32 v6, s53
	global_atomic_add_u32 v6, v27, v6, s[8:9] offset:512 glc
.LBB2_319:                              ;   in Loop: Header=BB2_139 Depth=2
	s_or_b32 exec_lo, exec_lo, s52
	s_waitcnt vmcnt(0)
	v_readfirstlane_b32 s52, v6
	s_mov_b32 s53, 0
                                        ; implicit-def: $vgpr6_vgpr7
	s_delay_alu instid0(VALU_DEP_1) | instskip(SKIP_1) | instid1(VALU_DEP_1)
	v_add_nc_u32_e32 v35, s52, v5
	s_mov_b32 s52, exec_lo
                                        ; implicit-def: $vgpr5
	v_cmpx_lt_i32_e64 v35, v33
	s_xor_b32 s52, exec_lo, s52
	s_cbranch_execz .LBB2_333
; %bb.320:                              ;   in Loop: Header=BB2_139 Depth=2
	v_xad_u32 v6, v35, -1, s39
	s_delay_alu instid0(VALU_DEP_1) | instskip(NEXT) | instid1(VALU_DEP_1)
	v_ashrrev_i32_e32 v7, 31, v6
	v_lshlrev_b64 v[37:38], 2, v[6:7]
	s_delay_alu instid0(VALU_DEP_1) | instskip(NEXT) | instid1(VALU_DEP_2)
	v_add_co_u32 v37, vcc_lo, s28, v37
	v_add_co_ci_u32_e32 v38, vcc_lo, s29, v38, vcc_lo
	s_and_not1_b32 vcc_lo, exec_lo, s11
	global_store_b32 v[37:38], v8, off
	s_cbranch_vccnz .LBB2_330
; %bb.321:                              ;   in Loop: Header=BB2_139 Depth=2
	v_ashrrev_i32_e32 v5, 31, v4
	s_delay_alu instid0(VALU_DEP_1) | instskip(NEXT) | instid1(VALU_DEP_1)
	v_lshlrev_b64 v[37:38], 2, v[4:5]
	v_add_co_u32 v37, vcc_lo, s16, v37
	s_delay_alu instid0(VALU_DEP_2)
	v_add_co_ci_u32_e32 v38, vcc_lo, s17, v38, vcc_lo
	global_load_b32 v5, v[37:38], off
	s_and_not1_b32 vcc_lo, exec_lo, s53
	s_cbranch_vccz .LBB2_331
	s_branch .LBB2_332
.LBB2_322:                              ;   in Loop: Header=BB2_139 Depth=2
	s_and_not1_saveexec_b32 s50, s50
	s_cbranch_execz .LBB2_335
.LBB2_323:                              ;   in Loop: Header=BB2_139 Depth=2
	s_mov_b32 s53, exec_lo
	s_mov_b32 s52, exec_lo
	s_waitcnt vmcnt(0)
	v_mbcnt_lo_u32_b32 v5, s53, 0
                                        ; implicit-def: $vgpr6
	s_delay_alu instid0(VALU_DEP_1)
	v_cmpx_eq_u32_e32 0, v5
	s_cbranch_execz .LBB2_325
; %bb.324:                              ;   in Loop: Header=BB2_139 Depth=2
	s_bcnt1_i32_b32 s53, s53
	s_delay_alu instid0(SALU_CYCLE_1)
	v_mov_b32_e32 v6, s53
	global_atomic_add_u32 v6, v27, v6, s[8:9] offset:384 glc
.LBB2_325:                              ;   in Loop: Header=BB2_139 Depth=2
	s_or_b32 exec_lo, exec_lo, s52
	s_waitcnt vmcnt(0)
	v_readfirstlane_b32 s52, v6
	s_delay_alu instid0(VALU_DEP_1) | instskip(NEXT) | instid1(VALU_DEP_1)
	v_add_nc_u32_e32 v6, s52, v5
	v_ashrrev_i32_e32 v7, 31, v6
	s_delay_alu instid0(VALU_DEP_1) | instskip(NEXT) | instid1(VALU_DEP_1)
	v_lshlrev_b64 v[37:38], 2, v[6:7]
	v_add_co_u32 v37, vcc_lo, s28, v37
	s_delay_alu instid0(VALU_DEP_2)
	v_add_co_ci_u32_e32 v38, vcc_lo, s29, v38, vcc_lo
	s_and_not1_b32 vcc_lo, exec_lo, s11
	global_store_b32 v[37:38], v8, off
	s_cbranch_vccnz .LBB2_327
; %bb.326:                              ;   in Loop: Header=BB2_139 Depth=2
	v_ashrrev_i32_e32 v5, 31, v4
	s_delay_alu instid0(VALU_DEP_1) | instskip(NEXT) | instid1(VALU_DEP_1)
	v_lshlrev_b64 v[37:38], 2, v[4:5]
	v_add_co_u32 v37, vcc_lo, s16, v37
	s_delay_alu instid0(VALU_DEP_2)
	v_add_co_ci_u32_e32 v38, vcc_lo, s17, v38, vcc_lo
	global_load_b32 v5, v[37:38], off
	s_cbranch_execz .LBB2_328
	s_branch .LBB2_329
.LBB2_327:                              ;   in Loop: Header=BB2_139 Depth=2
                                        ; implicit-def: $vgpr5
.LBB2_328:                              ;   in Loop: Header=BB2_139 Depth=2
	s_waitcnt vmcnt(0)
	v_add_nc_u32_e32 v5, s12, v4
.LBB2_329:                              ;   in Loop: Header=BB2_139 Depth=2
	s_or_b32 s51, s51, exec_lo
	s_or_b32 exec_lo, exec_lo, s50
	s_and_saveexec_b32 s50, s51
	s_cbranch_execnz .LBB2_336
	s_branch .LBB2_337
.LBB2_330:                              ;   in Loop: Header=BB2_139 Depth=2
                                        ; implicit-def: $vgpr5
.LBB2_331:                              ;   in Loop: Header=BB2_139 Depth=2
	s_waitcnt vmcnt(0)
	v_add_nc_u32_e32 v5, s12, v4
.LBB2_332:                              ;   in Loop: Header=BB2_139 Depth=2
	s_mov_b32 s53, exec_lo
.LBB2_333:                              ;   in Loop: Header=BB2_139 Depth=2
	s_or_b32 exec_lo, exec_lo, s52
	s_delay_alu instid0(SALU_CYCLE_1)
	s_and_b32 s52, s53, exec_lo
.LBB2_334:                              ;   in Loop: Header=BB2_139 Depth=2
	s_or_b32 exec_lo, exec_lo, s51
	s_delay_alu instid0(SALU_CYCLE_1)
	s_and_b32 s51, s52, exec_lo
	s_and_not1_saveexec_b32 s50, s50
	s_cbranch_execnz .LBB2_323
.LBB2_335:                              ;   in Loop: Header=BB2_139 Depth=2
	s_or_b32 exec_lo, exec_lo, s50
	s_and_saveexec_b32 s50, s51
	s_cbranch_execz .LBB2_337
.LBB2_336:                              ;   in Loop: Header=BB2_139 Depth=2
	v_lshlrev_b64 v[6:7], 2, v[6:7]
	s_delay_alu instid0(VALU_DEP_1) | instskip(NEXT) | instid1(VALU_DEP_2)
	v_add_co_u32 v6, vcc_lo, s13, v6
	v_add_co_ci_u32_e32 v7, vcc_lo, s15, v7, vcc_lo
	s_waitcnt vmcnt(0)
	global_store_b32 v[6:7], v5, off
.LBB2_337:                              ;   in Loop: Header=BB2_139 Depth=2
	s_or_b32 exec_lo, exec_lo, s50
	v_cmp_gt_i32_e32 vcc_lo, 0, v9
	v_add_nc_u32_e32 v8, 1, v4
	s_mov_b32 s51, 0
	s_mov_b32 s50, exec_lo
                                        ; implicit-def: $vgpr6_vgpr7
	s_waitcnt vmcnt(0)
	v_cndmask_b32_e64 v5, 0x7fffffff, 0, vcc_lo
	s_delay_alu instid0(VALU_DEP_1) | instskip(NEXT) | instid1(VALU_DEP_1)
	v_xor_b32_e32 v35, v5, v9
                                        ; implicit-def: $vgpr5
	v_cmpx_ge_u32_e64 v35, v32
	s_xor_b32 s50, exec_lo, s50
	s_cbranch_execz .LBB2_344
; %bb.338:                              ;   in Loop: Header=BB2_139 Depth=2
	s_mov_b32 s52, 0
	s_mov_b32 s51, exec_lo
                                        ; implicit-def: $vgpr5
                                        ; implicit-def: $vgpr6_vgpr7
	v_cmpx_eq_u32_e64 v35, v32
	s_cbranch_execz .LBB2_356
; %bb.339:                              ;   in Loop: Header=BB2_139 Depth=2
	s_mov_b32 s53, exec_lo
	s_mov_b32 s52, exec_lo
	v_mbcnt_lo_u32_b32 v5, s53, 0
                                        ; implicit-def: $vgpr6
	s_delay_alu instid0(VALU_DEP_1)
	v_cmpx_eq_u32_e32 0, v5
	s_cbranch_execz .LBB2_341
; %bb.340:                              ;   in Loop: Header=BB2_139 Depth=2
	s_bcnt1_i32_b32 s53, s53
	s_delay_alu instid0(SALU_CYCLE_1)
	v_mov_b32_e32 v6, s53
	global_atomic_add_u32 v6, v27, v6, s[8:9] offset:512 glc
.LBB2_341:                              ;   in Loop: Header=BB2_139 Depth=2
	s_or_b32 exec_lo, exec_lo, s52
	s_waitcnt vmcnt(0)
	v_readfirstlane_b32 s52, v6
	s_mov_b32 s53, 0
                                        ; implicit-def: $vgpr6_vgpr7
	s_delay_alu instid0(VALU_DEP_1) | instskip(SKIP_1) | instid1(VALU_DEP_1)
	v_add_nc_u32_e32 v35, s52, v5
	s_mov_b32 s52, exec_lo
                                        ; implicit-def: $vgpr5
	v_cmpx_lt_i32_e64 v35, v33
	s_cbranch_execz .LBB2_355
; %bb.342:                              ;   in Loop: Header=BB2_139 Depth=2
	v_xad_u32 v6, v35, -1, s39
	s_delay_alu instid0(VALU_DEP_1) | instskip(NEXT) | instid1(VALU_DEP_1)
	v_ashrrev_i32_e32 v7, 31, v6
	v_lshlrev_b64 v[37:38], 2, v[6:7]
	s_delay_alu instid0(VALU_DEP_1) | instskip(NEXT) | instid1(VALU_DEP_2)
	v_add_co_u32 v37, vcc_lo, s28, v37
	v_add_co_ci_u32_e32 v38, vcc_lo, s29, v38, vcc_lo
	s_and_not1_b32 vcc_lo, exec_lo, s11
	global_store_b32 v[37:38], v9, off
	s_cbranch_vccnz .LBB2_352
; %bb.343:                              ;   in Loop: Header=BB2_139 Depth=2
	v_ashrrev_i32_e32 v5, 31, v4
	s_delay_alu instid0(VALU_DEP_1) | instskip(NEXT) | instid1(VALU_DEP_1)
	v_lshlrev_b64 v[37:38], 2, v[4:5]
	v_add_co_u32 v37, vcc_lo, s14, v37
	s_delay_alu instid0(VALU_DEP_2)
	v_add_co_ci_u32_e32 v38, vcc_lo, s21, v38, vcc_lo
	global_load_b32 v5, v[37:38], off
	s_and_not1_b32 vcc_lo, exec_lo, s53
	s_cbranch_vccz .LBB2_353
	s_branch .LBB2_354
.LBB2_344:                              ;   in Loop: Header=BB2_139 Depth=2
	s_and_not1_saveexec_b32 s50, s50
	s_cbranch_execz .LBB2_357
.LBB2_345:                              ;   in Loop: Header=BB2_139 Depth=2
	s_mov_b32 s53, exec_lo
	s_mov_b32 s52, exec_lo
	s_waitcnt vmcnt(0)
	v_mbcnt_lo_u32_b32 v5, s53, 0
                                        ; implicit-def: $vgpr6
	s_delay_alu instid0(VALU_DEP_1)
	v_cmpx_eq_u32_e32 0, v5
	s_cbranch_execz .LBB2_347
; %bb.346:                              ;   in Loop: Header=BB2_139 Depth=2
	s_bcnt1_i32_b32 s53, s53
	s_delay_alu instid0(SALU_CYCLE_1)
	v_mov_b32_e32 v6, s53
	global_atomic_add_u32 v6, v27, v6, s[8:9] offset:384 glc
.LBB2_347:                              ;   in Loop: Header=BB2_139 Depth=2
	s_or_b32 exec_lo, exec_lo, s52
	s_waitcnt vmcnt(0)
	v_readfirstlane_b32 s52, v6
	s_delay_alu instid0(VALU_DEP_1) | instskip(NEXT) | instid1(VALU_DEP_1)
	v_add_nc_u32_e32 v6, s52, v5
	v_ashrrev_i32_e32 v7, 31, v6
	s_delay_alu instid0(VALU_DEP_1) | instskip(NEXT) | instid1(VALU_DEP_1)
	v_lshlrev_b64 v[37:38], 2, v[6:7]
	v_add_co_u32 v37, vcc_lo, s28, v37
	s_delay_alu instid0(VALU_DEP_2)
	v_add_co_ci_u32_e32 v38, vcc_lo, s29, v38, vcc_lo
	s_and_not1_b32 vcc_lo, exec_lo, s11
	global_store_b32 v[37:38], v9, off
	s_cbranch_vccnz .LBB2_349
; %bb.348:                              ;   in Loop: Header=BB2_139 Depth=2
	v_ashrrev_i32_e32 v5, 31, v4
	s_delay_alu instid0(VALU_DEP_1) | instskip(NEXT) | instid1(VALU_DEP_1)
	v_lshlrev_b64 v[37:38], 2, v[4:5]
	v_add_co_u32 v37, vcc_lo, s14, v37
	s_delay_alu instid0(VALU_DEP_2)
	v_add_co_ci_u32_e32 v38, vcc_lo, s21, v38, vcc_lo
	global_load_b32 v5, v[37:38], off
	s_cbranch_execz .LBB2_350
	s_branch .LBB2_351
.LBB2_349:                              ;   in Loop: Header=BB2_139 Depth=2
                                        ; implicit-def: $vgpr5
.LBB2_350:                              ;   in Loop: Header=BB2_139 Depth=2
	s_waitcnt vmcnt(0)
	v_add_nc_u32_e32 v5, s12, v8
.LBB2_351:                              ;   in Loop: Header=BB2_139 Depth=2
	s_or_b32 s51, s51, exec_lo
	s_or_b32 exec_lo, exec_lo, s50
	s_and_saveexec_b32 s50, s51
	s_cbranch_execnz .LBB2_358
	s_branch .LBB2_359
.LBB2_352:                              ;   in Loop: Header=BB2_139 Depth=2
                                        ; implicit-def: $vgpr5
.LBB2_353:                              ;   in Loop: Header=BB2_139 Depth=2
	s_waitcnt vmcnt(0)
	v_add_nc_u32_e32 v5, s12, v8
.LBB2_354:                              ;   in Loop: Header=BB2_139 Depth=2
	s_mov_b32 s53, exec_lo
.LBB2_355:                              ;   in Loop: Header=BB2_139 Depth=2
	s_or_b32 exec_lo, exec_lo, s52
	s_delay_alu instid0(SALU_CYCLE_1)
	s_and_b32 s52, s53, exec_lo
.LBB2_356:                              ;   in Loop: Header=BB2_139 Depth=2
	s_or_b32 exec_lo, exec_lo, s51
	s_delay_alu instid0(SALU_CYCLE_1)
	s_and_b32 s51, s52, exec_lo
                                        ; implicit-def: $vgpr8
	s_and_not1_saveexec_b32 s50, s50
	s_cbranch_execnz .LBB2_345
.LBB2_357:                              ;   in Loop: Header=BB2_139 Depth=2
	s_or_b32 exec_lo, exec_lo, s50
	s_and_saveexec_b32 s50, s51
	s_cbranch_execz .LBB2_359
.LBB2_358:                              ;   in Loop: Header=BB2_139 Depth=2
	v_lshlrev_b64 v[6:7], 2, v[6:7]
	s_delay_alu instid0(VALU_DEP_1) | instskip(NEXT) | instid1(VALU_DEP_2)
	v_add_co_u32 v6, vcc_lo, s13, v6
	v_add_co_ci_u32_e32 v7, vcc_lo, s15, v7, vcc_lo
	s_waitcnt vmcnt(0)
	global_store_b32 v[6:7], v5, off
.LBB2_359:                              ;   in Loop: Header=BB2_139 Depth=2
	s_or_b32 exec_lo, exec_lo, s50
	v_cmp_gt_i32_e32 vcc_lo, 0, v10
	v_add_nc_u32_e32 v8, 2, v4
	s_mov_b32 s51, 0
	s_mov_b32 s50, exec_lo
                                        ; implicit-def: $vgpr6_vgpr7
	s_waitcnt vmcnt(0)
	v_cndmask_b32_e64 v5, 0x7fffffff, 0, vcc_lo
	s_delay_alu instid0(VALU_DEP_1) | instskip(NEXT) | instid1(VALU_DEP_1)
	v_xor_b32_e32 v9, v5, v10
                                        ; implicit-def: $vgpr5
	v_cmpx_ge_u32_e64 v9, v32
	s_xor_b32 s50, exec_lo, s50
	s_cbranch_execz .LBB2_366
; %bb.360:                              ;   in Loop: Header=BB2_139 Depth=2
	s_mov_b32 s52, 0
	s_mov_b32 s51, exec_lo
                                        ; implicit-def: $vgpr5
                                        ; implicit-def: $vgpr6_vgpr7
	v_cmpx_eq_u32_e64 v9, v32
	s_cbranch_execz .LBB2_378
; %bb.361:                              ;   in Loop: Header=BB2_139 Depth=2
	s_mov_b32 s53, exec_lo
	s_mov_b32 s52, exec_lo
	v_mbcnt_lo_u32_b32 v5, s53, 0
                                        ; implicit-def: $vgpr6
	s_delay_alu instid0(VALU_DEP_1)
	v_cmpx_eq_u32_e32 0, v5
	s_cbranch_execz .LBB2_363
; %bb.362:                              ;   in Loop: Header=BB2_139 Depth=2
	s_bcnt1_i32_b32 s53, s53
	s_delay_alu instid0(SALU_CYCLE_1)
	v_mov_b32_e32 v6, s53
	global_atomic_add_u32 v6, v27, v6, s[8:9] offset:512 glc
.LBB2_363:                              ;   in Loop: Header=BB2_139 Depth=2
	s_or_b32 exec_lo, exec_lo, s52
	s_waitcnt vmcnt(0)
	v_readfirstlane_b32 s52, v6
	s_mov_b32 s53, 0
                                        ; implicit-def: $vgpr6_vgpr7
	s_delay_alu instid0(VALU_DEP_1) | instskip(SKIP_1) | instid1(VALU_DEP_1)
	v_add_nc_u32_e32 v9, s52, v5
	s_mov_b32 s52, exec_lo
                                        ; implicit-def: $vgpr5
	v_cmpx_lt_i32_e64 v9, v33
	s_cbranch_execz .LBB2_377
; %bb.364:                              ;   in Loop: Header=BB2_139 Depth=2
	v_xad_u32 v6, v9, -1, s39
	s_delay_alu instid0(VALU_DEP_1) | instskip(NEXT) | instid1(VALU_DEP_1)
	v_ashrrev_i32_e32 v7, 31, v6
	v_lshlrev_b64 v[37:38], 2, v[6:7]
	s_delay_alu instid0(VALU_DEP_1) | instskip(NEXT) | instid1(VALU_DEP_2)
	v_add_co_u32 v37, vcc_lo, s28, v37
	v_add_co_ci_u32_e32 v38, vcc_lo, s29, v38, vcc_lo
	s_and_not1_b32 vcc_lo, exec_lo, s11
	global_store_b32 v[37:38], v10, off
	s_cbranch_vccnz .LBB2_374
; %bb.365:                              ;   in Loop: Header=BB2_139 Depth=2
	v_ashrrev_i32_e32 v5, 31, v4
	s_delay_alu instid0(VALU_DEP_1) | instskip(NEXT) | instid1(VALU_DEP_1)
	v_lshlrev_b64 v[37:38], 2, v[4:5]
	v_add_co_u32 v37, vcc_lo, s33, v37
	s_delay_alu instid0(VALU_DEP_2)
	v_add_co_ci_u32_e32 v38, vcc_lo, s34, v38, vcc_lo
	global_load_b32 v5, v[37:38], off
	s_and_not1_b32 vcc_lo, exec_lo, s53
	s_cbranch_vccz .LBB2_375
	s_branch .LBB2_376
.LBB2_366:                              ;   in Loop: Header=BB2_139 Depth=2
	s_and_not1_saveexec_b32 s50, s50
	s_cbranch_execz .LBB2_379
.LBB2_367:                              ;   in Loop: Header=BB2_139 Depth=2
	s_mov_b32 s53, exec_lo
	s_mov_b32 s52, exec_lo
	s_waitcnt vmcnt(0)
	v_mbcnt_lo_u32_b32 v5, s53, 0
                                        ; implicit-def: $vgpr6
	s_delay_alu instid0(VALU_DEP_1)
	v_cmpx_eq_u32_e32 0, v5
	s_cbranch_execz .LBB2_369
; %bb.368:                              ;   in Loop: Header=BB2_139 Depth=2
	s_bcnt1_i32_b32 s53, s53
	s_delay_alu instid0(SALU_CYCLE_1)
	v_mov_b32_e32 v6, s53
	global_atomic_add_u32 v6, v27, v6, s[8:9] offset:384 glc
.LBB2_369:                              ;   in Loop: Header=BB2_139 Depth=2
	s_or_b32 exec_lo, exec_lo, s52
	s_waitcnt vmcnt(0)
	v_readfirstlane_b32 s52, v6
	s_delay_alu instid0(VALU_DEP_1) | instskip(NEXT) | instid1(VALU_DEP_1)
	v_add_nc_u32_e32 v6, s52, v5
	v_ashrrev_i32_e32 v7, 31, v6
	s_delay_alu instid0(VALU_DEP_1) | instskip(NEXT) | instid1(VALU_DEP_1)
	v_lshlrev_b64 v[37:38], 2, v[6:7]
	v_add_co_u32 v37, vcc_lo, s28, v37
	s_delay_alu instid0(VALU_DEP_2)
	v_add_co_ci_u32_e32 v38, vcc_lo, s29, v38, vcc_lo
	s_and_not1_b32 vcc_lo, exec_lo, s11
	global_store_b32 v[37:38], v10, off
	s_cbranch_vccnz .LBB2_371
; %bb.370:                              ;   in Loop: Header=BB2_139 Depth=2
	v_ashrrev_i32_e32 v5, 31, v4
	s_delay_alu instid0(VALU_DEP_1) | instskip(NEXT) | instid1(VALU_DEP_1)
	v_lshlrev_b64 v[9:10], 2, v[4:5]
	v_add_co_u32 v9, vcc_lo, s33, v9
	s_delay_alu instid0(VALU_DEP_2)
	v_add_co_ci_u32_e32 v10, vcc_lo, s34, v10, vcc_lo
	global_load_b32 v5, v[9:10], off
	s_cbranch_execz .LBB2_372
	s_branch .LBB2_373
.LBB2_371:                              ;   in Loop: Header=BB2_139 Depth=2
                                        ; implicit-def: $vgpr5
.LBB2_372:                              ;   in Loop: Header=BB2_139 Depth=2
	s_waitcnt vmcnt(0)
	v_add_nc_u32_e32 v5, s12, v8
.LBB2_373:                              ;   in Loop: Header=BB2_139 Depth=2
	s_or_b32 s51, s51, exec_lo
	s_or_b32 exec_lo, exec_lo, s50
	s_and_saveexec_b32 s50, s51
	s_cbranch_execnz .LBB2_380
	s_branch .LBB2_381
.LBB2_374:                              ;   in Loop: Header=BB2_139 Depth=2
                                        ; implicit-def: $vgpr5
.LBB2_375:                              ;   in Loop: Header=BB2_139 Depth=2
	s_waitcnt vmcnt(0)
	v_add_nc_u32_e32 v5, s12, v8
.LBB2_376:                              ;   in Loop: Header=BB2_139 Depth=2
	s_mov_b32 s53, exec_lo
.LBB2_377:                              ;   in Loop: Header=BB2_139 Depth=2
	s_or_b32 exec_lo, exec_lo, s52
	s_delay_alu instid0(SALU_CYCLE_1)
	s_and_b32 s52, s53, exec_lo
.LBB2_378:                              ;   in Loop: Header=BB2_139 Depth=2
	s_or_b32 exec_lo, exec_lo, s51
	s_delay_alu instid0(SALU_CYCLE_1)
	s_and_b32 s51, s52, exec_lo
                                        ; implicit-def: $vgpr8
	s_and_not1_saveexec_b32 s50, s50
	s_cbranch_execnz .LBB2_367
.LBB2_379:                              ;   in Loop: Header=BB2_139 Depth=2
	s_or_b32 exec_lo, exec_lo, s50
	s_and_saveexec_b32 s50, s51
	s_cbranch_execz .LBB2_381
.LBB2_380:                              ;   in Loop: Header=BB2_139 Depth=2
	v_lshlrev_b64 v[6:7], 2, v[6:7]
	s_delay_alu instid0(VALU_DEP_1) | instskip(NEXT) | instid1(VALU_DEP_2)
	v_add_co_u32 v6, vcc_lo, s13, v6
	v_add_co_ci_u32_e32 v7, vcc_lo, s15, v7, vcc_lo
	s_waitcnt vmcnt(0)
	global_store_b32 v[6:7], v5, off
.LBB2_381:                              ;   in Loop: Header=BB2_139 Depth=2
	s_or_b32 exec_lo, exec_lo, s50
	v_cmp_gt_i32_e32 vcc_lo, 0, v11
	v_add_nc_u32_e32 v35, 3, v4
	s_mov_b32 s51, 0
	s_mov_b32 s50, exec_lo
                                        ; implicit-def: $vgpr6_vgpr7
	s_waitcnt vmcnt(0)
	v_cndmask_b32_e64 v5, 0x7fffffff, 0, vcc_lo
	s_delay_alu instid0(VALU_DEP_1) | instskip(NEXT) | instid1(VALU_DEP_1)
	v_xor_b32_e32 v8, v5, v11
                                        ; implicit-def: $vgpr5
	v_cmpx_ge_u32_e64 v8, v32
	s_xor_b32 s50, exec_lo, s50
	s_cbranch_execz .LBB2_388
; %bb.382:                              ;   in Loop: Header=BB2_139 Depth=2
	s_mov_b32 s52, 0
	s_mov_b32 s51, exec_lo
                                        ; implicit-def: $vgpr5
                                        ; implicit-def: $vgpr6_vgpr7
	v_cmpx_eq_u32_e64 v8, v32
	s_cbranch_execz .LBB2_400
; %bb.383:                              ;   in Loop: Header=BB2_139 Depth=2
	s_mov_b32 s53, exec_lo
	s_mov_b32 s52, exec_lo
	v_mbcnt_lo_u32_b32 v5, s53, 0
                                        ; implicit-def: $vgpr6
	s_delay_alu instid0(VALU_DEP_1)
	v_cmpx_eq_u32_e32 0, v5
	s_cbranch_execz .LBB2_385
; %bb.384:                              ;   in Loop: Header=BB2_139 Depth=2
	s_bcnt1_i32_b32 s53, s53
	s_delay_alu instid0(SALU_CYCLE_1)
	v_mov_b32_e32 v6, s53
	global_atomic_add_u32 v6, v27, v6, s[8:9] offset:512 glc
.LBB2_385:                              ;   in Loop: Header=BB2_139 Depth=2
	s_or_b32 exec_lo, exec_lo, s52
	s_waitcnt vmcnt(0)
	v_readfirstlane_b32 s52, v6
	s_mov_b32 s53, 0
                                        ; implicit-def: $vgpr6_vgpr7
	s_delay_alu instid0(VALU_DEP_1) | instskip(SKIP_1) | instid1(VALU_DEP_1)
	v_add_nc_u32_e32 v8, s52, v5
	s_mov_b32 s52, exec_lo
                                        ; implicit-def: $vgpr5
	v_cmpx_lt_i32_e64 v8, v33
	s_cbranch_execz .LBB2_399
; %bb.386:                              ;   in Loop: Header=BB2_139 Depth=2
	v_xad_u32 v6, v8, -1, s39
	s_delay_alu instid0(VALU_DEP_1) | instskip(NEXT) | instid1(VALU_DEP_1)
	v_ashrrev_i32_e32 v7, 31, v6
	v_lshlrev_b64 v[8:9], 2, v[6:7]
	s_delay_alu instid0(VALU_DEP_1) | instskip(NEXT) | instid1(VALU_DEP_2)
	v_add_co_u32 v8, vcc_lo, s28, v8
	v_add_co_ci_u32_e32 v9, vcc_lo, s29, v9, vcc_lo
	s_and_not1_b32 vcc_lo, exec_lo, s11
	global_store_b32 v[8:9], v11, off
	s_cbranch_vccnz .LBB2_396
; %bb.387:                              ;   in Loop: Header=BB2_139 Depth=2
	v_ashrrev_i32_e32 v5, 31, v4
	s_delay_alu instid0(VALU_DEP_1) | instskip(NEXT) | instid1(VALU_DEP_1)
	v_lshlrev_b64 v[4:5], 2, v[4:5]
	v_add_co_u32 v4, vcc_lo, s35, v4
	s_delay_alu instid0(VALU_DEP_2)
	v_add_co_ci_u32_e32 v5, vcc_lo, s36, v5, vcc_lo
	global_load_b32 v5, v[4:5], off
	s_and_not1_b32 vcc_lo, exec_lo, s53
	s_cbranch_vccz .LBB2_397
	s_branch .LBB2_398
.LBB2_388:                              ;   in Loop: Header=BB2_139 Depth=2
	s_and_not1_saveexec_b32 s50, s50
	s_cbranch_execz .LBB2_401
.LBB2_389:                              ;   in Loop: Header=BB2_139 Depth=2
	s_mov_b32 s53, exec_lo
	s_mov_b32 s52, exec_lo
	s_waitcnt vmcnt(0)
	v_mbcnt_lo_u32_b32 v5, s53, 0
                                        ; implicit-def: $vgpr6
	s_delay_alu instid0(VALU_DEP_1)
	v_cmpx_eq_u32_e32 0, v5
	s_cbranch_execz .LBB2_391
; %bb.390:                              ;   in Loop: Header=BB2_139 Depth=2
	s_bcnt1_i32_b32 s53, s53
	s_delay_alu instid0(SALU_CYCLE_1)
	v_mov_b32_e32 v6, s53
	global_atomic_add_u32 v6, v27, v6, s[8:9] offset:384 glc
.LBB2_391:                              ;   in Loop: Header=BB2_139 Depth=2
	s_or_b32 exec_lo, exec_lo, s52
	s_waitcnt vmcnt(0)
	v_readfirstlane_b32 s52, v6
	s_delay_alu instid0(VALU_DEP_1) | instskip(NEXT) | instid1(VALU_DEP_1)
	v_add_nc_u32_e32 v6, s52, v5
	v_ashrrev_i32_e32 v7, 31, v6
	s_delay_alu instid0(VALU_DEP_1) | instskip(NEXT) | instid1(VALU_DEP_1)
	v_lshlrev_b64 v[8:9], 2, v[6:7]
	v_add_co_u32 v8, vcc_lo, s28, v8
	s_delay_alu instid0(VALU_DEP_2)
	v_add_co_ci_u32_e32 v9, vcc_lo, s29, v9, vcc_lo
	s_and_not1_b32 vcc_lo, exec_lo, s11
	global_store_b32 v[8:9], v11, off
	s_cbranch_vccnz .LBB2_393
; %bb.392:                              ;   in Loop: Header=BB2_139 Depth=2
	v_ashrrev_i32_e32 v5, 31, v4
	s_delay_alu instid0(VALU_DEP_1) | instskip(NEXT) | instid1(VALU_DEP_1)
	v_lshlrev_b64 v[4:5], 2, v[4:5]
	v_add_co_u32 v4, vcc_lo, s35, v4
	s_delay_alu instid0(VALU_DEP_2)
	v_add_co_ci_u32_e32 v5, vcc_lo, s36, v5, vcc_lo
	global_load_b32 v5, v[4:5], off
	s_cbranch_execz .LBB2_394
	s_branch .LBB2_395
.LBB2_393:                              ;   in Loop: Header=BB2_139 Depth=2
                                        ; implicit-def: $vgpr5
.LBB2_394:                              ;   in Loop: Header=BB2_139 Depth=2
	s_waitcnt vmcnt(0)
	v_add_nc_u32_e32 v5, s12, v35
.LBB2_395:                              ;   in Loop: Header=BB2_139 Depth=2
	s_or_b32 s51, s51, exec_lo
	s_or_b32 exec_lo, exec_lo, s50
	s_and_saveexec_b32 s50, s51
	s_cbranch_execnz .LBB2_402
	s_branch .LBB2_403
.LBB2_396:                              ;   in Loop: Header=BB2_139 Depth=2
                                        ; implicit-def: $vgpr5
.LBB2_397:                              ;   in Loop: Header=BB2_139 Depth=2
	s_waitcnt vmcnt(0)
	v_add_nc_u32_e32 v5, s12, v35
.LBB2_398:                              ;   in Loop: Header=BB2_139 Depth=2
	s_mov_b32 s53, exec_lo
.LBB2_399:                              ;   in Loop: Header=BB2_139 Depth=2
	s_or_b32 exec_lo, exec_lo, s52
	s_delay_alu instid0(SALU_CYCLE_1)
	s_and_b32 s52, s53, exec_lo
.LBB2_400:                              ;   in Loop: Header=BB2_139 Depth=2
	s_or_b32 exec_lo, exec_lo, s51
	s_delay_alu instid0(SALU_CYCLE_1)
	s_and_b32 s51, s52, exec_lo
                                        ; implicit-def: $vgpr35
                                        ; implicit-def: $vgpr4
                                        ; implicit-def: $vgpr8_vgpr9_vgpr10_vgpr11
	s_and_not1_saveexec_b32 s50, s50
	s_cbranch_execnz .LBB2_389
.LBB2_401:                              ;   in Loop: Header=BB2_139 Depth=2
	s_or_b32 exec_lo, exec_lo, s50
	s_and_saveexec_b32 s50, s51
	s_cbranch_execz .LBB2_403
.LBB2_402:                              ;   in Loop: Header=BB2_139 Depth=2
	v_lshlrev_b64 v[6:7], 2, v[6:7]
	s_delay_alu instid0(VALU_DEP_1) | instskip(NEXT) | instid1(VALU_DEP_2)
	v_add_co_u32 v6, vcc_lo, s13, v6
	v_add_co_ci_u32_e32 v7, vcc_lo, s15, v7, vcc_lo
	s_waitcnt vmcnt(0)
	global_store_b32 v[6:7], v5, off
.LBB2_403:                              ;   in Loop: Header=BB2_139 Depth=2
	s_or_b32 exec_lo, exec_lo, s50
	v_cmp_gt_i32_e32 vcc_lo, 0, v0
	s_mov_b32 s51, 0
	s_mov_b32 s50, exec_lo
                                        ; implicit-def: $vgpr5
                                        ; implicit-def: $vgpr6_vgpr7
	v_cndmask_b32_e64 v4, 0x7fffffff, 0, vcc_lo
	s_delay_alu instid0(VALU_DEP_1) | instskip(SKIP_1) | instid1(VALU_DEP_2)
	v_xor_b32_e32 v8, v4, v0
	v_lshl_add_u32 v4, v36, 2, s20
	v_cmpx_ge_u32_e64 v8, v32
	s_xor_b32 s50, exec_lo, s50
	s_cbranch_execz .LBB2_410
; %bb.404:                              ;   in Loop: Header=BB2_139 Depth=2
	s_mov_b32 s52, 0
	s_mov_b32 s51, exec_lo
                                        ; implicit-def: $vgpr5
                                        ; implicit-def: $vgpr6_vgpr7
	v_cmpx_eq_u32_e64 v8, v32
	s_cbranch_execz .LBB2_422
; %bb.405:                              ;   in Loop: Header=BB2_139 Depth=2
	s_mov_b32 s53, exec_lo
	s_mov_b32 s52, exec_lo
	s_waitcnt vmcnt(0)
	v_mbcnt_lo_u32_b32 v5, s53, 0
                                        ; implicit-def: $vgpr6
	s_delay_alu instid0(VALU_DEP_1)
	v_cmpx_eq_u32_e32 0, v5
	s_cbranch_execz .LBB2_407
; %bb.406:                              ;   in Loop: Header=BB2_139 Depth=2
	s_bcnt1_i32_b32 s53, s53
	s_delay_alu instid0(SALU_CYCLE_1)
	v_mov_b32_e32 v6, s53
	global_atomic_add_u32 v6, v27, v6, s[8:9] offset:512 glc
.LBB2_407:                              ;   in Loop: Header=BB2_139 Depth=2
	s_or_b32 exec_lo, exec_lo, s52
	s_waitcnt vmcnt(0)
	v_readfirstlane_b32 s52, v6
	s_mov_b32 s53, 0
                                        ; implicit-def: $vgpr6_vgpr7
	s_delay_alu instid0(VALU_DEP_1) | instskip(SKIP_1) | instid1(VALU_DEP_1)
	v_add_nc_u32_e32 v8, s52, v5
	s_mov_b32 s52, exec_lo
                                        ; implicit-def: $vgpr5
	v_cmpx_lt_i32_e64 v8, v33
	s_xor_b32 s52, exec_lo, s52
	s_cbranch_execz .LBB2_421
; %bb.408:                              ;   in Loop: Header=BB2_139 Depth=2
	v_xad_u32 v6, v8, -1, s39
	s_delay_alu instid0(VALU_DEP_1) | instskip(NEXT) | instid1(VALU_DEP_1)
	v_ashrrev_i32_e32 v7, 31, v6
	v_lshlrev_b64 v[8:9], 2, v[6:7]
	s_delay_alu instid0(VALU_DEP_1) | instskip(NEXT) | instid1(VALU_DEP_2)
	v_add_co_u32 v8, vcc_lo, s28, v8
	v_add_co_ci_u32_e32 v9, vcc_lo, s29, v9, vcc_lo
	s_and_not1_b32 vcc_lo, exec_lo, s11
	global_store_b32 v[8:9], v0, off
	s_cbranch_vccnz .LBB2_418
; %bb.409:                              ;   in Loop: Header=BB2_139 Depth=2
	v_ashrrev_i32_e32 v5, 31, v4
	s_delay_alu instid0(VALU_DEP_1) | instskip(NEXT) | instid1(VALU_DEP_1)
	v_lshlrev_b64 v[8:9], 2, v[4:5]
	v_add_co_u32 v8, vcc_lo, s16, v8
	s_delay_alu instid0(VALU_DEP_2)
	v_add_co_ci_u32_e32 v9, vcc_lo, s17, v9, vcc_lo
	global_load_b32 v5, v[8:9], off
	s_and_not1_b32 vcc_lo, exec_lo, s53
	s_cbranch_vccz .LBB2_419
	s_branch .LBB2_420
.LBB2_410:                              ;   in Loop: Header=BB2_139 Depth=2
	s_and_not1_saveexec_b32 s50, s50
	s_cbranch_execz .LBB2_423
.LBB2_411:                              ;   in Loop: Header=BB2_139 Depth=2
	s_mov_b32 s53, exec_lo
	s_mov_b32 s52, exec_lo
	s_waitcnt vmcnt(0)
	v_mbcnt_lo_u32_b32 v5, s53, 0
                                        ; implicit-def: $vgpr6
	s_delay_alu instid0(VALU_DEP_1)
	v_cmpx_eq_u32_e32 0, v5
	s_cbranch_execz .LBB2_413
; %bb.412:                              ;   in Loop: Header=BB2_139 Depth=2
	s_bcnt1_i32_b32 s53, s53
	s_delay_alu instid0(SALU_CYCLE_1)
	v_mov_b32_e32 v6, s53
	global_atomic_add_u32 v6, v27, v6, s[8:9] offset:384 glc
.LBB2_413:                              ;   in Loop: Header=BB2_139 Depth=2
	s_or_b32 exec_lo, exec_lo, s52
	s_waitcnt vmcnt(0)
	v_readfirstlane_b32 s52, v6
	s_delay_alu instid0(VALU_DEP_1) | instskip(NEXT) | instid1(VALU_DEP_1)
	v_add_nc_u32_e32 v6, s52, v5
	v_ashrrev_i32_e32 v7, 31, v6
	s_delay_alu instid0(VALU_DEP_1) | instskip(NEXT) | instid1(VALU_DEP_1)
	v_lshlrev_b64 v[8:9], 2, v[6:7]
	v_add_co_u32 v8, vcc_lo, s28, v8
	s_delay_alu instid0(VALU_DEP_2)
	v_add_co_ci_u32_e32 v9, vcc_lo, s29, v9, vcc_lo
	s_and_not1_b32 vcc_lo, exec_lo, s11
	global_store_b32 v[8:9], v0, off
	s_cbranch_vccnz .LBB2_415
; %bb.414:                              ;   in Loop: Header=BB2_139 Depth=2
	v_ashrrev_i32_e32 v5, 31, v4
	s_delay_alu instid0(VALU_DEP_1) | instskip(NEXT) | instid1(VALU_DEP_1)
	v_lshlrev_b64 v[8:9], 2, v[4:5]
	v_add_co_u32 v8, vcc_lo, s16, v8
	s_delay_alu instid0(VALU_DEP_2)
	v_add_co_ci_u32_e32 v9, vcc_lo, s17, v9, vcc_lo
	global_load_b32 v5, v[8:9], off
	s_cbranch_execz .LBB2_416
	s_branch .LBB2_417
.LBB2_415:                              ;   in Loop: Header=BB2_139 Depth=2
                                        ; implicit-def: $vgpr5
.LBB2_416:                              ;   in Loop: Header=BB2_139 Depth=2
	s_waitcnt vmcnt(0)
	v_add_nc_u32_e32 v5, s12, v4
.LBB2_417:                              ;   in Loop: Header=BB2_139 Depth=2
	s_or_b32 s51, s51, exec_lo
	s_or_b32 exec_lo, exec_lo, s50
	s_and_saveexec_b32 s50, s51
	s_cbranch_execnz .LBB2_424
	s_branch .LBB2_425
.LBB2_418:                              ;   in Loop: Header=BB2_139 Depth=2
                                        ; implicit-def: $vgpr5
.LBB2_419:                              ;   in Loop: Header=BB2_139 Depth=2
	s_waitcnt vmcnt(0)
	v_add_nc_u32_e32 v5, s12, v4
.LBB2_420:                              ;   in Loop: Header=BB2_139 Depth=2
	s_mov_b32 s53, exec_lo
.LBB2_421:                              ;   in Loop: Header=BB2_139 Depth=2
	s_or_b32 exec_lo, exec_lo, s52
	s_delay_alu instid0(SALU_CYCLE_1)
	s_and_b32 s52, s53, exec_lo
.LBB2_422:                              ;   in Loop: Header=BB2_139 Depth=2
	s_or_b32 exec_lo, exec_lo, s51
	s_delay_alu instid0(SALU_CYCLE_1)
	s_and_b32 s51, s52, exec_lo
	s_and_not1_saveexec_b32 s50, s50
	s_cbranch_execnz .LBB2_411
.LBB2_423:                              ;   in Loop: Header=BB2_139 Depth=2
	s_or_b32 exec_lo, exec_lo, s50
	s_and_saveexec_b32 s50, s51
	s_cbranch_execz .LBB2_425
.LBB2_424:                              ;   in Loop: Header=BB2_139 Depth=2
	v_lshlrev_b64 v[6:7], 2, v[6:7]
	s_delay_alu instid0(VALU_DEP_1) | instskip(NEXT) | instid1(VALU_DEP_2)
	v_add_co_u32 v6, vcc_lo, s13, v6
	v_add_co_ci_u32_e32 v7, vcc_lo, s15, v7, vcc_lo
	s_waitcnt vmcnt(0)
	global_store_b32 v[6:7], v5, off
.LBB2_425:                              ;   in Loop: Header=BB2_139 Depth=2
	s_or_b32 exec_lo, exec_lo, s50
	v_cmp_gt_i32_e32 vcc_lo, 0, v1
	s_mov_b32 s51, 0
	s_mov_b32 s50, exec_lo
                                        ; implicit-def: $vgpr5
                                        ; implicit-def: $vgpr6_vgpr7
	v_cndmask_b32_e64 v0, 0x7fffffff, 0, vcc_lo
	s_delay_alu instid0(VALU_DEP_1) | instskip(SKIP_1) | instid1(VALU_DEP_2)
	v_xor_b32_e32 v8, v0, v1
	v_add_nc_u32_e32 v0, 1, v4
	v_cmpx_ge_u32_e64 v8, v32
	s_xor_b32 s50, exec_lo, s50
	s_cbranch_execz .LBB2_432
; %bb.426:                              ;   in Loop: Header=BB2_139 Depth=2
	s_mov_b32 s52, 0
	s_mov_b32 s51, exec_lo
                                        ; implicit-def: $vgpr5
                                        ; implicit-def: $vgpr6_vgpr7
	v_cmpx_eq_u32_e64 v8, v32
	s_cbranch_execz .LBB2_444
; %bb.427:                              ;   in Loop: Header=BB2_139 Depth=2
	s_mov_b32 s53, exec_lo
	s_mov_b32 s52, exec_lo
	s_waitcnt vmcnt(0)
	v_mbcnt_lo_u32_b32 v5, s53, 0
                                        ; implicit-def: $vgpr6
	s_delay_alu instid0(VALU_DEP_1)
	v_cmpx_eq_u32_e32 0, v5
	s_cbranch_execz .LBB2_429
; %bb.428:                              ;   in Loop: Header=BB2_139 Depth=2
	s_bcnt1_i32_b32 s53, s53
	s_delay_alu instid0(SALU_CYCLE_1)
	v_mov_b32_e32 v6, s53
	global_atomic_add_u32 v6, v27, v6, s[8:9] offset:512 glc
.LBB2_429:                              ;   in Loop: Header=BB2_139 Depth=2
	s_or_b32 exec_lo, exec_lo, s52
	s_waitcnt vmcnt(0)
	v_readfirstlane_b32 s52, v6
	s_mov_b32 s53, 0
                                        ; implicit-def: $vgpr6_vgpr7
	s_delay_alu instid0(VALU_DEP_1) | instskip(SKIP_1) | instid1(VALU_DEP_1)
	v_add_nc_u32_e32 v8, s52, v5
	s_mov_b32 s52, exec_lo
                                        ; implicit-def: $vgpr5
	v_cmpx_lt_i32_e64 v8, v33
	s_cbranch_execz .LBB2_443
; %bb.430:                              ;   in Loop: Header=BB2_139 Depth=2
	v_xad_u32 v6, v8, -1, s39
	s_delay_alu instid0(VALU_DEP_1) | instskip(NEXT) | instid1(VALU_DEP_1)
	v_ashrrev_i32_e32 v7, 31, v6
	v_lshlrev_b64 v[8:9], 2, v[6:7]
	s_delay_alu instid0(VALU_DEP_1) | instskip(NEXT) | instid1(VALU_DEP_2)
	v_add_co_u32 v8, vcc_lo, s28, v8
	v_add_co_ci_u32_e32 v9, vcc_lo, s29, v9, vcc_lo
	s_and_not1_b32 vcc_lo, exec_lo, s11
	global_store_b32 v[8:9], v1, off
	s_cbranch_vccnz .LBB2_440
; %bb.431:                              ;   in Loop: Header=BB2_139 Depth=2
	v_ashrrev_i32_e32 v5, 31, v4
	s_delay_alu instid0(VALU_DEP_1) | instskip(NEXT) | instid1(VALU_DEP_1)
	v_lshlrev_b64 v[8:9], 2, v[4:5]
	v_add_co_u32 v8, vcc_lo, s14, v8
	s_delay_alu instid0(VALU_DEP_2)
	v_add_co_ci_u32_e32 v9, vcc_lo, s21, v9, vcc_lo
	global_load_b32 v5, v[8:9], off
	s_and_not1_b32 vcc_lo, exec_lo, s53
	s_cbranch_vccz .LBB2_441
	s_branch .LBB2_442
.LBB2_432:                              ;   in Loop: Header=BB2_139 Depth=2
	s_and_not1_saveexec_b32 s50, s50
	s_cbranch_execz .LBB2_445
.LBB2_433:                              ;   in Loop: Header=BB2_139 Depth=2
	s_mov_b32 s53, exec_lo
	s_mov_b32 s52, exec_lo
	s_waitcnt vmcnt(0)
	v_mbcnt_lo_u32_b32 v5, s53, 0
                                        ; implicit-def: $vgpr6
	s_delay_alu instid0(VALU_DEP_1)
	v_cmpx_eq_u32_e32 0, v5
	s_cbranch_execz .LBB2_435
; %bb.434:                              ;   in Loop: Header=BB2_139 Depth=2
	s_bcnt1_i32_b32 s53, s53
	s_delay_alu instid0(SALU_CYCLE_1)
	v_mov_b32_e32 v6, s53
	global_atomic_add_u32 v6, v27, v6, s[8:9] offset:384 glc
.LBB2_435:                              ;   in Loop: Header=BB2_139 Depth=2
	s_or_b32 exec_lo, exec_lo, s52
	s_waitcnt vmcnt(0)
	v_readfirstlane_b32 s52, v6
	s_delay_alu instid0(VALU_DEP_1) | instskip(NEXT) | instid1(VALU_DEP_1)
	v_add_nc_u32_e32 v6, s52, v5
	v_ashrrev_i32_e32 v7, 31, v6
	s_delay_alu instid0(VALU_DEP_1) | instskip(NEXT) | instid1(VALU_DEP_1)
	v_lshlrev_b64 v[8:9], 2, v[6:7]
	v_add_co_u32 v8, vcc_lo, s28, v8
	s_delay_alu instid0(VALU_DEP_2)
	v_add_co_ci_u32_e32 v9, vcc_lo, s29, v9, vcc_lo
	s_and_not1_b32 vcc_lo, exec_lo, s11
	global_store_b32 v[8:9], v1, off
	s_cbranch_vccnz .LBB2_437
; %bb.436:                              ;   in Loop: Header=BB2_139 Depth=2
	v_ashrrev_i32_e32 v5, 31, v4
	s_delay_alu instid0(VALU_DEP_1) | instskip(NEXT) | instid1(VALU_DEP_1)
	v_lshlrev_b64 v[8:9], 2, v[4:5]
	v_add_co_u32 v8, vcc_lo, s14, v8
	s_delay_alu instid0(VALU_DEP_2)
	v_add_co_ci_u32_e32 v9, vcc_lo, s21, v9, vcc_lo
	global_load_b32 v5, v[8:9], off
	s_cbranch_execz .LBB2_438
	s_branch .LBB2_439
.LBB2_437:                              ;   in Loop: Header=BB2_139 Depth=2
                                        ; implicit-def: $vgpr5
.LBB2_438:                              ;   in Loop: Header=BB2_139 Depth=2
	s_waitcnt vmcnt(0)
	v_add_nc_u32_e32 v5, s12, v0
.LBB2_439:                              ;   in Loop: Header=BB2_139 Depth=2
	s_or_b32 s51, s51, exec_lo
	s_or_b32 exec_lo, exec_lo, s50
	s_and_saveexec_b32 s50, s51
	s_cbranch_execnz .LBB2_446
	s_branch .LBB2_447
.LBB2_440:                              ;   in Loop: Header=BB2_139 Depth=2
                                        ; implicit-def: $vgpr5
.LBB2_441:                              ;   in Loop: Header=BB2_139 Depth=2
	s_waitcnt vmcnt(0)
	v_add_nc_u32_e32 v5, s12, v0
.LBB2_442:                              ;   in Loop: Header=BB2_139 Depth=2
	s_mov_b32 s53, exec_lo
.LBB2_443:                              ;   in Loop: Header=BB2_139 Depth=2
	s_or_b32 exec_lo, exec_lo, s52
	s_delay_alu instid0(SALU_CYCLE_1)
	s_and_b32 s52, s53, exec_lo
.LBB2_444:                              ;   in Loop: Header=BB2_139 Depth=2
	s_or_b32 exec_lo, exec_lo, s51
	s_delay_alu instid0(SALU_CYCLE_1)
	s_and_b32 s51, s52, exec_lo
                                        ; implicit-def: $vgpr0
	s_and_not1_saveexec_b32 s50, s50
	s_cbranch_execnz .LBB2_433
.LBB2_445:                              ;   in Loop: Header=BB2_139 Depth=2
	s_or_b32 exec_lo, exec_lo, s50
	s_and_saveexec_b32 s50, s51
	s_cbranch_execz .LBB2_447
.LBB2_446:                              ;   in Loop: Header=BB2_139 Depth=2
	v_lshlrev_b64 v[0:1], 2, v[6:7]
	s_delay_alu instid0(VALU_DEP_1) | instskip(NEXT) | instid1(VALU_DEP_2)
	v_add_co_u32 v0, vcc_lo, s13, v0
	v_add_co_ci_u32_e32 v1, vcc_lo, s15, v1, vcc_lo
	s_waitcnt vmcnt(0)
	global_store_b32 v[0:1], v5, off
.LBB2_447:                              ;   in Loop: Header=BB2_139 Depth=2
	s_or_b32 exec_lo, exec_lo, s50
	v_cmp_gt_i32_e32 vcc_lo, 0, v2
	v_add_nc_u32_e32 v6, 2, v4
	s_mov_b32 s51, 0
	s_mov_b32 s50, exec_lo
                                        ; implicit-def: $vgpr5
	v_cndmask_b32_e64 v0, 0x7fffffff, 0, vcc_lo
	s_delay_alu instid0(VALU_DEP_1) | instskip(NEXT) | instid1(VALU_DEP_1)
	v_xor_b32_e32 v7, v0, v2
                                        ; implicit-def: $vgpr0_vgpr1
	v_cmpx_ge_u32_e64 v7, v32
	s_xor_b32 s50, exec_lo, s50
	s_cbranch_execz .LBB2_454
; %bb.448:                              ;   in Loop: Header=BB2_139 Depth=2
	s_mov_b32 s52, 0
	s_mov_b32 s51, exec_lo
                                        ; implicit-def: $vgpr5
                                        ; implicit-def: $vgpr0_vgpr1
	v_cmpx_eq_u32_e64 v7, v32
	s_cbranch_execz .LBB2_466
; %bb.449:                              ;   in Loop: Header=BB2_139 Depth=2
	s_mov_b32 s53, exec_lo
	s_mov_b32 s52, exec_lo
	v_mbcnt_lo_u32_b32 v0, s53, 0
                                        ; implicit-def: $vgpr1
	s_delay_alu instid0(VALU_DEP_1)
	v_cmpx_eq_u32_e32 0, v0
	s_cbranch_execz .LBB2_451
; %bb.450:                              ;   in Loop: Header=BB2_139 Depth=2
	s_bcnt1_i32_b32 s53, s53
	s_delay_alu instid0(SALU_CYCLE_1)
	v_mov_b32_e32 v1, s53
	global_atomic_add_u32 v1, v27, v1, s[8:9] offset:512 glc
.LBB2_451:                              ;   in Loop: Header=BB2_139 Depth=2
	s_or_b32 exec_lo, exec_lo, s52
	s_waitcnt vmcnt(0)
	v_readfirstlane_b32 s52, v1
	s_mov_b32 s53, 0
                                        ; implicit-def: $vgpr5
	s_delay_alu instid0(VALU_DEP_1) | instskip(SKIP_1) | instid1(VALU_DEP_1)
	v_add_nc_u32_e32 v7, s52, v0
	s_mov_b32 s52, exec_lo
                                        ; implicit-def: $vgpr0_vgpr1
	v_cmpx_lt_i32_e64 v7, v33
	s_cbranch_execz .LBB2_465
; %bb.452:                              ;   in Loop: Header=BB2_139 Depth=2
	v_xad_u32 v0, v7, -1, s39
	s_delay_alu instid0(VALU_DEP_1) | instskip(NEXT) | instid1(VALU_DEP_1)
	v_ashrrev_i32_e32 v1, 31, v0
	v_lshlrev_b64 v[7:8], 2, v[0:1]
	s_delay_alu instid0(VALU_DEP_1) | instskip(NEXT) | instid1(VALU_DEP_2)
	v_add_co_u32 v7, vcc_lo, s28, v7
	v_add_co_ci_u32_e32 v8, vcc_lo, s29, v8, vcc_lo
	s_and_not1_b32 vcc_lo, exec_lo, s11
	global_store_b32 v[7:8], v2, off
	s_cbranch_vccnz .LBB2_462
; %bb.453:                              ;   in Loop: Header=BB2_139 Depth=2
	v_ashrrev_i32_e32 v5, 31, v4
	s_delay_alu instid0(VALU_DEP_1) | instskip(NEXT) | instid1(VALU_DEP_1)
	v_lshlrev_b64 v[7:8], 2, v[4:5]
	v_add_co_u32 v7, vcc_lo, s33, v7
	s_delay_alu instid0(VALU_DEP_2)
	v_add_co_ci_u32_e32 v8, vcc_lo, s34, v8, vcc_lo
	global_load_b32 v5, v[7:8], off
	s_and_not1_b32 vcc_lo, exec_lo, s53
	s_cbranch_vccz .LBB2_463
	s_branch .LBB2_464
.LBB2_454:                              ;   in Loop: Header=BB2_139 Depth=2
	s_and_not1_saveexec_b32 s50, s50
	s_cbranch_execz .LBB2_467
.LBB2_455:                              ;   in Loop: Header=BB2_139 Depth=2
	s_mov_b32 s53, exec_lo
	s_mov_b32 s52, exec_lo
	v_mbcnt_lo_u32_b32 v0, s53, 0
                                        ; implicit-def: $vgpr1
	s_delay_alu instid0(VALU_DEP_1)
	v_cmpx_eq_u32_e32 0, v0
	s_cbranch_execz .LBB2_457
; %bb.456:                              ;   in Loop: Header=BB2_139 Depth=2
	s_bcnt1_i32_b32 s53, s53
	s_delay_alu instid0(SALU_CYCLE_1)
	v_mov_b32_e32 v1, s53
	global_atomic_add_u32 v1, v27, v1, s[8:9] offset:384 glc
.LBB2_457:                              ;   in Loop: Header=BB2_139 Depth=2
	s_or_b32 exec_lo, exec_lo, s52
	s_waitcnt vmcnt(0)
	v_readfirstlane_b32 s52, v1
	s_delay_alu instid0(VALU_DEP_1) | instskip(NEXT) | instid1(VALU_DEP_1)
	v_add_nc_u32_e32 v0, s52, v0
	v_ashrrev_i32_e32 v1, 31, v0
	s_delay_alu instid0(VALU_DEP_1) | instskip(NEXT) | instid1(VALU_DEP_1)
	v_lshlrev_b64 v[7:8], 2, v[0:1]
	v_add_co_u32 v7, vcc_lo, s28, v7
	s_delay_alu instid0(VALU_DEP_2)
	v_add_co_ci_u32_e32 v8, vcc_lo, s29, v8, vcc_lo
	s_and_not1_b32 vcc_lo, exec_lo, s11
	global_store_b32 v[7:8], v2, off
	s_cbranch_vccnz .LBB2_459
; %bb.458:                              ;   in Loop: Header=BB2_139 Depth=2
	v_ashrrev_i32_e32 v5, 31, v4
	s_delay_alu instid0(VALU_DEP_1) | instskip(NEXT) | instid1(VALU_DEP_1)
	v_lshlrev_b64 v[7:8], 2, v[4:5]
	v_add_co_u32 v7, vcc_lo, s33, v7
	s_delay_alu instid0(VALU_DEP_2)
	v_add_co_ci_u32_e32 v8, vcc_lo, s34, v8, vcc_lo
	global_load_b32 v5, v[7:8], off
	s_cbranch_execz .LBB2_460
	s_branch .LBB2_461
.LBB2_459:                              ;   in Loop: Header=BB2_139 Depth=2
                                        ; implicit-def: $vgpr5
.LBB2_460:                              ;   in Loop: Header=BB2_139 Depth=2
	s_waitcnt vmcnt(0)
	v_add_nc_u32_e32 v5, s12, v6
.LBB2_461:                              ;   in Loop: Header=BB2_139 Depth=2
	s_or_b32 s51, s51, exec_lo
	s_or_b32 exec_lo, exec_lo, s50
	s_and_saveexec_b32 s50, s51
	s_cbranch_execnz .LBB2_468
	s_branch .LBB2_469
.LBB2_462:                              ;   in Loop: Header=BB2_139 Depth=2
                                        ; implicit-def: $vgpr5
.LBB2_463:                              ;   in Loop: Header=BB2_139 Depth=2
	s_waitcnt vmcnt(0)
	v_add_nc_u32_e32 v5, s12, v6
.LBB2_464:                              ;   in Loop: Header=BB2_139 Depth=2
	s_mov_b32 s53, exec_lo
.LBB2_465:                              ;   in Loop: Header=BB2_139 Depth=2
	s_or_b32 exec_lo, exec_lo, s52
	s_delay_alu instid0(SALU_CYCLE_1)
	s_and_b32 s52, s53, exec_lo
.LBB2_466:                              ;   in Loop: Header=BB2_139 Depth=2
	s_or_b32 exec_lo, exec_lo, s51
	s_delay_alu instid0(SALU_CYCLE_1)
	s_and_b32 s51, s52, exec_lo
                                        ; implicit-def: $vgpr6
	s_and_not1_saveexec_b32 s50, s50
	s_cbranch_execnz .LBB2_455
.LBB2_467:                              ;   in Loop: Header=BB2_139 Depth=2
	s_or_b32 exec_lo, exec_lo, s50
	s_and_saveexec_b32 s50, s51
	s_cbranch_execz .LBB2_469
.LBB2_468:                              ;   in Loop: Header=BB2_139 Depth=2
	v_lshlrev_b64 v[0:1], 2, v[0:1]
	s_delay_alu instid0(VALU_DEP_1) | instskip(NEXT) | instid1(VALU_DEP_2)
	v_add_co_u32 v0, vcc_lo, s13, v0
	v_add_co_ci_u32_e32 v1, vcc_lo, s15, v1, vcc_lo
	s_waitcnt vmcnt(0)
	global_store_b32 v[0:1], v5, off
.LBB2_469:                              ;   in Loop: Header=BB2_139 Depth=2
	s_or_b32 exec_lo, exec_lo, s50
	v_cmp_gt_i32_e32 vcc_lo, 0, v3
	v_add_nc_u32_e32 v8, 3, v4
	s_mov_b32 s51, 0
	s_mov_b32 s50, exec_lo
                                        ; implicit-def: $vgpr5
                                        ; implicit-def: $vgpr6_vgpr7
	v_cndmask_b32_e64 v0, 0x7fffffff, 0, vcc_lo
	s_delay_alu instid0(VALU_DEP_1) | instskip(NEXT) | instid1(VALU_DEP_1)
	v_xor_b32_e32 v0, v0, v3
	v_cmpx_ge_u32_e64 v0, v32
	s_xor_b32 s50, exec_lo, s50
	s_cbranch_execz .LBB2_476
; %bb.470:                              ;   in Loop: Header=BB2_139 Depth=2
	s_mov_b32 s52, 0
	s_mov_b32 s51, exec_lo
                                        ; implicit-def: $vgpr5
                                        ; implicit-def: $vgpr6_vgpr7
	v_cmpx_eq_u32_e64 v0, v32
	s_cbranch_execz .LBB2_488
; %bb.471:                              ;   in Loop: Header=BB2_139 Depth=2
	s_mov_b32 s53, exec_lo
	s_mov_b32 s52, exec_lo
	v_mbcnt_lo_u32_b32 v0, s53, 0
                                        ; implicit-def: $vgpr1
	s_delay_alu instid0(VALU_DEP_1)
	v_cmpx_eq_u32_e32 0, v0
	s_cbranch_execz .LBB2_473
; %bb.472:                              ;   in Loop: Header=BB2_139 Depth=2
	s_bcnt1_i32_b32 s53, s53
	s_delay_alu instid0(SALU_CYCLE_1)
	v_mov_b32_e32 v1, s53
	global_atomic_add_u32 v1, v27, v1, s[8:9] offset:512 glc
.LBB2_473:                              ;   in Loop: Header=BB2_139 Depth=2
	s_or_b32 exec_lo, exec_lo, s52
	s_waitcnt vmcnt(0)
	v_readfirstlane_b32 s52, v1
	s_mov_b32 s53, 0
                                        ; implicit-def: $vgpr5
                                        ; implicit-def: $vgpr6_vgpr7
	s_delay_alu instid0(VALU_DEP_1) | instskip(SKIP_1) | instid1(VALU_DEP_1)
	v_add_nc_u32_e32 v0, s52, v0
	s_mov_b32 s52, exec_lo
	v_cmpx_lt_i32_e64 v0, v33
	s_cbranch_execz .LBB2_487
; %bb.474:                              ;   in Loop: Header=BB2_139 Depth=2
	v_xad_u32 v6, v0, -1, s39
	s_delay_alu instid0(VALU_DEP_1) | instskip(NEXT) | instid1(VALU_DEP_1)
	v_ashrrev_i32_e32 v7, 31, v6
	v_lshlrev_b64 v[0:1], 2, v[6:7]
	s_delay_alu instid0(VALU_DEP_1) | instskip(NEXT) | instid1(VALU_DEP_2)
	v_add_co_u32 v0, vcc_lo, s28, v0
	v_add_co_ci_u32_e32 v1, vcc_lo, s29, v1, vcc_lo
	s_and_not1_b32 vcc_lo, exec_lo, s11
	global_store_b32 v[0:1], v3, off
	s_cbranch_vccnz .LBB2_484
; %bb.475:                              ;   in Loop: Header=BB2_139 Depth=2
	v_ashrrev_i32_e32 v5, 31, v4
	s_delay_alu instid0(VALU_DEP_1) | instskip(NEXT) | instid1(VALU_DEP_1)
	v_lshlrev_b64 v[0:1], 2, v[4:5]
	v_add_co_u32 v0, vcc_lo, s35, v0
	s_delay_alu instid0(VALU_DEP_2)
	v_add_co_ci_u32_e32 v1, vcc_lo, s36, v1, vcc_lo
	global_load_b32 v5, v[0:1], off
	s_and_not1_b32 vcc_lo, exec_lo, s53
	s_cbranch_vccz .LBB2_485
	s_branch .LBB2_486
.LBB2_476:                              ;   in Loop: Header=BB2_139 Depth=2
	s_and_not1_saveexec_b32 s50, s50
	s_cbranch_execz .LBB2_489
.LBB2_477:                              ;   in Loop: Header=BB2_139 Depth=2
	s_mov_b32 s53, exec_lo
	s_mov_b32 s52, exec_lo
	v_mbcnt_lo_u32_b32 v0, s53, 0
                                        ; implicit-def: $vgpr1
	s_delay_alu instid0(VALU_DEP_1)
	v_cmpx_eq_u32_e32 0, v0
	s_cbranch_execz .LBB2_479
; %bb.478:                              ;   in Loop: Header=BB2_139 Depth=2
	s_bcnt1_i32_b32 s53, s53
	s_delay_alu instid0(SALU_CYCLE_1)
	v_mov_b32_e32 v1, s53
	global_atomic_add_u32 v1, v27, v1, s[8:9] offset:384 glc
.LBB2_479:                              ;   in Loop: Header=BB2_139 Depth=2
	s_or_b32 exec_lo, exec_lo, s52
	s_waitcnt vmcnt(0)
	v_readfirstlane_b32 s52, v1
	s_delay_alu instid0(VALU_DEP_1) | instskip(NEXT) | instid1(VALU_DEP_1)
	v_add_nc_u32_e32 v6, s52, v0
	v_ashrrev_i32_e32 v7, 31, v6
	s_delay_alu instid0(VALU_DEP_1) | instskip(NEXT) | instid1(VALU_DEP_1)
	v_lshlrev_b64 v[0:1], 2, v[6:7]
	v_add_co_u32 v0, vcc_lo, s28, v0
	s_delay_alu instid0(VALU_DEP_2)
	v_add_co_ci_u32_e32 v1, vcc_lo, s29, v1, vcc_lo
	s_and_not1_b32 vcc_lo, exec_lo, s11
	global_store_b32 v[0:1], v3, off
	s_cbranch_vccnz .LBB2_481
; %bb.480:                              ;   in Loop: Header=BB2_139 Depth=2
	v_ashrrev_i32_e32 v5, 31, v4
	s_delay_alu instid0(VALU_DEP_1) | instskip(NEXT) | instid1(VALU_DEP_1)
	v_lshlrev_b64 v[0:1], 2, v[4:5]
	v_add_co_u32 v0, vcc_lo, s35, v0
	s_delay_alu instid0(VALU_DEP_2)
	v_add_co_ci_u32_e32 v1, vcc_lo, s36, v1, vcc_lo
	global_load_b32 v5, v[0:1], off
	s_cbranch_execz .LBB2_482
	s_branch .LBB2_483
.LBB2_481:                              ;   in Loop: Header=BB2_139 Depth=2
                                        ; implicit-def: $vgpr5
.LBB2_482:                              ;   in Loop: Header=BB2_139 Depth=2
	s_waitcnt vmcnt(0)
	v_add_nc_u32_e32 v5, s12, v8
.LBB2_483:                              ;   in Loop: Header=BB2_139 Depth=2
	s_or_b32 s51, s51, exec_lo
	s_or_b32 exec_lo, exec_lo, s50
	s_and_saveexec_b32 s50, s51
	s_cbranch_execz .LBB2_138
	s_branch .LBB2_490
.LBB2_484:                              ;   in Loop: Header=BB2_139 Depth=2
                                        ; implicit-def: $vgpr5
.LBB2_485:                              ;   in Loop: Header=BB2_139 Depth=2
	s_waitcnt vmcnt(0)
	v_add_nc_u32_e32 v5, s12, v8
.LBB2_486:                              ;   in Loop: Header=BB2_139 Depth=2
	s_mov_b32 s53, exec_lo
.LBB2_487:                              ;   in Loop: Header=BB2_139 Depth=2
	s_or_b32 exec_lo, exec_lo, s52
	s_delay_alu instid0(SALU_CYCLE_1)
	s_and_b32 s52, s53, exec_lo
.LBB2_488:                              ;   in Loop: Header=BB2_139 Depth=2
	s_or_b32 exec_lo, exec_lo, s51
	s_delay_alu instid0(SALU_CYCLE_1)
	s_and_b32 s51, s52, exec_lo
                                        ; implicit-def: $vgpr8
                                        ; implicit-def: $vgpr4
                                        ; implicit-def: $vgpr0_vgpr1_vgpr2_vgpr3
	s_and_not1_saveexec_b32 s50, s50
	s_cbranch_execnz .LBB2_477
.LBB2_489:                              ;   in Loop: Header=BB2_139 Depth=2
	s_or_b32 exec_lo, exec_lo, s50
	s_and_saveexec_b32 s50, s51
	s_cbranch_execz .LBB2_138
.LBB2_490:                              ;   in Loop: Header=BB2_139 Depth=2
	v_lshlrev_b64 v[0:1], 2, v[6:7]
	s_delay_alu instid0(VALU_DEP_1) | instskip(NEXT) | instid1(VALU_DEP_2)
	v_add_co_u32 v0, vcc_lo, s13, v0
	v_add_co_ci_u32_e32 v1, vcc_lo, s15, v1, vcc_lo
	s_waitcnt vmcnt(0)
	global_store_b32 v[0:1], v5, off
	s_branch .LBB2_138
.LBB2_491:                              ;   in Loop: Header=BB2_22 Depth=1
	s_or_b32 exec_lo, exec_lo, s49
.LBB2_492:                              ;   in Loop: Header=BB2_22 Depth=1
	s_delay_alu instid0(SALU_CYCLE_1) | instskip(NEXT) | instid1(SALU_CYCLE_1)
	s_or_b32 exec_lo, exec_lo, s6
	s_mov_b32 s6, exec_lo
	v_cmpx_gt_i32_e64 s18, v34
	s_cbranch_execz .LBB2_583
; %bb.493:                              ;   in Loop: Header=BB2_22 Depth=1
	v_lshl_add_u32 v4, v34, 2, s20
	s_mov_b32 s49, 0
	s_branch .LBB2_495
.LBB2_494:                              ;   in Loop: Header=BB2_495 Depth=2
	s_or_b32 exec_lo, exec_lo, s50
	v_add_nc_u32_e32 v34, s10, v34
	v_add_nc_u32_e32 v4, s31, v4
	s_delay_alu instid0(VALU_DEP_2) | instskip(SKIP_1) | instid1(SALU_CYCLE_1)
	v_cmp_le_i32_e32 vcc_lo, s18, v34
	s_or_b32 s49, vcc_lo, s49
	s_and_not1_b32 exec_lo, exec_lo, s49
	s_cbranch_execz .LBB2_583
.LBB2_495:                              ;   Parent Loop BB2_22 Depth=1
                                        ; =>  This Inner Loop Header: Depth=2
	v_ashrrev_i32_e32 v35, 31, v34
	v_lshl_add_u32 v8, v34, 2, s20
	s_mov_b32 s51, 0
	s_mov_b32 s50, exec_lo
                                        ; implicit-def: $vgpr6_vgpr7
	s_delay_alu instid0(VALU_DEP_2) | instskip(NEXT) | instid1(VALU_DEP_1)
	v_lshlrev_b64 v[0:1], 4, v[34:35]
	v_add_co_u32 v0, vcc_lo, s26, v0
	s_delay_alu instid0(VALU_DEP_2) | instskip(SKIP_4) | instid1(VALU_DEP_1)
	v_add_co_ci_u32_e32 v1, vcc_lo, s30, v1, vcc_lo
	global_load_b128 v[0:3], v[0:1], off
	s_waitcnt vmcnt(0)
	v_cmp_gt_i32_e32 vcc_lo, 0, v0
	v_cndmask_b32_e64 v5, 0x7fffffff, 0, vcc_lo
	v_xor_b32_e32 v9, v5, v0
                                        ; implicit-def: $vgpr5
	s_waitcnt lgkmcnt(0)
	s_delay_alu instid0(VALU_DEP_1)
	v_cmpx_ge_u32_e64 v9, v32
	s_xor_b32 s50, exec_lo, s50
	s_cbranch_execz .LBB2_502
; %bb.496:                              ;   in Loop: Header=BB2_495 Depth=2
	s_mov_b32 s52, 0
	s_mov_b32 s51, exec_lo
                                        ; implicit-def: $vgpr5
                                        ; implicit-def: $vgpr6_vgpr7
	v_cmpx_eq_u32_e64 v9, v32
	s_cbranch_execz .LBB2_514
; %bb.497:                              ;   in Loop: Header=BB2_495 Depth=2
	s_mov_b32 s53, exec_lo
	s_mov_b32 s52, exec_lo
	v_mbcnt_lo_u32_b32 v5, s53, 0
                                        ; implicit-def: $vgpr6
	s_delay_alu instid0(VALU_DEP_1)
	v_cmpx_eq_u32_e32 0, v5
	s_cbranch_execz .LBB2_499
; %bb.498:                              ;   in Loop: Header=BB2_495 Depth=2
	s_bcnt1_i32_b32 s53, s53
	s_delay_alu instid0(SALU_CYCLE_1)
	v_mov_b32_e32 v6, s53
	global_atomic_add_u32 v6, v27, v6, s[8:9] offset:512 glc
.LBB2_499:                              ;   in Loop: Header=BB2_495 Depth=2
	s_or_b32 exec_lo, exec_lo, s52
	s_waitcnt vmcnt(0)
	v_readfirstlane_b32 s52, v6
	s_mov_b32 s53, 0
                                        ; implicit-def: $vgpr6_vgpr7
	s_delay_alu instid0(VALU_DEP_1) | instskip(SKIP_1) | instid1(VALU_DEP_1)
	v_add_nc_u32_e32 v9, s52, v5
	s_mov_b32 s52, exec_lo
                                        ; implicit-def: $vgpr5
	v_cmpx_lt_i32_e64 v9, v33
	s_xor_b32 s52, exec_lo, s52
	s_cbranch_execz .LBB2_513
; %bb.500:                              ;   in Loop: Header=BB2_495 Depth=2
	v_xad_u32 v6, v9, -1, s39
	s_delay_alu instid0(VALU_DEP_1) | instskip(NEXT) | instid1(VALU_DEP_1)
	v_ashrrev_i32_e32 v7, 31, v6
	v_lshlrev_b64 v[9:10], 2, v[6:7]
	s_delay_alu instid0(VALU_DEP_1) | instskip(NEXT) | instid1(VALU_DEP_2)
	v_add_co_u32 v9, vcc_lo, s28, v9
	v_add_co_ci_u32_e32 v10, vcc_lo, s29, v10, vcc_lo
	s_and_not1_b32 vcc_lo, exec_lo, s11
	global_store_b32 v[9:10], v0, off
	s_cbranch_vccnz .LBB2_510
; %bb.501:                              ;   in Loop: Header=BB2_495 Depth=2
	v_ashrrev_i32_e32 v5, 31, v4
	s_delay_alu instid0(VALU_DEP_1) | instskip(NEXT) | instid1(VALU_DEP_1)
	v_lshlrev_b64 v[9:10], 2, v[4:5]
	v_add_co_u32 v9, vcc_lo, s16, v9
	s_delay_alu instid0(VALU_DEP_2)
	v_add_co_ci_u32_e32 v10, vcc_lo, s17, v10, vcc_lo
	global_load_b32 v5, v[9:10], off
	s_and_not1_b32 vcc_lo, exec_lo, s53
	s_cbranch_vccz .LBB2_511
	s_branch .LBB2_512
.LBB2_502:                              ;   in Loop: Header=BB2_495 Depth=2
	s_and_not1_saveexec_b32 s50, s50
	s_cbranch_execz .LBB2_515
.LBB2_503:                              ;   in Loop: Header=BB2_495 Depth=2
	s_mov_b32 s53, exec_lo
	s_mov_b32 s52, exec_lo
	s_waitcnt vmcnt(0)
	v_mbcnt_lo_u32_b32 v5, s53, 0
                                        ; implicit-def: $vgpr6
	s_delay_alu instid0(VALU_DEP_1)
	v_cmpx_eq_u32_e32 0, v5
	s_cbranch_execz .LBB2_505
; %bb.504:                              ;   in Loop: Header=BB2_495 Depth=2
	s_bcnt1_i32_b32 s53, s53
	s_delay_alu instid0(SALU_CYCLE_1)
	v_mov_b32_e32 v6, s53
	global_atomic_add_u32 v6, v27, v6, s[8:9] offset:384 glc
.LBB2_505:                              ;   in Loop: Header=BB2_495 Depth=2
	s_or_b32 exec_lo, exec_lo, s52
	s_waitcnt vmcnt(0)
	v_readfirstlane_b32 s52, v6
	s_delay_alu instid0(VALU_DEP_1) | instskip(NEXT) | instid1(VALU_DEP_1)
	v_add_nc_u32_e32 v6, s52, v5
	v_ashrrev_i32_e32 v7, 31, v6
	s_delay_alu instid0(VALU_DEP_1) | instskip(NEXT) | instid1(VALU_DEP_1)
	v_lshlrev_b64 v[9:10], 2, v[6:7]
	v_add_co_u32 v9, vcc_lo, s28, v9
	s_delay_alu instid0(VALU_DEP_2)
	v_add_co_ci_u32_e32 v10, vcc_lo, s29, v10, vcc_lo
	s_and_not1_b32 vcc_lo, exec_lo, s11
	global_store_b32 v[9:10], v0, off
	s_cbranch_vccnz .LBB2_507
; %bb.506:                              ;   in Loop: Header=BB2_495 Depth=2
	v_ashrrev_i32_e32 v5, 31, v4
	s_delay_alu instid0(VALU_DEP_1) | instskip(NEXT) | instid1(VALU_DEP_1)
	v_lshlrev_b64 v[9:10], 2, v[4:5]
	v_add_co_u32 v9, vcc_lo, s16, v9
	s_delay_alu instid0(VALU_DEP_2)
	v_add_co_ci_u32_e32 v10, vcc_lo, s17, v10, vcc_lo
	global_load_b32 v5, v[9:10], off
	s_cbranch_execz .LBB2_508
	s_branch .LBB2_509
.LBB2_507:                              ;   in Loop: Header=BB2_495 Depth=2
                                        ; implicit-def: $vgpr5
.LBB2_508:                              ;   in Loop: Header=BB2_495 Depth=2
	s_waitcnt vmcnt(0)
	v_add_nc_u32_e32 v5, s12, v4
.LBB2_509:                              ;   in Loop: Header=BB2_495 Depth=2
	s_or_b32 s51, s51, exec_lo
	s_or_b32 exec_lo, exec_lo, s50
	s_and_saveexec_b32 s50, s51
	s_cbranch_execnz .LBB2_516
	s_branch .LBB2_517
.LBB2_510:                              ;   in Loop: Header=BB2_495 Depth=2
                                        ; implicit-def: $vgpr5
.LBB2_511:                              ;   in Loop: Header=BB2_495 Depth=2
	s_waitcnt vmcnt(0)
	v_add_nc_u32_e32 v5, s12, v8
.LBB2_512:                              ;   in Loop: Header=BB2_495 Depth=2
	s_mov_b32 s53, exec_lo
.LBB2_513:                              ;   in Loop: Header=BB2_495 Depth=2
	s_or_b32 exec_lo, exec_lo, s52
	s_delay_alu instid0(SALU_CYCLE_1)
	s_and_b32 s52, s53, exec_lo
.LBB2_514:                              ;   in Loop: Header=BB2_495 Depth=2
	s_or_b32 exec_lo, exec_lo, s51
	s_delay_alu instid0(SALU_CYCLE_1)
	s_and_b32 s51, s52, exec_lo
	s_and_not1_saveexec_b32 s50, s50
	s_cbranch_execnz .LBB2_503
.LBB2_515:                              ;   in Loop: Header=BB2_495 Depth=2
	s_or_b32 exec_lo, exec_lo, s50
	s_and_saveexec_b32 s50, s51
	s_cbranch_execz .LBB2_517
.LBB2_516:                              ;   in Loop: Header=BB2_495 Depth=2
	v_lshlrev_b64 v[6:7], 2, v[6:7]
	s_delay_alu instid0(VALU_DEP_1) | instskip(NEXT) | instid1(VALU_DEP_2)
	v_add_co_u32 v6, vcc_lo, s13, v6
	v_add_co_ci_u32_e32 v7, vcc_lo, s15, v7, vcc_lo
	s_waitcnt vmcnt(0)
	global_store_b32 v[6:7], v5, off
.LBB2_517:                              ;   in Loop: Header=BB2_495 Depth=2
	s_or_b32 exec_lo, exec_lo, s50
	v_cmp_gt_i32_e32 vcc_lo, 0, v1
	s_mov_b32 s51, 0
	s_mov_b32 s50, exec_lo
                                        ; implicit-def: $vgpr6_vgpr7
	v_cndmask_b32_e64 v0, 0x7fffffff, 0, vcc_lo
	s_waitcnt vmcnt(0)
	s_delay_alu instid0(VALU_DEP_1) | instskip(NEXT) | instid1(VALU_DEP_1)
	v_xor_b32_e32 v5, v0, v1
                                        ; implicit-def: $vgpr0
	v_cmpx_ge_u32_e64 v5, v32
	s_xor_b32 s50, exec_lo, s50
	s_cbranch_execz .LBB2_524
; %bb.518:                              ;   in Loop: Header=BB2_495 Depth=2
	s_mov_b32 s52, 0
	s_mov_b32 s51, exec_lo
                                        ; implicit-def: $vgpr0
                                        ; implicit-def: $vgpr6_vgpr7
	v_cmpx_eq_u32_e64 v5, v32
	s_cbranch_execz .LBB2_536
; %bb.519:                              ;   in Loop: Header=BB2_495 Depth=2
	s_mov_b32 s53, exec_lo
	s_mov_b32 s52, exec_lo
	v_mbcnt_lo_u32_b32 v0, s53, 0
                                        ; implicit-def: $vgpr5
	s_delay_alu instid0(VALU_DEP_1)
	v_cmpx_eq_u32_e32 0, v0
	s_cbranch_execz .LBB2_521
; %bb.520:                              ;   in Loop: Header=BB2_495 Depth=2
	s_bcnt1_i32_b32 s53, s53
	s_delay_alu instid0(SALU_CYCLE_1)
	v_mov_b32_e32 v5, s53
	global_atomic_add_u32 v5, v27, v5, s[8:9] offset:512 glc
.LBB2_521:                              ;   in Loop: Header=BB2_495 Depth=2
	s_or_b32 exec_lo, exec_lo, s52
	s_waitcnt vmcnt(0)
	v_readfirstlane_b32 s52, v5
	s_mov_b32 s53, 0
                                        ; implicit-def: $vgpr6_vgpr7
	s_delay_alu instid0(VALU_DEP_1) | instskip(SKIP_1) | instid1(VALU_DEP_1)
	v_add_nc_u32_e32 v5, s52, v0
	s_mov_b32 s52, exec_lo
                                        ; implicit-def: $vgpr0
	v_cmpx_lt_i32_e64 v5, v33
	s_cbranch_execz .LBB2_535
; %bb.522:                              ;   in Loop: Header=BB2_495 Depth=2
	v_xad_u32 v6, v5, -1, s39
	s_delay_alu instid0(VALU_DEP_1) | instskip(NEXT) | instid1(VALU_DEP_1)
	v_ashrrev_i32_e32 v7, 31, v6
	v_lshlrev_b64 v[9:10], 2, v[6:7]
	s_delay_alu instid0(VALU_DEP_1) | instskip(NEXT) | instid1(VALU_DEP_2)
	v_add_co_u32 v9, vcc_lo, s28, v9
	v_add_co_ci_u32_e32 v10, vcc_lo, s29, v10, vcc_lo
	s_and_not1_b32 vcc_lo, exec_lo, s11
	global_store_b32 v[9:10], v1, off
	s_cbranch_vccnz .LBB2_532
; %bb.523:                              ;   in Loop: Header=BB2_495 Depth=2
	v_ashrrev_i32_e32 v5, 31, v4
	s_delay_alu instid0(VALU_DEP_1) | instskip(NEXT) | instid1(VALU_DEP_1)
	v_lshlrev_b64 v[9:10], 2, v[4:5]
	v_add_co_u32 v9, vcc_lo, s14, v9
	s_delay_alu instid0(VALU_DEP_2)
	v_add_co_ci_u32_e32 v10, vcc_lo, s21, v10, vcc_lo
	global_load_b32 v0, v[9:10], off
	s_and_not1_b32 vcc_lo, exec_lo, s53
	s_cbranch_vccz .LBB2_533
	s_branch .LBB2_534
.LBB2_524:                              ;   in Loop: Header=BB2_495 Depth=2
	s_and_not1_saveexec_b32 s50, s50
	s_cbranch_execz .LBB2_537
.LBB2_525:                              ;   in Loop: Header=BB2_495 Depth=2
	s_mov_b32 s53, exec_lo
	s_mov_b32 s52, exec_lo
	s_waitcnt vmcnt(0)
	v_mbcnt_lo_u32_b32 v0, s53, 0
                                        ; implicit-def: $vgpr5
	s_delay_alu instid0(VALU_DEP_1)
	v_cmpx_eq_u32_e32 0, v0
	s_cbranch_execz .LBB2_527
; %bb.526:                              ;   in Loop: Header=BB2_495 Depth=2
	s_bcnt1_i32_b32 s53, s53
	s_delay_alu instid0(SALU_CYCLE_1)
	v_mov_b32_e32 v5, s53
	global_atomic_add_u32 v5, v27, v5, s[8:9] offset:384 glc
.LBB2_527:                              ;   in Loop: Header=BB2_495 Depth=2
	s_or_b32 exec_lo, exec_lo, s52
	s_waitcnt vmcnt(0)
	v_readfirstlane_b32 s52, v5
	s_delay_alu instid0(VALU_DEP_1) | instskip(NEXT) | instid1(VALU_DEP_1)
	v_add_nc_u32_e32 v6, s52, v0
	v_ashrrev_i32_e32 v7, 31, v6
	s_delay_alu instid0(VALU_DEP_1) | instskip(NEXT) | instid1(VALU_DEP_1)
	v_lshlrev_b64 v[9:10], 2, v[6:7]
	v_add_co_u32 v9, vcc_lo, s28, v9
	s_delay_alu instid0(VALU_DEP_2)
	v_add_co_ci_u32_e32 v10, vcc_lo, s29, v10, vcc_lo
	s_and_not1_b32 vcc_lo, exec_lo, s11
	global_store_b32 v[9:10], v1, off
	s_cbranch_vccnz .LBB2_529
; %bb.528:                              ;   in Loop: Header=BB2_495 Depth=2
	v_ashrrev_i32_e32 v5, 31, v4
	s_delay_alu instid0(VALU_DEP_1) | instskip(NEXT) | instid1(VALU_DEP_1)
	v_lshlrev_b64 v[0:1], 2, v[4:5]
	v_add_co_u32 v0, vcc_lo, s14, v0
	s_delay_alu instid0(VALU_DEP_2)
	v_add_co_ci_u32_e32 v1, vcc_lo, s21, v1, vcc_lo
	global_load_b32 v0, v[0:1], off
	s_cbranch_execz .LBB2_530
	s_branch .LBB2_531
.LBB2_529:                              ;   in Loop: Header=BB2_495 Depth=2
                                        ; implicit-def: $vgpr0
.LBB2_530:                              ;   in Loop: Header=BB2_495 Depth=2
	s_waitcnt vmcnt(0)
	v_add3_u32 v0, s12, v4, 1
.LBB2_531:                              ;   in Loop: Header=BB2_495 Depth=2
	s_or_b32 s51, s51, exec_lo
	s_or_b32 exec_lo, exec_lo, s50
	s_and_saveexec_b32 s50, s51
	s_cbranch_execnz .LBB2_538
	s_branch .LBB2_539
.LBB2_532:                              ;   in Loop: Header=BB2_495 Depth=2
                                        ; implicit-def: $vgpr0
.LBB2_533:                              ;   in Loop: Header=BB2_495 Depth=2
	s_waitcnt vmcnt(0)
	v_add3_u32 v0, v8, s12, 1
.LBB2_534:                              ;   in Loop: Header=BB2_495 Depth=2
	s_mov_b32 s53, exec_lo
.LBB2_535:                              ;   in Loop: Header=BB2_495 Depth=2
	s_or_b32 exec_lo, exec_lo, s52
	s_delay_alu instid0(SALU_CYCLE_1)
	s_and_b32 s52, s53, exec_lo
.LBB2_536:                              ;   in Loop: Header=BB2_495 Depth=2
	s_or_b32 exec_lo, exec_lo, s51
	s_delay_alu instid0(SALU_CYCLE_1)
	s_and_b32 s51, s52, exec_lo
	s_and_not1_saveexec_b32 s50, s50
	s_cbranch_execnz .LBB2_525
.LBB2_537:                              ;   in Loop: Header=BB2_495 Depth=2
	s_or_b32 exec_lo, exec_lo, s50
	s_and_saveexec_b32 s50, s51
	s_cbranch_execz .LBB2_539
.LBB2_538:                              ;   in Loop: Header=BB2_495 Depth=2
	v_lshlrev_b64 v[5:6], 2, v[6:7]
	s_delay_alu instid0(VALU_DEP_1) | instskip(NEXT) | instid1(VALU_DEP_2)
	v_add_co_u32 v5, vcc_lo, s13, v5
	v_add_co_ci_u32_e32 v6, vcc_lo, s15, v6, vcc_lo
	s_waitcnt vmcnt(0)
	global_store_b32 v[5:6], v0, off
.LBB2_539:                              ;   in Loop: Header=BB2_495 Depth=2
	s_or_b32 exec_lo, exec_lo, s50
	v_cmp_gt_i32_e32 vcc_lo, 0, v2
	s_mov_b32 s51, 0
	s_mov_b32 s50, exec_lo
                                        ; implicit-def: $vgpr5
	s_waitcnt vmcnt(0)
	v_cndmask_b32_e64 v0, 0x7fffffff, 0, vcc_lo
	s_delay_alu instid0(VALU_DEP_1) | instskip(NEXT) | instid1(VALU_DEP_1)
	v_xor_b32_e32 v6, v0, v2
                                        ; implicit-def: $vgpr0_vgpr1
	v_cmpx_ge_u32_e64 v6, v32
	s_xor_b32 s50, exec_lo, s50
	s_cbranch_execz .LBB2_546
; %bb.540:                              ;   in Loop: Header=BB2_495 Depth=2
	s_mov_b32 s52, 0
	s_mov_b32 s51, exec_lo
                                        ; implicit-def: $vgpr5
                                        ; implicit-def: $vgpr0_vgpr1
	v_cmpx_eq_u32_e64 v6, v32
	s_cbranch_execz .LBB2_558
; %bb.541:                              ;   in Loop: Header=BB2_495 Depth=2
	s_mov_b32 s53, exec_lo
	s_mov_b32 s52, exec_lo
	v_mbcnt_lo_u32_b32 v0, s53, 0
                                        ; implicit-def: $vgpr1
	s_delay_alu instid0(VALU_DEP_1)
	v_cmpx_eq_u32_e32 0, v0
	s_cbranch_execz .LBB2_543
; %bb.542:                              ;   in Loop: Header=BB2_495 Depth=2
	s_bcnt1_i32_b32 s53, s53
	s_delay_alu instid0(SALU_CYCLE_1)
	v_mov_b32_e32 v1, s53
	global_atomic_add_u32 v1, v27, v1, s[8:9] offset:512 glc
.LBB2_543:                              ;   in Loop: Header=BB2_495 Depth=2
	s_or_b32 exec_lo, exec_lo, s52
	s_waitcnt vmcnt(0)
	v_readfirstlane_b32 s52, v1
	s_mov_b32 s53, 0
                                        ; implicit-def: $vgpr5
	s_delay_alu instid0(VALU_DEP_1) | instskip(SKIP_1) | instid1(VALU_DEP_1)
	v_add_nc_u32_e32 v6, s52, v0
	s_mov_b32 s52, exec_lo
                                        ; implicit-def: $vgpr0_vgpr1
	v_cmpx_lt_i32_e64 v6, v33
	s_cbranch_execz .LBB2_557
; %bb.544:                              ;   in Loop: Header=BB2_495 Depth=2
	v_xad_u32 v0, v6, -1, s39
	s_delay_alu instid0(VALU_DEP_1) | instskip(NEXT) | instid1(VALU_DEP_1)
	v_ashrrev_i32_e32 v1, 31, v0
	v_lshlrev_b64 v[5:6], 2, v[0:1]
	s_delay_alu instid0(VALU_DEP_1) | instskip(NEXT) | instid1(VALU_DEP_2)
	v_add_co_u32 v5, vcc_lo, s28, v5
	v_add_co_ci_u32_e32 v6, vcc_lo, s29, v6, vcc_lo
	s_and_not1_b32 vcc_lo, exec_lo, s11
	global_store_b32 v[5:6], v2, off
	s_cbranch_vccnz .LBB2_554
; %bb.545:                              ;   in Loop: Header=BB2_495 Depth=2
	v_ashrrev_i32_e32 v5, 31, v4
	s_delay_alu instid0(VALU_DEP_1) | instskip(NEXT) | instid1(VALU_DEP_1)
	v_lshlrev_b64 v[5:6], 2, v[4:5]
	v_add_co_u32 v5, vcc_lo, s33, v5
	s_delay_alu instid0(VALU_DEP_2)
	v_add_co_ci_u32_e32 v6, vcc_lo, s34, v6, vcc_lo
	global_load_b32 v5, v[5:6], off
	s_and_not1_b32 vcc_lo, exec_lo, s53
	s_cbranch_vccz .LBB2_555
	s_branch .LBB2_556
.LBB2_546:                              ;   in Loop: Header=BB2_495 Depth=2
	s_and_not1_saveexec_b32 s50, s50
	s_cbranch_execz .LBB2_559
.LBB2_547:                              ;   in Loop: Header=BB2_495 Depth=2
	s_mov_b32 s53, exec_lo
	s_mov_b32 s52, exec_lo
	v_mbcnt_lo_u32_b32 v0, s53, 0
                                        ; implicit-def: $vgpr1
	s_delay_alu instid0(VALU_DEP_1)
	v_cmpx_eq_u32_e32 0, v0
	s_cbranch_execz .LBB2_549
; %bb.548:                              ;   in Loop: Header=BB2_495 Depth=2
	s_bcnt1_i32_b32 s53, s53
	s_delay_alu instid0(SALU_CYCLE_1)
	v_mov_b32_e32 v1, s53
	global_atomic_add_u32 v1, v27, v1, s[8:9] offset:384 glc
.LBB2_549:                              ;   in Loop: Header=BB2_495 Depth=2
	s_or_b32 exec_lo, exec_lo, s52
	s_waitcnt vmcnt(0)
	v_readfirstlane_b32 s52, v1
	s_delay_alu instid0(VALU_DEP_1) | instskip(NEXT) | instid1(VALU_DEP_1)
	v_add_nc_u32_e32 v0, s52, v0
	v_ashrrev_i32_e32 v1, 31, v0
	s_delay_alu instid0(VALU_DEP_1) | instskip(NEXT) | instid1(VALU_DEP_1)
	v_lshlrev_b64 v[5:6], 2, v[0:1]
	v_add_co_u32 v5, vcc_lo, s28, v5
	s_delay_alu instid0(VALU_DEP_2)
	v_add_co_ci_u32_e32 v6, vcc_lo, s29, v6, vcc_lo
	s_and_not1_b32 vcc_lo, exec_lo, s11
	global_store_b32 v[5:6], v2, off
	s_cbranch_vccnz .LBB2_551
; %bb.550:                              ;   in Loop: Header=BB2_495 Depth=2
	v_ashrrev_i32_e32 v5, 31, v4
	s_delay_alu instid0(VALU_DEP_1) | instskip(NEXT) | instid1(VALU_DEP_1)
	v_lshlrev_b64 v[5:6], 2, v[4:5]
	v_add_co_u32 v5, vcc_lo, s33, v5
	s_delay_alu instid0(VALU_DEP_2)
	v_add_co_ci_u32_e32 v6, vcc_lo, s34, v6, vcc_lo
	global_load_b32 v5, v[5:6], off
	s_cbranch_execz .LBB2_552
	s_branch .LBB2_553
.LBB2_551:                              ;   in Loop: Header=BB2_495 Depth=2
                                        ; implicit-def: $vgpr5
.LBB2_552:                              ;   in Loop: Header=BB2_495 Depth=2
	s_waitcnt vmcnt(0)
	v_add3_u32 v5, s12, v4, 2
.LBB2_553:                              ;   in Loop: Header=BB2_495 Depth=2
	s_or_b32 s51, s51, exec_lo
	s_or_b32 exec_lo, exec_lo, s50
	s_and_saveexec_b32 s50, s51
	s_cbranch_execnz .LBB2_560
	s_branch .LBB2_561
.LBB2_554:                              ;   in Loop: Header=BB2_495 Depth=2
                                        ; implicit-def: $vgpr5
.LBB2_555:                              ;   in Loop: Header=BB2_495 Depth=2
	s_waitcnt vmcnt(0)
	v_add3_u32 v5, v8, s12, 2
.LBB2_556:                              ;   in Loop: Header=BB2_495 Depth=2
	s_mov_b32 s53, exec_lo
.LBB2_557:                              ;   in Loop: Header=BB2_495 Depth=2
	s_or_b32 exec_lo, exec_lo, s52
	s_delay_alu instid0(SALU_CYCLE_1)
	s_and_b32 s52, s53, exec_lo
.LBB2_558:                              ;   in Loop: Header=BB2_495 Depth=2
	s_or_b32 exec_lo, exec_lo, s51
	s_delay_alu instid0(SALU_CYCLE_1)
	s_and_b32 s51, s52, exec_lo
	s_and_not1_saveexec_b32 s50, s50
	s_cbranch_execnz .LBB2_547
.LBB2_559:                              ;   in Loop: Header=BB2_495 Depth=2
	s_or_b32 exec_lo, exec_lo, s50
	s_and_saveexec_b32 s50, s51
	s_cbranch_execz .LBB2_561
.LBB2_560:                              ;   in Loop: Header=BB2_495 Depth=2
	v_lshlrev_b64 v[0:1], 2, v[0:1]
	s_delay_alu instid0(VALU_DEP_1) | instskip(NEXT) | instid1(VALU_DEP_2)
	v_add_co_u32 v0, vcc_lo, s13, v0
	v_add_co_ci_u32_e32 v1, vcc_lo, s15, v1, vcc_lo
	s_waitcnt vmcnt(0)
	global_store_b32 v[0:1], v5, off
.LBB2_561:                              ;   in Loop: Header=BB2_495 Depth=2
	s_or_b32 exec_lo, exec_lo, s50
	v_cmp_gt_i32_e32 vcc_lo, 0, v3
	s_mov_b32 s51, 0
	s_mov_b32 s50, exec_lo
                                        ; implicit-def: $vgpr5
                                        ; implicit-def: $vgpr6_vgpr7
	v_cndmask_b32_e64 v0, 0x7fffffff, 0, vcc_lo
	s_delay_alu instid0(VALU_DEP_1) | instskip(NEXT) | instid1(VALU_DEP_1)
	v_xor_b32_e32 v0, v0, v3
	v_cmpx_ge_u32_e64 v0, v32
	s_xor_b32 s50, exec_lo, s50
	s_cbranch_execz .LBB2_568
; %bb.562:                              ;   in Loop: Header=BB2_495 Depth=2
	s_mov_b32 s52, 0
	s_mov_b32 s51, exec_lo
                                        ; implicit-def: $vgpr5
                                        ; implicit-def: $vgpr6_vgpr7
	v_cmpx_eq_u32_e64 v0, v32
	s_cbranch_execz .LBB2_580
; %bb.563:                              ;   in Loop: Header=BB2_495 Depth=2
	s_mov_b32 s53, exec_lo
	s_mov_b32 s52, exec_lo
	v_mbcnt_lo_u32_b32 v0, s53, 0
                                        ; implicit-def: $vgpr1
	s_delay_alu instid0(VALU_DEP_1)
	v_cmpx_eq_u32_e32 0, v0
	s_cbranch_execz .LBB2_565
; %bb.564:                              ;   in Loop: Header=BB2_495 Depth=2
	s_bcnt1_i32_b32 s53, s53
	s_delay_alu instid0(SALU_CYCLE_1)
	v_mov_b32_e32 v1, s53
	global_atomic_add_u32 v1, v27, v1, s[8:9] offset:512 glc
.LBB2_565:                              ;   in Loop: Header=BB2_495 Depth=2
	s_or_b32 exec_lo, exec_lo, s52
	s_waitcnt vmcnt(0)
	v_readfirstlane_b32 s52, v1
	s_mov_b32 s53, 0
                                        ; implicit-def: $vgpr5
                                        ; implicit-def: $vgpr6_vgpr7
	s_delay_alu instid0(VALU_DEP_1) | instskip(SKIP_1) | instid1(VALU_DEP_1)
	v_add_nc_u32_e32 v0, s52, v0
	s_mov_b32 s52, exec_lo
	v_cmpx_lt_i32_e64 v0, v33
	s_cbranch_execz .LBB2_579
; %bb.566:                              ;   in Loop: Header=BB2_495 Depth=2
	v_xad_u32 v6, v0, -1, s39
	s_delay_alu instid0(VALU_DEP_1) | instskip(NEXT) | instid1(VALU_DEP_1)
	v_ashrrev_i32_e32 v7, 31, v6
	v_lshlrev_b64 v[0:1], 2, v[6:7]
	s_delay_alu instid0(VALU_DEP_1) | instskip(NEXT) | instid1(VALU_DEP_2)
	v_add_co_u32 v0, vcc_lo, s28, v0
	v_add_co_ci_u32_e32 v1, vcc_lo, s29, v1, vcc_lo
	s_and_not1_b32 vcc_lo, exec_lo, s11
	global_store_b32 v[0:1], v3, off
	s_cbranch_vccnz .LBB2_576
; %bb.567:                              ;   in Loop: Header=BB2_495 Depth=2
	v_ashrrev_i32_e32 v5, 31, v4
	s_delay_alu instid0(VALU_DEP_1) | instskip(NEXT) | instid1(VALU_DEP_1)
	v_lshlrev_b64 v[0:1], 2, v[4:5]
	v_add_co_u32 v0, vcc_lo, s35, v0
	s_delay_alu instid0(VALU_DEP_2)
	v_add_co_ci_u32_e32 v1, vcc_lo, s36, v1, vcc_lo
	global_load_b32 v5, v[0:1], off
	s_and_not1_b32 vcc_lo, exec_lo, s53
	s_cbranch_vccz .LBB2_577
	s_branch .LBB2_578
.LBB2_568:                              ;   in Loop: Header=BB2_495 Depth=2
	s_and_not1_saveexec_b32 s50, s50
	s_cbranch_execz .LBB2_581
.LBB2_569:                              ;   in Loop: Header=BB2_495 Depth=2
	s_mov_b32 s53, exec_lo
	s_mov_b32 s52, exec_lo
	v_mbcnt_lo_u32_b32 v0, s53, 0
                                        ; implicit-def: $vgpr1
	s_delay_alu instid0(VALU_DEP_1)
	v_cmpx_eq_u32_e32 0, v0
	s_cbranch_execz .LBB2_571
; %bb.570:                              ;   in Loop: Header=BB2_495 Depth=2
	s_bcnt1_i32_b32 s53, s53
	s_delay_alu instid0(SALU_CYCLE_1)
	v_mov_b32_e32 v1, s53
	global_atomic_add_u32 v1, v27, v1, s[8:9] offset:384 glc
.LBB2_571:                              ;   in Loop: Header=BB2_495 Depth=2
	s_or_b32 exec_lo, exec_lo, s52
	s_waitcnt vmcnt(0)
	v_readfirstlane_b32 s52, v1
	s_delay_alu instid0(VALU_DEP_1) | instskip(NEXT) | instid1(VALU_DEP_1)
	v_add_nc_u32_e32 v6, s52, v0
	v_ashrrev_i32_e32 v7, 31, v6
	s_delay_alu instid0(VALU_DEP_1) | instskip(NEXT) | instid1(VALU_DEP_1)
	v_lshlrev_b64 v[0:1], 2, v[6:7]
	v_add_co_u32 v0, vcc_lo, s28, v0
	s_delay_alu instid0(VALU_DEP_2)
	v_add_co_ci_u32_e32 v1, vcc_lo, s29, v1, vcc_lo
	s_and_not1_b32 vcc_lo, exec_lo, s11
	global_store_b32 v[0:1], v3, off
	s_cbranch_vccnz .LBB2_573
; %bb.572:                              ;   in Loop: Header=BB2_495 Depth=2
	v_ashrrev_i32_e32 v5, 31, v4
	s_delay_alu instid0(VALU_DEP_1) | instskip(NEXT) | instid1(VALU_DEP_1)
	v_lshlrev_b64 v[0:1], 2, v[4:5]
	v_add_co_u32 v0, vcc_lo, s35, v0
	s_delay_alu instid0(VALU_DEP_2)
	v_add_co_ci_u32_e32 v1, vcc_lo, s36, v1, vcc_lo
	global_load_b32 v5, v[0:1], off
	s_cbranch_execz .LBB2_574
	s_branch .LBB2_575
.LBB2_573:                              ;   in Loop: Header=BB2_495 Depth=2
                                        ; implicit-def: $vgpr5
.LBB2_574:                              ;   in Loop: Header=BB2_495 Depth=2
	s_waitcnt vmcnt(0)
	v_add3_u32 v5, s12, v4, 3
.LBB2_575:                              ;   in Loop: Header=BB2_495 Depth=2
	s_or_b32 s51, s51, exec_lo
	s_or_b32 exec_lo, exec_lo, s50
	s_and_saveexec_b32 s50, s51
	s_cbranch_execz .LBB2_494
	s_branch .LBB2_582
.LBB2_576:                              ;   in Loop: Header=BB2_495 Depth=2
                                        ; implicit-def: $vgpr5
.LBB2_577:                              ;   in Loop: Header=BB2_495 Depth=2
	s_waitcnt vmcnt(0)
	v_add3_u32 v5, v8, s12, 3
.LBB2_578:                              ;   in Loop: Header=BB2_495 Depth=2
	s_mov_b32 s53, exec_lo
.LBB2_579:                              ;   in Loop: Header=BB2_495 Depth=2
	s_or_b32 exec_lo, exec_lo, s52
	s_delay_alu instid0(SALU_CYCLE_1)
	s_and_b32 s52, s53, exec_lo
.LBB2_580:                              ;   in Loop: Header=BB2_495 Depth=2
	s_or_b32 exec_lo, exec_lo, s51
	s_delay_alu instid0(SALU_CYCLE_1)
	s_and_b32 s51, s52, exec_lo
                                        ; implicit-def: $vgpr0_vgpr1_vgpr2_vgpr3
	s_and_not1_saveexec_b32 s50, s50
	s_cbranch_execnz .LBB2_569
.LBB2_581:                              ;   in Loop: Header=BB2_495 Depth=2
	s_or_b32 exec_lo, exec_lo, s50
	s_and_saveexec_b32 s50, s51
	s_cbranch_execz .LBB2_494
.LBB2_582:                              ;   in Loop: Header=BB2_495 Depth=2
	v_lshlrev_b64 v[0:1], 2, v[6:7]
	s_delay_alu instid0(VALU_DEP_1) | instskip(NEXT) | instid1(VALU_DEP_2)
	v_add_co_u32 v0, vcc_lo, s13, v0
	v_add_co_ci_u32_e32 v1, vcc_lo, s15, v1, vcc_lo
	s_waitcnt vmcnt(0)
	global_store_b32 v[0:1], v5, off
	s_branch .LBB2_494
.LBB2_583:                              ;   in Loop: Header=BB2_22 Depth=1
	s_or_b32 exec_lo, exec_lo, s6
	s_and_saveexec_b32 s6, s1
	s_cbranch_execz .LBB2_600
; %bb.584:                              ;   in Loop: Header=BB2_22 Depth=1
	global_load_b32 v2, v[18:19], off
	s_mov_b32 s51, 0
	s_mov_b32 s50, 0
	s_mov_b32 s49, exec_lo
                                        ; implicit-def: $vgpr3
	s_waitcnt vmcnt(0)
	v_cmp_gt_i32_e32 vcc_lo, 0, v2
	v_cndmask_b32_e64 v0, 0x7fffffff, 0, vcc_lo
	s_delay_alu instid0(VALU_DEP_1) | instskip(SKIP_1) | instid1(VALU_DEP_1)
	v_xor_b32_e32 v4, v0, v2
                                        ; implicit-def: $vgpr0_vgpr1
	s_waitcnt lgkmcnt(0)
	v_cmpx_ge_u32_e64 v4, v32
	s_xor_b32 s49, exec_lo, s49
	s_cbranch_execz .LBB2_594
; %bb.585:                              ;   in Loop: Header=BB2_22 Depth=1
	s_mov_b32 s52, 0
	s_mov_b32 s50, exec_lo
                                        ; implicit-def: $vgpr0_vgpr1
	v_cmpx_eq_u32_e64 v4, v32
	s_cbranch_execz .LBB2_591
; %bb.586:                              ;   in Loop: Header=BB2_22 Depth=1
	s_mov_b32 s52, exec_lo
	s_mov_b32 s51, exec_lo
	v_mbcnt_lo_u32_b32 v0, s52, 0
                                        ; implicit-def: $vgpr1
	s_delay_alu instid0(VALU_DEP_1)
	v_cmpx_eq_u32_e32 0, v0
	s_cbranch_execz .LBB2_588
; %bb.587:                              ;   in Loop: Header=BB2_22 Depth=1
	s_bcnt1_i32_b32 s52, s52
	s_delay_alu instid0(SALU_CYCLE_1)
	v_mov_b32_e32 v1, s52
	global_atomic_add_u32 v1, v27, v1, s[8:9] offset:512 glc
.LBB2_588:                              ;   in Loop: Header=BB2_22 Depth=1
	s_or_b32 exec_lo, exec_lo, s51
	s_waitcnt vmcnt(0)
	v_readfirstlane_b32 s51, v1
	s_mov_b32 s53, 0
	s_mov_b32 s52, 0
	s_delay_alu instid0(VALU_DEP_1) | instskip(SKIP_1) | instid1(VALU_DEP_1)
	v_add_nc_u32_e32 v3, s51, v0
	s_mov_b32 s51, exec_lo
                                        ; implicit-def: $vgpr0_vgpr1
	v_cmpx_lt_i32_e64 v3, v33
	s_xor_b32 s51, exec_lo, s51
	s_cbranch_execz .LBB2_590
; %bb.589:                              ;   in Loop: Header=BB2_22 Depth=1
	v_xad_u32 v0, v3, -1, s39
	s_and_b32 s52, s47, exec_lo
	s_and_b32 s53, s11, exec_lo
	s_delay_alu instid0(VALU_DEP_1) | instskip(NEXT) | instid1(VALU_DEP_1)
	v_ashrrev_i32_e32 v1, 31, v0
	v_lshlrev_b64 v[3:4], 2, v[0:1]
	s_delay_alu instid0(VALU_DEP_1) | instskip(NEXT) | instid1(VALU_DEP_2)
	v_add_co_u32 v3, vcc_lo, s28, v3
	v_add_co_ci_u32_e32 v4, vcc_lo, s29, v4, vcc_lo
	global_store_b32 v[3:4], v2, off
.LBB2_590:                              ;   in Loop: Header=BB2_22 Depth=1
	s_or_b32 exec_lo, exec_lo, s51
	s_delay_alu instid0(SALU_CYCLE_1)
	s_and_b32 s52, s52, exec_lo
	s_and_b32 s51, s53, exec_lo
.LBB2_591:                              ;   in Loop: Header=BB2_22 Depth=1
	s_or_b32 exec_lo, exec_lo, s50
	v_mov_b32_e32 v3, v42
	s_and_b32 s50, s52, exec_lo
	s_and_b32 s51, s51, exec_lo
                                        ; implicit-def: $vgpr2
	s_and_not1_saveexec_b32 s49, s49
	s_cbranch_execnz .LBB2_595
.LBB2_592:                              ;   in Loop: Header=BB2_22 Depth=1
	s_or_b32 exec_lo, exec_lo, s49
	s_and_saveexec_b32 s49, s51
	s_cbranch_execz .LBB2_598
.LBB2_593:                              ;   in Loop: Header=BB2_22 Depth=1
	global_load_b32 v3, v[16:17], off
	s_or_b32 s50, s50, exec_lo
	s_or_b32 exec_lo, exec_lo, s49
	s_delay_alu instid0(SALU_CYCLE_1)
	s_and_b32 exec_lo, exec_lo, s50
	s_cbranch_execnz .LBB2_599
	s_branch .LBB2_600
.LBB2_594:                              ;   in Loop: Header=BB2_22 Depth=1
	s_and_not1_saveexec_b32 s49, s49
	s_cbranch_execz .LBB2_592
.LBB2_595:                              ;   in Loop: Header=BB2_22 Depth=1
	s_mov_b32 s53, exec_lo
	s_mov_b32 s52, exec_lo
	v_mbcnt_lo_u32_b32 v0, s53, 0
                                        ; implicit-def: $vgpr1
	s_delay_alu instid0(VALU_DEP_1)
	v_cmpx_eq_u32_e32 0, v0
	s_cbranch_execz .LBB2_597
; %bb.596:                              ;   in Loop: Header=BB2_22 Depth=1
	s_bcnt1_i32_b32 s53, s53
	s_delay_alu instid0(SALU_CYCLE_1)
	v_mov_b32_e32 v1, s53
	global_atomic_add_u32 v1, v27, v1, s[8:9] offset:384 glc
.LBB2_597:                              ;   in Loop: Header=BB2_22 Depth=1
	s_or_b32 exec_lo, exec_lo, s52
	s_waitcnt vmcnt(0)
	v_readfirstlane_b32 s52, v1
	s_and_not1_b32 s50, s50, exec_lo
	s_and_not1_b32 s51, s51, exec_lo
	s_and_b32 s53, s11, exec_lo
	s_delay_alu instid0(SALU_CYCLE_1) | instskip(SKIP_2) | instid1(SALU_CYCLE_1)
	s_or_b32 s51, s51, s53
	v_add_nc_u32_e32 v0, s52, v0
	s_and_b32 s52, s47, exec_lo
	s_or_b32 s50, s50, s52
	s_delay_alu instid0(VALU_DEP_1) | instskip(NEXT) | instid1(VALU_DEP_1)
	v_ashrrev_i32_e32 v1, 31, v0
	v_lshlrev_b64 v[3:4], 2, v[0:1]
	s_delay_alu instid0(VALU_DEP_1) | instskip(SKIP_1) | instid1(VALU_DEP_3)
	v_add_co_u32 v5, vcc_lo, s28, v3
	v_mov_b32_e32 v3, v42
	v_add_co_ci_u32_e32 v6, vcc_lo, s29, v4, vcc_lo
	global_store_b32 v[5:6], v2, off
	s_or_b32 exec_lo, exec_lo, s49
	s_and_saveexec_b32 s49, s51
	s_cbranch_execnz .LBB2_593
.LBB2_598:                              ;   in Loop: Header=BB2_22 Depth=1
	s_or_b32 exec_lo, exec_lo, s49
	s_delay_alu instid0(SALU_CYCLE_1)
	s_and_b32 exec_lo, exec_lo, s50
	s_cbranch_execz .LBB2_600
.LBB2_599:                              ;   in Loop: Header=BB2_22 Depth=1
	v_lshlrev_b64 v[0:1], 2, v[0:1]
	s_delay_alu instid0(VALU_DEP_1) | instskip(NEXT) | instid1(VALU_DEP_2)
	v_add_co_u32 v0, vcc_lo, s13, v0
	v_add_co_ci_u32_e32 v1, vcc_lo, s15, v1, vcc_lo
	s_waitcnt vmcnt(0)
	global_store_b32 v[0:1], v3, off
.LBB2_600:                              ;   in Loop: Header=BB2_22 Depth=1
	s_or_b32 exec_lo, exec_lo, s6
	s_and_saveexec_b32 s6, s0
	s_cbranch_execz .LBB2_617
; %bb.601:                              ;   in Loop: Header=BB2_22 Depth=1
	global_load_b32 v2, v[14:15], off
	s_mov_b32 s51, 0
	s_mov_b32 s50, 0
	s_mov_b32 s49, exec_lo
                                        ; implicit-def: $vgpr3
	s_waitcnt vmcnt(0)
	v_cmp_gt_i32_e32 vcc_lo, 0, v2
	v_cndmask_b32_e64 v0, 0x7fffffff, 0, vcc_lo
	s_delay_alu instid0(VALU_DEP_1) | instskip(SKIP_1) | instid1(VALU_DEP_1)
	v_xor_b32_e32 v4, v0, v2
                                        ; implicit-def: $vgpr0_vgpr1
	s_waitcnt lgkmcnt(0)
	v_cmpx_ge_u32_e64 v4, v32
	s_xor_b32 s49, exec_lo, s49
	s_cbranch_execz .LBB2_611
; %bb.602:                              ;   in Loop: Header=BB2_22 Depth=1
	s_mov_b32 s52, 0
	s_mov_b32 s50, exec_lo
                                        ; implicit-def: $vgpr0_vgpr1
	v_cmpx_eq_u32_e64 v4, v32
	s_cbranch_execz .LBB2_608
; %bb.603:                              ;   in Loop: Header=BB2_22 Depth=1
	s_mov_b32 s52, exec_lo
	s_mov_b32 s51, exec_lo
	v_mbcnt_lo_u32_b32 v0, s52, 0
                                        ; implicit-def: $vgpr1
	s_delay_alu instid0(VALU_DEP_1)
	v_cmpx_eq_u32_e32 0, v0
	s_cbranch_execz .LBB2_605
; %bb.604:                              ;   in Loop: Header=BB2_22 Depth=1
	s_bcnt1_i32_b32 s52, s52
	s_delay_alu instid0(SALU_CYCLE_1)
	v_mov_b32_e32 v1, s52
	global_atomic_add_u32 v1, v27, v1, s[8:9] offset:512 glc
.LBB2_605:                              ;   in Loop: Header=BB2_22 Depth=1
	s_or_b32 exec_lo, exec_lo, s51
	s_waitcnt vmcnt(0)
	v_readfirstlane_b32 s51, v1
	s_mov_b32 s53, 0
	s_mov_b32 s52, 0
	s_delay_alu instid0(VALU_DEP_1) | instskip(SKIP_1) | instid1(VALU_DEP_1)
	v_add_nc_u32_e32 v3, s51, v0
	s_mov_b32 s51, exec_lo
                                        ; implicit-def: $vgpr0_vgpr1
	v_cmpx_lt_i32_e64 v3, v33
	s_xor_b32 s51, exec_lo, s51
	s_cbranch_execz .LBB2_607
; %bb.606:                              ;   in Loop: Header=BB2_22 Depth=1
	v_xad_u32 v0, v3, -1, s39
	s_and_b32 s52, s47, exec_lo
	s_and_b32 s53, s11, exec_lo
	s_delay_alu instid0(VALU_DEP_1) | instskip(NEXT) | instid1(VALU_DEP_1)
	v_ashrrev_i32_e32 v1, 31, v0
	v_lshlrev_b64 v[3:4], 2, v[0:1]
	s_delay_alu instid0(VALU_DEP_1) | instskip(NEXT) | instid1(VALU_DEP_2)
	v_add_co_u32 v3, vcc_lo, s28, v3
	v_add_co_ci_u32_e32 v4, vcc_lo, s29, v4, vcc_lo
	global_store_b32 v[3:4], v2, off
.LBB2_607:                              ;   in Loop: Header=BB2_22 Depth=1
	s_or_b32 exec_lo, exec_lo, s51
	s_delay_alu instid0(SALU_CYCLE_1)
	s_and_b32 s52, s52, exec_lo
	s_and_b32 s51, s53, exec_lo
.LBB2_608:                              ;   in Loop: Header=BB2_22 Depth=1
	s_or_b32 exec_lo, exec_lo, s50
	v_mov_b32_e32 v3, v41
	s_and_b32 s50, s52, exec_lo
	s_and_b32 s51, s51, exec_lo
                                        ; implicit-def: $vgpr2
	s_and_not1_saveexec_b32 s49, s49
	s_cbranch_execnz .LBB2_612
.LBB2_609:                              ;   in Loop: Header=BB2_22 Depth=1
	s_or_b32 exec_lo, exec_lo, s49
	s_and_saveexec_b32 s49, s51
	s_cbranch_execz .LBB2_615
.LBB2_610:                              ;   in Loop: Header=BB2_22 Depth=1
	global_load_b32 v3, v[12:13], off
	s_or_b32 s50, s50, exec_lo
	s_or_b32 exec_lo, exec_lo, s49
	s_delay_alu instid0(SALU_CYCLE_1)
	s_and_b32 exec_lo, exec_lo, s50
	s_cbranch_execnz .LBB2_616
	s_branch .LBB2_617
.LBB2_611:                              ;   in Loop: Header=BB2_22 Depth=1
	s_and_not1_saveexec_b32 s49, s49
	s_cbranch_execz .LBB2_609
.LBB2_612:                              ;   in Loop: Header=BB2_22 Depth=1
	s_mov_b32 s53, exec_lo
	s_mov_b32 s52, exec_lo
	v_mbcnt_lo_u32_b32 v0, s53, 0
                                        ; implicit-def: $vgpr1
	s_delay_alu instid0(VALU_DEP_1)
	v_cmpx_eq_u32_e32 0, v0
	s_cbranch_execz .LBB2_614
; %bb.613:                              ;   in Loop: Header=BB2_22 Depth=1
	s_bcnt1_i32_b32 s53, s53
	s_delay_alu instid0(SALU_CYCLE_1)
	v_mov_b32_e32 v1, s53
	global_atomic_add_u32 v1, v27, v1, s[8:9] offset:384 glc
.LBB2_614:                              ;   in Loop: Header=BB2_22 Depth=1
	s_or_b32 exec_lo, exec_lo, s52
	s_waitcnt vmcnt(0)
	v_readfirstlane_b32 s52, v1
	s_and_not1_b32 s50, s50, exec_lo
	s_and_not1_b32 s51, s51, exec_lo
	s_and_b32 s53, s11, exec_lo
	s_delay_alu instid0(SALU_CYCLE_1) | instskip(SKIP_2) | instid1(SALU_CYCLE_1)
	s_or_b32 s51, s51, s53
	v_add_nc_u32_e32 v0, s52, v0
	s_and_b32 s52, s47, exec_lo
	s_or_b32 s50, s50, s52
	s_delay_alu instid0(VALU_DEP_1) | instskip(NEXT) | instid1(VALU_DEP_1)
	v_ashrrev_i32_e32 v1, 31, v0
	v_lshlrev_b64 v[3:4], 2, v[0:1]
	s_delay_alu instid0(VALU_DEP_1) | instskip(SKIP_1) | instid1(VALU_DEP_3)
	v_add_co_u32 v5, vcc_lo, s28, v3
	v_mov_b32_e32 v3, v41
	v_add_co_ci_u32_e32 v6, vcc_lo, s29, v4, vcc_lo
	global_store_b32 v[5:6], v2, off
	s_or_b32 exec_lo, exec_lo, s49
	s_and_saveexec_b32 s49, s51
	s_cbranch_execnz .LBB2_610
.LBB2_615:                              ;   in Loop: Header=BB2_22 Depth=1
	s_or_b32 exec_lo, exec_lo, s49
	s_delay_alu instid0(SALU_CYCLE_1)
	s_and_b32 exec_lo, exec_lo, s50
	s_cbranch_execz .LBB2_617
.LBB2_616:                              ;   in Loop: Header=BB2_22 Depth=1
	v_lshlrev_b64 v[0:1], 2, v[0:1]
	s_delay_alu instid0(VALU_DEP_1) | instskip(NEXT) | instid1(VALU_DEP_2)
	v_add_co_u32 v0, vcc_lo, s13, v0
	v_add_co_ci_u32_e32 v1, vcc_lo, s15, v1, vcc_lo
	s_waitcnt vmcnt(0)
	global_store_b32 v[0:1], v3, off
.LBB2_617:                              ;   in Loop: Header=BB2_22 Depth=1
	s_or_b32 exec_lo, exec_lo, s6
.LBB2_618:                              ;   in Loop: Header=BB2_22 Depth=1
	s_add_i32 s27, s27, 1
	v_add_co_u32 v30, vcc_lo, 0x1000, v30
	s_cmp_eq_u32 s27, 4
	v_add_co_ci_u32_e32 v31, vcc_lo, 0, v31, vcc_lo
	s_mov_b32 s6, -1
	s_cselect_b32 s49, -1, 0
	s_branch .LBB2_21
.LBB2_619:
	s_and_not1_b32 vcc_lo, exec_lo, s6
	s_cbranch_vccz .LBB2_801
; %bb.620:
	v_mov_b32_e32 v28, 0
	s_add_i32 s2, s7, 32
	ds_load_b32 v27, v28 offset:8576
	s_and_saveexec_b32 s4, s3
	s_cbranch_execz .LBB2_752
; %bb.621:
	s_lshl_b32 s5, -1, s2
	s_mov_b32 s3, 0
	s_branch .LBB2_625
.LBB2_622:                              ;   in Loop: Header=BB2_625 Depth=1
	s_waitcnt vmcnt(0)
	v_add3_u32 v2, v4, s12, 3
.LBB2_623:                              ;   in Loop: Header=BB2_625 Depth=1
	v_add_co_u32 v0, vcc_lo, s13, v0
	v_add_co_ci_u32_e32 v1, vcc_lo, s15, v1, vcc_lo
	s_waitcnt vmcnt(0)
	global_store_b32 v[0:1], v2, off
.LBB2_624:                              ;   in Loop: Header=BB2_625 Depth=1
	s_or_b32 exec_lo, exec_lo, s6
	v_add_nc_u32_e32 v20, s31, v20
	s_delay_alu instid0(VALU_DEP_1) | instskip(SKIP_1) | instid1(VALU_DEP_2)
	v_ashrrev_i32_e32 v21, 31, v20
	v_add_co_u32 v22, vcc_lo, s37, v20
	v_add_co_ci_u32_e32 v23, vcc_lo, s38, v21, vcc_lo
	s_delay_alu instid0(VALU_DEP_1) | instskip(SKIP_1) | instid1(SALU_CYCLE_1)
	v_cmp_le_u64_e32 vcc_lo, s[18:19], v[22:23]
	s_or_b32 s3, vcc_lo, s3
	s_and_not1_b32 exec_lo, exec_lo, s3
	s_cbranch_execz .LBB2_751
.LBB2_625:                              ; =>This Inner Loop Header: Depth=1
	v_lshlrev_b64 v[0:1], 4, v[20:21]
	s_mov_b32 s6, exec_lo
	s_delay_alu instid0(VALU_DEP_1) | instskip(SKIP_1) | instid1(VALU_DEP_2)
	v_add_co_u32 v4, vcc_lo, s26, v0
	s_waitcnt vmcnt(0)
	v_add_co_ci_u32_e32 v5, vcc_lo, s30, v1, vcc_lo
	s_delay_alu instid0(VALU_DEP_2)
	v_add_co_u32 v8, vcc_lo, v4, s22
	global_load_b128 v[0:3], v[4:5], off
	v_add_co_ci_u32_e32 v9, vcc_lo, s23, v5, vcc_lo
	global_load_b128 v[4:7], v[8:9], off
	s_waitcnt vmcnt(1)
	v_cmp_gt_i32_e32 vcc_lo, 0, v0
	v_cndmask_b32_e64 v10, 0x7fffffff, 0, vcc_lo
	s_delay_alu instid0(VALU_DEP_1) | instskip(NEXT) | instid1(VALU_DEP_1)
	v_xor_b32_e32 v10, v10, v0
	v_and_b32_e32 v11, s5, v10
	v_lshl_add_u32 v10, v20, 2, s20
	s_waitcnt lgkmcnt(0)
	s_delay_alu instid0(VALU_DEP_2)
	v_cmpx_le_u32_e64 v11, v27
	s_cbranch_execz .LBB2_633
; %bb.626:                              ;   in Loop: Header=BB2_625 Depth=1
	s_mov_b32 s24, exec_lo
	s_mov_b32 s7, exec_lo
	v_mbcnt_lo_u32_b32 v11, s24, 0
                                        ; implicit-def: $vgpr21
	s_delay_alu instid0(VALU_DEP_1)
	v_cmpx_eq_u32_e32 0, v11
	s_cbranch_execz .LBB2_628
; %bb.627:                              ;   in Loop: Header=BB2_625 Depth=1
	s_bcnt1_i32_b32 s24, s24
	s_delay_alu instid0(SALU_CYCLE_1)
	v_mov_b32_e32 v21, s24
	global_atomic_add_u32 v21, v28, v21, s[8:9] offset:384 glc
.LBB2_628:                              ;   in Loop: Header=BB2_625 Depth=1
	s_or_b32 exec_lo, exec_lo, s7
	s_waitcnt vmcnt(0)
	v_readfirstlane_b32 s7, v21
	s_delay_alu instid0(VALU_DEP_1) | instskip(NEXT) | instid1(VALU_DEP_1)
	v_add_nc_u32_e32 v24, s7, v11
	v_ashrrev_i32_e32 v25, 31, v24
	s_delay_alu instid0(VALU_DEP_1) | instskip(NEXT) | instid1(VALU_DEP_1)
	v_lshlrev_b64 v[24:25], 2, v[24:25]
	v_add_co_u32 v29, vcc_lo, s28, v24
	s_delay_alu instid0(VALU_DEP_2)
	v_add_co_ci_u32_e32 v30, vcc_lo, s29, v25, vcc_lo
	s_and_not1_b32 vcc_lo, exec_lo, s11
	global_store_b32 v[29:30], v0, off
	s_cbranch_vccnz .LBB2_630
; %bb.629:                              ;   in Loop: Header=BB2_625 Depth=1
	v_ashrrev_i32_e32 v11, 31, v10
	s_delay_alu instid0(VALU_DEP_1) | instskip(NEXT) | instid1(VALU_DEP_1)
	v_lshlrev_b64 v[29:30], 2, v[10:11]
	v_add_co_u32 v29, vcc_lo, s16, v29
	s_delay_alu instid0(VALU_DEP_2)
	v_add_co_ci_u32_e32 v30, vcc_lo, s17, v30, vcc_lo
	global_load_b32 v0, v[29:30], off
	s_cbranch_execz .LBB2_631
	s_branch .LBB2_632
.LBB2_630:                              ;   in Loop: Header=BB2_625 Depth=1
                                        ; implicit-def: $vgpr0
.LBB2_631:                              ;   in Loop: Header=BB2_625 Depth=1
	s_waitcnt vmcnt(0)
	v_add_nc_u32_e32 v0, s12, v10
.LBB2_632:                              ;   in Loop: Header=BB2_625 Depth=1
	v_add_co_u32 v24, vcc_lo, s13, v24
	v_add_co_ci_u32_e32 v25, vcc_lo, s15, v25, vcc_lo
	s_waitcnt vmcnt(0)
	global_store_b32 v[24:25], v0, off
.LBB2_633:                              ;   in Loop: Header=BB2_625 Depth=1
	s_or_b32 exec_lo, exec_lo, s6
	v_cmp_gt_i32_e32 vcc_lo, 0, v1
	s_mov_b32 s6, exec_lo
	v_cndmask_b32_e64 v0, 0x7fffffff, 0, vcc_lo
	s_delay_alu instid0(VALU_DEP_1) | instskip(NEXT) | instid1(VALU_DEP_1)
	v_xor_b32_e32 v0, v0, v1
	v_and_b32_e32 v0, s5, v0
	s_delay_alu instid0(VALU_DEP_1)
	v_cmpx_le_u32_e64 v0, v27
	s_cbranch_execz .LBB2_641
; %bb.634:                              ;   in Loop: Header=BB2_625 Depth=1
	s_mov_b32 s24, exec_lo
	s_mov_b32 s7, exec_lo
	v_mbcnt_lo_u32_b32 v0, s24, 0
                                        ; implicit-def: $vgpr11
	s_delay_alu instid0(VALU_DEP_1)
	v_cmpx_eq_u32_e32 0, v0
	s_cbranch_execz .LBB2_636
; %bb.635:                              ;   in Loop: Header=BB2_625 Depth=1
	s_bcnt1_i32_b32 s24, s24
	s_delay_alu instid0(SALU_CYCLE_1)
	v_mov_b32_e32 v11, s24
	global_atomic_add_u32 v11, v28, v11, s[8:9] offset:384 glc
.LBB2_636:                              ;   in Loop: Header=BB2_625 Depth=1
	s_or_b32 exec_lo, exec_lo, s7
	s_waitcnt vmcnt(0)
	v_readfirstlane_b32 s7, v11
	s_delay_alu instid0(VALU_DEP_1) | instskip(NEXT) | instid1(VALU_DEP_1)
	v_add_nc_u32_e32 v24, s7, v0
	v_ashrrev_i32_e32 v25, 31, v24
	s_delay_alu instid0(VALU_DEP_1) | instskip(NEXT) | instid1(VALU_DEP_1)
	v_lshlrev_b64 v[24:25], 2, v[24:25]
	v_add_co_u32 v29, vcc_lo, s28, v24
	s_delay_alu instid0(VALU_DEP_2)
	v_add_co_ci_u32_e32 v30, vcc_lo, s29, v25, vcc_lo
	s_and_not1_b32 vcc_lo, exec_lo, s11
	global_store_b32 v[29:30], v1, off
	s_cbranch_vccnz .LBB2_638
; %bb.637:                              ;   in Loop: Header=BB2_625 Depth=1
	v_ashrrev_i32_e32 v11, 31, v10
	s_delay_alu instid0(VALU_DEP_1) | instskip(NEXT) | instid1(VALU_DEP_1)
	v_lshlrev_b64 v[0:1], 2, v[10:11]
	v_add_co_u32 v0, vcc_lo, s14, v0
	s_delay_alu instid0(VALU_DEP_2)
	v_add_co_ci_u32_e32 v1, vcc_lo, s21, v1, vcc_lo
	global_load_b32 v0, v[0:1], off
	s_cbranch_execz .LBB2_639
	s_branch .LBB2_640
.LBB2_638:                              ;   in Loop: Header=BB2_625 Depth=1
                                        ; implicit-def: $vgpr0
.LBB2_639:                              ;   in Loop: Header=BB2_625 Depth=1
	s_waitcnt vmcnt(0)
	v_add3_u32 v0, v10, s12, 1
.LBB2_640:                              ;   in Loop: Header=BB2_625 Depth=1
	v_add_co_u32 v24, vcc_lo, s13, v24
	v_add_co_ci_u32_e32 v25, vcc_lo, s15, v25, vcc_lo
	s_waitcnt vmcnt(0)
	global_store_b32 v[24:25], v0, off
.LBB2_641:                              ;   in Loop: Header=BB2_625 Depth=1
	s_or_b32 exec_lo, exec_lo, s6
	v_cmp_gt_i32_e32 vcc_lo, 0, v2
	s_mov_b32 s6, exec_lo
	v_cndmask_b32_e64 v0, 0x7fffffff, 0, vcc_lo
	s_delay_alu instid0(VALU_DEP_1) | instskip(NEXT) | instid1(VALU_DEP_1)
	v_xor_b32_e32 v0, v0, v2
	v_and_b32_e32 v0, s5, v0
	s_delay_alu instid0(VALU_DEP_1)
	v_cmpx_le_u32_e64 v0, v27
	s_cbranch_execz .LBB2_649
; %bb.642:                              ;   in Loop: Header=BB2_625 Depth=1
	s_mov_b32 s24, exec_lo
	s_mov_b32 s7, exec_lo
	v_mbcnt_lo_u32_b32 v0, s24, 0
                                        ; implicit-def: $vgpr1
	s_delay_alu instid0(VALU_DEP_1)
	v_cmpx_eq_u32_e32 0, v0
	s_cbranch_execz .LBB2_644
; %bb.643:                              ;   in Loop: Header=BB2_625 Depth=1
	s_bcnt1_i32_b32 s24, s24
	s_delay_alu instid0(SALU_CYCLE_1)
	v_mov_b32_e32 v1, s24
	global_atomic_add_u32 v1, v28, v1, s[8:9] offset:384 glc
.LBB2_644:                              ;   in Loop: Header=BB2_625 Depth=1
	s_or_b32 exec_lo, exec_lo, s7
	s_waitcnt vmcnt(0)
	v_readfirstlane_b32 s7, v1
	s_delay_alu instid0(VALU_DEP_1) | instskip(NEXT) | instid1(VALU_DEP_1)
	v_add_nc_u32_e32 v0, s7, v0
	v_ashrrev_i32_e32 v1, 31, v0
	s_delay_alu instid0(VALU_DEP_1) | instskip(NEXT) | instid1(VALU_DEP_1)
	v_lshlrev_b64 v[0:1], 2, v[0:1]
	v_add_co_u32 v24, vcc_lo, s28, v0
	s_delay_alu instid0(VALU_DEP_2)
	v_add_co_ci_u32_e32 v25, vcc_lo, s29, v1, vcc_lo
	s_and_not1_b32 vcc_lo, exec_lo, s11
	global_store_b32 v[24:25], v2, off
	s_cbranch_vccnz .LBB2_646
; %bb.645:                              ;   in Loop: Header=BB2_625 Depth=1
	v_ashrrev_i32_e32 v11, 31, v10
	s_delay_alu instid0(VALU_DEP_1) | instskip(NEXT) | instid1(VALU_DEP_1)
	v_lshlrev_b64 v[24:25], 2, v[10:11]
	v_add_co_u32 v24, vcc_lo, s33, v24
	s_delay_alu instid0(VALU_DEP_2)
	v_add_co_ci_u32_e32 v25, vcc_lo, s34, v25, vcc_lo
	global_load_b32 v2, v[24:25], off
	s_cbranch_execz .LBB2_647
	s_branch .LBB2_648
.LBB2_646:                              ;   in Loop: Header=BB2_625 Depth=1
                                        ; implicit-def: $vgpr2
.LBB2_647:                              ;   in Loop: Header=BB2_625 Depth=1
	s_waitcnt vmcnt(0)
	v_add3_u32 v2, v10, s12, 2
.LBB2_648:                              ;   in Loop: Header=BB2_625 Depth=1
	v_add_co_u32 v0, vcc_lo, s13, v0
	v_add_co_ci_u32_e32 v1, vcc_lo, s15, v1, vcc_lo
	s_waitcnt vmcnt(0)
	global_store_b32 v[0:1], v2, off
.LBB2_649:                              ;   in Loop: Header=BB2_625 Depth=1
	s_or_b32 exec_lo, exec_lo, s6
	v_cmp_gt_i32_e32 vcc_lo, 0, v3
	s_mov_b32 s6, exec_lo
	v_cndmask_b32_e64 v0, 0x7fffffff, 0, vcc_lo
	s_delay_alu instid0(VALU_DEP_1) | instskip(NEXT) | instid1(VALU_DEP_1)
	v_xor_b32_e32 v0, v0, v3
	v_and_b32_e32 v0, s5, v0
	s_delay_alu instid0(VALU_DEP_1)
	v_cmpx_le_u32_e64 v0, v27
	s_cbranch_execz .LBB2_657
; %bb.650:                              ;   in Loop: Header=BB2_625 Depth=1
	s_mov_b32 s24, exec_lo
	s_mov_b32 s7, exec_lo
	v_mbcnt_lo_u32_b32 v0, s24, 0
                                        ; implicit-def: $vgpr1
	s_delay_alu instid0(VALU_DEP_1)
	v_cmpx_eq_u32_e32 0, v0
	s_cbranch_execz .LBB2_652
; %bb.651:                              ;   in Loop: Header=BB2_625 Depth=1
	s_bcnt1_i32_b32 s24, s24
	s_delay_alu instid0(SALU_CYCLE_1)
	v_mov_b32_e32 v1, s24
	global_atomic_add_u32 v1, v28, v1, s[8:9] offset:384 glc
.LBB2_652:                              ;   in Loop: Header=BB2_625 Depth=1
	s_or_b32 exec_lo, exec_lo, s7
	s_waitcnt vmcnt(0)
	v_readfirstlane_b32 s7, v1
	s_delay_alu instid0(VALU_DEP_1) | instskip(NEXT) | instid1(VALU_DEP_1)
	v_add_nc_u32_e32 v0, s7, v0
	v_ashrrev_i32_e32 v1, 31, v0
	s_delay_alu instid0(VALU_DEP_1) | instskip(NEXT) | instid1(VALU_DEP_1)
	v_lshlrev_b64 v[0:1], 2, v[0:1]
	v_add_co_u32 v24, vcc_lo, s28, v0
	s_delay_alu instid0(VALU_DEP_2)
	v_add_co_ci_u32_e32 v25, vcc_lo, s29, v1, vcc_lo
	s_and_not1_b32 vcc_lo, exec_lo, s11
	global_store_b32 v[24:25], v3, off
	s_cbranch_vccnz .LBB2_654
; %bb.653:                              ;   in Loop: Header=BB2_625 Depth=1
	v_ashrrev_i32_e32 v11, 31, v10
	s_delay_alu instid0(VALU_DEP_1) | instskip(NEXT) | instid1(VALU_DEP_1)
	v_lshlrev_b64 v[2:3], 2, v[10:11]
	v_add_co_u32 v2, vcc_lo, s35, v2
	s_delay_alu instid0(VALU_DEP_2)
	v_add_co_ci_u32_e32 v3, vcc_lo, s36, v3, vcc_lo
	global_load_b32 v2, v[2:3], off
	s_cbranch_execz .LBB2_655
	s_branch .LBB2_656
.LBB2_654:                              ;   in Loop: Header=BB2_625 Depth=1
                                        ; implicit-def: $vgpr2
.LBB2_655:                              ;   in Loop: Header=BB2_625 Depth=1
	s_waitcnt vmcnt(0)
	v_add3_u32 v2, v10, s12, 3
.LBB2_656:                              ;   in Loop: Header=BB2_625 Depth=1
	v_add_co_u32 v0, vcc_lo, s13, v0
	v_add_co_ci_u32_e32 v1, vcc_lo, s15, v1, vcc_lo
	s_waitcnt vmcnt(0)
	global_store_b32 v[0:1], v2, off
.LBB2_657:                              ;   in Loop: Header=BB2_625 Depth=1
	s_or_b32 exec_lo, exec_lo, s6
	v_lshlrev_b64 v[0:1], 4, v[22:23]
	v_add_co_u32 v2, vcc_lo, v8, s22
	v_add_co_ci_u32_e32 v3, vcc_lo, s23, v9, vcc_lo
	s_mov_b32 s6, exec_lo
	s_delay_alu instid0(VALU_DEP_3) | instskip(NEXT) | instid1(VALU_DEP_4)
	v_add_co_u32 v0, vcc_lo, s26, v0
	v_add_co_ci_u32_e32 v1, vcc_lo, s30, v1, vcc_lo
	s_waitcnt vmcnt(0)
	v_cmp_gt_i32_e32 vcc_lo, 0, v4
	s_clause 0x1
	global_load_b128 v[8:11], v[2:3], off
	global_load_b128 v[0:3], v[0:1], off
	v_cndmask_b32_e64 v21, 0x7fffffff, 0, vcc_lo
	s_delay_alu instid0(VALU_DEP_1) | instskip(SKIP_1) | instid1(VALU_DEP_2)
	v_xor_b32_e32 v23, v21, v4
	v_add_co_u32 v21, null, v20, s10
	v_and_b32_e32 v24, s5, v23
	s_delay_alu instid0(VALU_DEP_2) | instskip(NEXT) | instid1(VALU_DEP_2)
	v_lshl_add_u32 v23, v21, 2, s20
	v_cmpx_le_u32_e64 v24, v27
	s_cbranch_execz .LBB2_665
; %bb.658:                              ;   in Loop: Header=BB2_625 Depth=1
	s_mov_b32 s24, exec_lo
	s_mov_b32 s7, exec_lo
	v_mbcnt_lo_u32_b32 v24, s24, 0
                                        ; implicit-def: $vgpr25
	s_delay_alu instid0(VALU_DEP_1)
	v_cmpx_eq_u32_e32 0, v24
	s_cbranch_execz .LBB2_660
; %bb.659:                              ;   in Loop: Header=BB2_625 Depth=1
	s_bcnt1_i32_b32 s24, s24
	s_delay_alu instid0(SALU_CYCLE_1)
	v_mov_b32_e32 v25, s24
	global_atomic_add_u32 v25, v28, v25, s[8:9] offset:384 glc
.LBB2_660:                              ;   in Loop: Header=BB2_625 Depth=1
	s_or_b32 exec_lo, exec_lo, s7
	s_waitcnt vmcnt(0)
	v_readfirstlane_b32 s7, v25
	s_delay_alu instid0(VALU_DEP_1) | instskip(NEXT) | instid1(VALU_DEP_1)
	v_add_nc_u32_e32 v24, s7, v24
	v_ashrrev_i32_e32 v25, 31, v24
	s_delay_alu instid0(VALU_DEP_1) | instskip(NEXT) | instid1(VALU_DEP_1)
	v_lshlrev_b64 v[25:26], 2, v[24:25]
	v_add_co_u32 v29, vcc_lo, s28, v25
	s_delay_alu instid0(VALU_DEP_2)
	v_add_co_ci_u32_e32 v30, vcc_lo, s29, v26, vcc_lo
	s_and_not1_b32 vcc_lo, exec_lo, s11
	global_store_b32 v[29:30], v4, off
	s_cbranch_vccnz .LBB2_662
; %bb.661:                              ;   in Loop: Header=BB2_625 Depth=1
	v_ashrrev_i32_e32 v24, 31, v23
	s_delay_alu instid0(VALU_DEP_1) | instskip(NEXT) | instid1(VALU_DEP_1)
	v_lshlrev_b64 v[29:30], 2, v[23:24]
	v_add_co_u32 v29, vcc_lo, s16, v29
	s_delay_alu instid0(VALU_DEP_2)
	v_add_co_ci_u32_e32 v30, vcc_lo, s17, v30, vcc_lo
	global_load_b32 v4, v[29:30], off
	s_cbranch_execz .LBB2_663
	s_branch .LBB2_664
.LBB2_662:                              ;   in Loop: Header=BB2_625 Depth=1
                                        ; implicit-def: $vgpr4
.LBB2_663:                              ;   in Loop: Header=BB2_625 Depth=1
	s_waitcnt vmcnt(0)
	v_add_nc_u32_e32 v4, s12, v23
.LBB2_664:                              ;   in Loop: Header=BB2_625 Depth=1
	v_add_co_u32 v24, vcc_lo, s13, v25
	v_add_co_ci_u32_e32 v25, vcc_lo, s15, v26, vcc_lo
	s_waitcnt vmcnt(0)
	global_store_b32 v[24:25], v4, off
.LBB2_665:                              ;   in Loop: Header=BB2_625 Depth=1
	s_or_b32 exec_lo, exec_lo, s6
	v_cmp_gt_i32_e32 vcc_lo, 0, v5
	s_mov_b32 s6, exec_lo
	v_cndmask_b32_e64 v4, 0x7fffffff, 0, vcc_lo
	s_delay_alu instid0(VALU_DEP_1) | instskip(NEXT) | instid1(VALU_DEP_1)
	v_xor_b32_e32 v4, v4, v5
	v_and_b32_e32 v4, s5, v4
	s_delay_alu instid0(VALU_DEP_1)
	v_cmpx_le_u32_e64 v4, v27
	s_cbranch_execz .LBB2_673
; %bb.666:                              ;   in Loop: Header=BB2_625 Depth=1
	s_mov_b32 s24, exec_lo
	s_mov_b32 s7, exec_lo
	v_mbcnt_lo_u32_b32 v4, s24, 0
                                        ; implicit-def: $vgpr24
	s_delay_alu instid0(VALU_DEP_1)
	v_cmpx_eq_u32_e32 0, v4
	s_cbranch_execz .LBB2_668
; %bb.667:                              ;   in Loop: Header=BB2_625 Depth=1
	s_bcnt1_i32_b32 s24, s24
	s_delay_alu instid0(SALU_CYCLE_1)
	v_mov_b32_e32 v24, s24
	global_atomic_add_u32 v24, v28, v24, s[8:9] offset:384 glc
.LBB2_668:                              ;   in Loop: Header=BB2_625 Depth=1
	s_or_b32 exec_lo, exec_lo, s7
	s_waitcnt vmcnt(0)
	v_readfirstlane_b32 s7, v24
	s_delay_alu instid0(VALU_DEP_1) | instskip(NEXT) | instid1(VALU_DEP_1)
	v_add_nc_u32_e32 v24, s7, v4
	v_ashrrev_i32_e32 v25, 31, v24
	s_delay_alu instid0(VALU_DEP_1) | instskip(NEXT) | instid1(VALU_DEP_1)
	v_lshlrev_b64 v[25:26], 2, v[24:25]
	v_add_co_u32 v29, vcc_lo, s28, v25
	s_delay_alu instid0(VALU_DEP_2)
	v_add_co_ci_u32_e32 v30, vcc_lo, s29, v26, vcc_lo
	s_and_not1_b32 vcc_lo, exec_lo, s11
	global_store_b32 v[29:30], v5, off
	s_cbranch_vccnz .LBB2_670
; %bb.669:                              ;   in Loop: Header=BB2_625 Depth=1
	v_ashrrev_i32_e32 v24, 31, v23
	s_delay_alu instid0(VALU_DEP_1) | instskip(NEXT) | instid1(VALU_DEP_1)
	v_lshlrev_b64 v[4:5], 2, v[23:24]
	v_add_co_u32 v4, vcc_lo, s14, v4
	s_delay_alu instid0(VALU_DEP_2)
	v_add_co_ci_u32_e32 v5, vcc_lo, s21, v5, vcc_lo
	global_load_b32 v4, v[4:5], off
	s_cbranch_execz .LBB2_671
	s_branch .LBB2_672
.LBB2_670:                              ;   in Loop: Header=BB2_625 Depth=1
                                        ; implicit-def: $vgpr4
.LBB2_671:                              ;   in Loop: Header=BB2_625 Depth=1
	s_waitcnt vmcnt(0)
	v_add3_u32 v4, v23, s12, 1
.LBB2_672:                              ;   in Loop: Header=BB2_625 Depth=1
	v_add_co_u32 v24, vcc_lo, s13, v25
	v_add_co_ci_u32_e32 v25, vcc_lo, s15, v26, vcc_lo
	s_waitcnt vmcnt(0)
	global_store_b32 v[24:25], v4, off
.LBB2_673:                              ;   in Loop: Header=BB2_625 Depth=1
	s_or_b32 exec_lo, exec_lo, s6
	v_cmp_gt_i32_e32 vcc_lo, 0, v6
	s_mov_b32 s6, exec_lo
	v_cndmask_b32_e64 v4, 0x7fffffff, 0, vcc_lo
	s_delay_alu instid0(VALU_DEP_1) | instskip(NEXT) | instid1(VALU_DEP_1)
	v_xor_b32_e32 v4, v4, v6
	v_and_b32_e32 v4, s5, v4
	s_delay_alu instid0(VALU_DEP_1)
	v_cmpx_le_u32_e64 v4, v27
	s_cbranch_execz .LBB2_681
; %bb.674:                              ;   in Loop: Header=BB2_625 Depth=1
	s_mov_b32 s24, exec_lo
	s_mov_b32 s7, exec_lo
	v_mbcnt_lo_u32_b32 v4, s24, 0
                                        ; implicit-def: $vgpr5
	s_delay_alu instid0(VALU_DEP_1)
	v_cmpx_eq_u32_e32 0, v4
	s_cbranch_execz .LBB2_676
; %bb.675:                              ;   in Loop: Header=BB2_625 Depth=1
	s_bcnt1_i32_b32 s24, s24
	s_delay_alu instid0(SALU_CYCLE_1)
	v_mov_b32_e32 v5, s24
	global_atomic_add_u32 v5, v28, v5, s[8:9] offset:384 glc
.LBB2_676:                              ;   in Loop: Header=BB2_625 Depth=1
	s_or_b32 exec_lo, exec_lo, s7
	s_waitcnt vmcnt(0)
	v_readfirstlane_b32 s7, v5
	s_delay_alu instid0(VALU_DEP_1) | instskip(NEXT) | instid1(VALU_DEP_1)
	v_add_nc_u32_e32 v4, s7, v4
	v_ashrrev_i32_e32 v5, 31, v4
	s_delay_alu instid0(VALU_DEP_1) | instskip(NEXT) | instid1(VALU_DEP_1)
	v_lshlrev_b64 v[4:5], 2, v[4:5]
	v_add_co_u32 v24, vcc_lo, s28, v4
	s_delay_alu instid0(VALU_DEP_2)
	v_add_co_ci_u32_e32 v25, vcc_lo, s29, v5, vcc_lo
	s_and_not1_b32 vcc_lo, exec_lo, s11
	global_store_b32 v[24:25], v6, off
	s_cbranch_vccnz .LBB2_678
; %bb.677:                              ;   in Loop: Header=BB2_625 Depth=1
	v_ashrrev_i32_e32 v24, 31, v23
	s_delay_alu instid0(VALU_DEP_1) | instskip(NEXT) | instid1(VALU_DEP_1)
	v_lshlrev_b64 v[24:25], 2, v[23:24]
	v_add_co_u32 v24, vcc_lo, s33, v24
	s_delay_alu instid0(VALU_DEP_2)
	v_add_co_ci_u32_e32 v25, vcc_lo, s34, v25, vcc_lo
	global_load_b32 v6, v[24:25], off
	s_cbranch_execz .LBB2_679
	s_branch .LBB2_680
.LBB2_678:                              ;   in Loop: Header=BB2_625 Depth=1
                                        ; implicit-def: $vgpr6
.LBB2_679:                              ;   in Loop: Header=BB2_625 Depth=1
	s_waitcnt vmcnt(0)
	v_add3_u32 v6, v23, s12, 2
.LBB2_680:                              ;   in Loop: Header=BB2_625 Depth=1
	v_add_co_u32 v4, vcc_lo, s13, v4
	v_add_co_ci_u32_e32 v5, vcc_lo, s15, v5, vcc_lo
	s_waitcnt vmcnt(0)
	global_store_b32 v[4:5], v6, off
.LBB2_681:                              ;   in Loop: Header=BB2_625 Depth=1
	s_or_b32 exec_lo, exec_lo, s6
	v_cmp_gt_i32_e32 vcc_lo, 0, v7
	s_mov_b32 s6, exec_lo
	v_cndmask_b32_e64 v4, 0x7fffffff, 0, vcc_lo
	s_delay_alu instid0(VALU_DEP_1) | instskip(NEXT) | instid1(VALU_DEP_1)
	v_xor_b32_e32 v4, v4, v7
	v_and_b32_e32 v4, s5, v4
	s_delay_alu instid0(VALU_DEP_1)
	v_cmpx_le_u32_e64 v4, v27
	s_cbranch_execz .LBB2_689
; %bb.682:                              ;   in Loop: Header=BB2_625 Depth=1
	s_mov_b32 s24, exec_lo
	s_mov_b32 s7, exec_lo
	v_mbcnt_lo_u32_b32 v4, s24, 0
                                        ; implicit-def: $vgpr5
	s_delay_alu instid0(VALU_DEP_1)
	v_cmpx_eq_u32_e32 0, v4
	s_cbranch_execz .LBB2_684
; %bb.683:                              ;   in Loop: Header=BB2_625 Depth=1
	s_bcnt1_i32_b32 s24, s24
	s_delay_alu instid0(SALU_CYCLE_1)
	v_mov_b32_e32 v5, s24
	global_atomic_add_u32 v5, v28, v5, s[8:9] offset:384 glc
.LBB2_684:                              ;   in Loop: Header=BB2_625 Depth=1
	s_or_b32 exec_lo, exec_lo, s7
	s_waitcnt vmcnt(0)
	v_readfirstlane_b32 s7, v5
	s_delay_alu instid0(VALU_DEP_1) | instskip(NEXT) | instid1(VALU_DEP_1)
	v_add_nc_u32_e32 v4, s7, v4
	v_ashrrev_i32_e32 v5, 31, v4
	s_delay_alu instid0(VALU_DEP_1) | instskip(NEXT) | instid1(VALU_DEP_1)
	v_lshlrev_b64 v[4:5], 2, v[4:5]
	v_add_co_u32 v24, vcc_lo, s28, v4
	s_delay_alu instid0(VALU_DEP_2)
	v_add_co_ci_u32_e32 v25, vcc_lo, s29, v5, vcc_lo
	s_and_not1_b32 vcc_lo, exec_lo, s11
	global_store_b32 v[24:25], v7, off
	s_cbranch_vccnz .LBB2_686
; %bb.685:                              ;   in Loop: Header=BB2_625 Depth=1
	v_ashrrev_i32_e32 v24, 31, v23
	s_delay_alu instid0(VALU_DEP_1) | instskip(NEXT) | instid1(VALU_DEP_1)
	v_lshlrev_b64 v[6:7], 2, v[23:24]
	v_add_co_u32 v6, vcc_lo, s35, v6
	s_delay_alu instid0(VALU_DEP_2)
	v_add_co_ci_u32_e32 v7, vcc_lo, s36, v7, vcc_lo
	global_load_b32 v6, v[6:7], off
	s_cbranch_execz .LBB2_687
	s_branch .LBB2_688
.LBB2_686:                              ;   in Loop: Header=BB2_625 Depth=1
                                        ; implicit-def: $vgpr6
.LBB2_687:                              ;   in Loop: Header=BB2_625 Depth=1
	s_waitcnt vmcnt(0)
	v_add3_u32 v6, v23, s12, 3
.LBB2_688:                              ;   in Loop: Header=BB2_625 Depth=1
	v_add_co_u32 v4, vcc_lo, s13, v4
	v_add_co_ci_u32_e32 v5, vcc_lo, s15, v5, vcc_lo
	s_waitcnt vmcnt(0)
	global_store_b32 v[4:5], v6, off
.LBB2_689:                              ;   in Loop: Header=BB2_625 Depth=1
	s_or_b32 exec_lo, exec_lo, s6
	s_waitcnt vmcnt(1)
	v_cmp_gt_i32_e32 vcc_lo, 0, v8
	v_add_nc_u32_e32 v5, s10, v21
	s_mov_b32 s6, exec_lo
	v_cndmask_b32_e64 v4, 0x7fffffff, 0, vcc_lo
	s_delay_alu instid0(VALU_DEP_1) | instskip(NEXT) | instid1(VALU_DEP_1)
	v_xor_b32_e32 v4, v4, v8
	v_and_b32_e32 v6, s5, v4
	v_lshl_add_u32 v4, v5, 2, s20
	s_delay_alu instid0(VALU_DEP_2)
	v_cmpx_le_u32_e64 v6, v27
	s_cbranch_execz .LBB2_697
; %bb.690:                              ;   in Loop: Header=BB2_625 Depth=1
	s_mov_b32 s24, exec_lo
	s_mov_b32 s7, exec_lo
	v_mbcnt_lo_u32_b32 v5, s24, 0
                                        ; implicit-def: $vgpr6
	s_delay_alu instid0(VALU_DEP_1)
	v_cmpx_eq_u32_e32 0, v5
	s_cbranch_execz .LBB2_692
; %bb.691:                              ;   in Loop: Header=BB2_625 Depth=1
	s_bcnt1_i32_b32 s24, s24
	s_delay_alu instid0(SALU_CYCLE_1)
	v_mov_b32_e32 v6, s24
	global_atomic_add_u32 v6, v28, v6, s[8:9] offset:384 glc
.LBB2_692:                              ;   in Loop: Header=BB2_625 Depth=1
	s_or_b32 exec_lo, exec_lo, s7
	s_waitcnt vmcnt(0)
	v_readfirstlane_b32 s7, v6
	s_delay_alu instid0(VALU_DEP_1) | instskip(NEXT) | instid1(VALU_DEP_1)
	v_add_nc_u32_e32 v5, s7, v5
	v_ashrrev_i32_e32 v6, 31, v5
	s_delay_alu instid0(VALU_DEP_1) | instskip(NEXT) | instid1(VALU_DEP_1)
	v_lshlrev_b64 v[6:7], 2, v[5:6]
	v_add_co_u32 v23, vcc_lo, s28, v6
	s_delay_alu instid0(VALU_DEP_2)
	v_add_co_ci_u32_e32 v24, vcc_lo, s29, v7, vcc_lo
	s_and_not1_b32 vcc_lo, exec_lo, s11
	global_store_b32 v[23:24], v8, off
	s_cbranch_vccnz .LBB2_694
; %bb.693:                              ;   in Loop: Header=BB2_625 Depth=1
	v_ashrrev_i32_e32 v5, 31, v4
	s_delay_alu instid0(VALU_DEP_1) | instskip(NEXT) | instid1(VALU_DEP_1)
	v_lshlrev_b64 v[23:24], 2, v[4:5]
	v_add_co_u32 v23, vcc_lo, s16, v23
	s_delay_alu instid0(VALU_DEP_2)
	v_add_co_ci_u32_e32 v24, vcc_lo, s17, v24, vcc_lo
	global_load_b32 v5, v[23:24], off
	s_cbranch_execz .LBB2_695
	s_branch .LBB2_696
.LBB2_694:                              ;   in Loop: Header=BB2_625 Depth=1
                                        ; implicit-def: $vgpr5
.LBB2_695:                              ;   in Loop: Header=BB2_625 Depth=1
	s_waitcnt vmcnt(0)
	v_add_nc_u32_e32 v5, s12, v4
.LBB2_696:                              ;   in Loop: Header=BB2_625 Depth=1
	v_add_co_u32 v6, vcc_lo, s13, v6
	v_add_co_ci_u32_e32 v7, vcc_lo, s15, v7, vcc_lo
	s_waitcnt vmcnt(0)
	global_store_b32 v[6:7], v5, off
.LBB2_697:                              ;   in Loop: Header=BB2_625 Depth=1
	s_or_b32 exec_lo, exec_lo, s6
	v_cmp_gt_i32_e32 vcc_lo, 0, v9
	s_mov_b32 s6, exec_lo
	v_cndmask_b32_e64 v5, 0x7fffffff, 0, vcc_lo
	s_delay_alu instid0(VALU_DEP_1) | instskip(NEXT) | instid1(VALU_DEP_1)
	v_xor_b32_e32 v5, v5, v9
	v_and_b32_e32 v5, s5, v5
	s_delay_alu instid0(VALU_DEP_1)
	v_cmpx_le_u32_e64 v5, v27
	s_cbranch_execz .LBB2_705
; %bb.698:                              ;   in Loop: Header=BB2_625 Depth=1
	s_mov_b32 s24, exec_lo
	s_mov_b32 s7, exec_lo
	v_mbcnt_lo_u32_b32 v5, s24, 0
                                        ; implicit-def: $vgpr6
	s_delay_alu instid0(VALU_DEP_1)
	v_cmpx_eq_u32_e32 0, v5
	s_cbranch_execz .LBB2_700
; %bb.699:                              ;   in Loop: Header=BB2_625 Depth=1
	s_bcnt1_i32_b32 s24, s24
	s_delay_alu instid0(SALU_CYCLE_1)
	v_mov_b32_e32 v6, s24
	global_atomic_add_u32 v6, v28, v6, s[8:9] offset:384 glc
.LBB2_700:                              ;   in Loop: Header=BB2_625 Depth=1
	s_or_b32 exec_lo, exec_lo, s7
	s_waitcnt vmcnt(0)
	v_readfirstlane_b32 s7, v6
	s_delay_alu instid0(VALU_DEP_1) | instskip(NEXT) | instid1(VALU_DEP_1)
	v_add_nc_u32_e32 v5, s7, v5
	v_ashrrev_i32_e32 v6, 31, v5
	s_delay_alu instid0(VALU_DEP_1) | instskip(NEXT) | instid1(VALU_DEP_1)
	v_lshlrev_b64 v[6:7], 2, v[5:6]
	v_add_co_u32 v23, vcc_lo, s28, v6
	s_delay_alu instid0(VALU_DEP_2)
	v_add_co_ci_u32_e32 v24, vcc_lo, s29, v7, vcc_lo
	s_and_not1_b32 vcc_lo, exec_lo, s11
	global_store_b32 v[23:24], v9, off
	s_cbranch_vccnz .LBB2_702
; %bb.701:                              ;   in Loop: Header=BB2_625 Depth=1
	v_ashrrev_i32_e32 v5, 31, v4
	s_delay_alu instid0(VALU_DEP_1) | instskip(NEXT) | instid1(VALU_DEP_1)
	v_lshlrev_b64 v[8:9], 2, v[4:5]
	v_add_co_u32 v8, vcc_lo, s14, v8
	s_delay_alu instid0(VALU_DEP_2)
	v_add_co_ci_u32_e32 v9, vcc_lo, s21, v9, vcc_lo
	global_load_b32 v5, v[8:9], off
	s_cbranch_execz .LBB2_703
	s_branch .LBB2_704
.LBB2_702:                              ;   in Loop: Header=BB2_625 Depth=1
                                        ; implicit-def: $vgpr5
.LBB2_703:                              ;   in Loop: Header=BB2_625 Depth=1
	s_waitcnt vmcnt(0)
	v_add3_u32 v5, v4, s12, 1
.LBB2_704:                              ;   in Loop: Header=BB2_625 Depth=1
	v_add_co_u32 v6, vcc_lo, s13, v6
	v_add_co_ci_u32_e32 v7, vcc_lo, s15, v7, vcc_lo
	s_waitcnt vmcnt(0)
	global_store_b32 v[6:7], v5, off
.LBB2_705:                              ;   in Loop: Header=BB2_625 Depth=1
	s_or_b32 exec_lo, exec_lo, s6
	v_cmp_gt_i32_e32 vcc_lo, 0, v10
	s_mov_b32 s6, exec_lo
	v_cndmask_b32_e64 v5, 0x7fffffff, 0, vcc_lo
	s_delay_alu instid0(VALU_DEP_1) | instskip(NEXT) | instid1(VALU_DEP_1)
	v_xor_b32_e32 v5, v5, v10
	v_and_b32_e32 v5, s5, v5
	s_delay_alu instid0(VALU_DEP_1)
	v_cmpx_le_u32_e64 v5, v27
	s_cbranch_execz .LBB2_713
; %bb.706:                              ;   in Loop: Header=BB2_625 Depth=1
	s_mov_b32 s24, exec_lo
	s_mov_b32 s7, exec_lo
	v_mbcnt_lo_u32_b32 v5, s24, 0
                                        ; implicit-def: $vgpr6
	s_delay_alu instid0(VALU_DEP_1)
	v_cmpx_eq_u32_e32 0, v5
	s_cbranch_execz .LBB2_708
; %bb.707:                              ;   in Loop: Header=BB2_625 Depth=1
	s_bcnt1_i32_b32 s24, s24
	s_delay_alu instid0(SALU_CYCLE_1)
	v_mov_b32_e32 v6, s24
	global_atomic_add_u32 v6, v28, v6, s[8:9] offset:384 glc
.LBB2_708:                              ;   in Loop: Header=BB2_625 Depth=1
	s_or_b32 exec_lo, exec_lo, s7
	s_waitcnt vmcnt(0)
	v_readfirstlane_b32 s7, v6
	s_delay_alu instid0(VALU_DEP_1) | instskip(NEXT) | instid1(VALU_DEP_1)
	v_add_nc_u32_e32 v5, s7, v5
	v_ashrrev_i32_e32 v6, 31, v5
	s_delay_alu instid0(VALU_DEP_1) | instskip(NEXT) | instid1(VALU_DEP_1)
	v_lshlrev_b64 v[6:7], 2, v[5:6]
	v_add_co_u32 v8, vcc_lo, s28, v6
	s_delay_alu instid0(VALU_DEP_2)
	v_add_co_ci_u32_e32 v9, vcc_lo, s29, v7, vcc_lo
	s_and_not1_b32 vcc_lo, exec_lo, s11
	global_store_b32 v[8:9], v10, off
	s_cbranch_vccnz .LBB2_710
; %bb.709:                              ;   in Loop: Header=BB2_625 Depth=1
	v_ashrrev_i32_e32 v5, 31, v4
	s_delay_alu instid0(VALU_DEP_1) | instskip(NEXT) | instid1(VALU_DEP_1)
	v_lshlrev_b64 v[8:9], 2, v[4:5]
	v_add_co_u32 v8, vcc_lo, s33, v8
	s_delay_alu instid0(VALU_DEP_2)
	v_add_co_ci_u32_e32 v9, vcc_lo, s34, v9, vcc_lo
	global_load_b32 v5, v[8:9], off
	s_cbranch_execz .LBB2_711
	s_branch .LBB2_712
.LBB2_710:                              ;   in Loop: Header=BB2_625 Depth=1
                                        ; implicit-def: $vgpr5
.LBB2_711:                              ;   in Loop: Header=BB2_625 Depth=1
	s_waitcnt vmcnt(0)
	v_add3_u32 v5, v4, s12, 2
.LBB2_712:                              ;   in Loop: Header=BB2_625 Depth=1
	v_add_co_u32 v6, vcc_lo, s13, v6
	v_add_co_ci_u32_e32 v7, vcc_lo, s15, v7, vcc_lo
	s_waitcnt vmcnt(0)
	global_store_b32 v[6:7], v5, off
.LBB2_713:                              ;   in Loop: Header=BB2_625 Depth=1
	;; [unrolled: 59-line block ×3, first 2 shown]
	s_or_b32 exec_lo, exec_lo, s6
	s_waitcnt vmcnt(0)
	v_cmp_gt_i32_e32 vcc_lo, 0, v0
	s_mov_b32 s6, exec_lo
	v_cndmask_b32_e64 v4, 0x7fffffff, 0, vcc_lo
	s_delay_alu instid0(VALU_DEP_1) | instskip(NEXT) | instid1(VALU_DEP_1)
	v_xor_b32_e32 v4, v4, v0
	v_and_b32_e32 v5, s5, v4
	v_lshl_add_u32 v4, v22, 2, s20
	s_delay_alu instid0(VALU_DEP_2)
	v_cmpx_le_u32_e64 v5, v27
	s_cbranch_execz .LBB2_729
; %bb.722:                              ;   in Loop: Header=BB2_625 Depth=1
	s_mov_b32 s24, exec_lo
	s_mov_b32 s7, exec_lo
	v_mbcnt_lo_u32_b32 v5, s24, 0
                                        ; implicit-def: $vgpr6
	s_delay_alu instid0(VALU_DEP_1)
	v_cmpx_eq_u32_e32 0, v5
	s_cbranch_execz .LBB2_724
; %bb.723:                              ;   in Loop: Header=BB2_625 Depth=1
	s_bcnt1_i32_b32 s24, s24
	s_delay_alu instid0(SALU_CYCLE_1)
	v_mov_b32_e32 v6, s24
	global_atomic_add_u32 v6, v28, v6, s[8:9] offset:384 glc
.LBB2_724:                              ;   in Loop: Header=BB2_625 Depth=1
	s_or_b32 exec_lo, exec_lo, s7
	s_waitcnt vmcnt(0)
	v_readfirstlane_b32 s7, v6
	s_delay_alu instid0(VALU_DEP_1) | instskip(NEXT) | instid1(VALU_DEP_1)
	v_add_nc_u32_e32 v5, s7, v5
	v_ashrrev_i32_e32 v6, 31, v5
	s_delay_alu instid0(VALU_DEP_1) | instskip(NEXT) | instid1(VALU_DEP_1)
	v_lshlrev_b64 v[6:7], 2, v[5:6]
	v_add_co_u32 v8, vcc_lo, s28, v6
	s_delay_alu instid0(VALU_DEP_2)
	v_add_co_ci_u32_e32 v9, vcc_lo, s29, v7, vcc_lo
	s_and_not1_b32 vcc_lo, exec_lo, s11
	global_store_b32 v[8:9], v0, off
	s_cbranch_vccnz .LBB2_726
; %bb.725:                              ;   in Loop: Header=BB2_625 Depth=1
	v_ashrrev_i32_e32 v5, 31, v4
	s_delay_alu instid0(VALU_DEP_1) | instskip(NEXT) | instid1(VALU_DEP_1)
	v_lshlrev_b64 v[8:9], 2, v[4:5]
	v_add_co_u32 v8, vcc_lo, s16, v8
	s_delay_alu instid0(VALU_DEP_2)
	v_add_co_ci_u32_e32 v9, vcc_lo, s17, v9, vcc_lo
	global_load_b32 v0, v[8:9], off
	s_cbranch_execz .LBB2_727
	s_branch .LBB2_728
.LBB2_726:                              ;   in Loop: Header=BB2_625 Depth=1
                                        ; implicit-def: $vgpr0
.LBB2_727:                              ;   in Loop: Header=BB2_625 Depth=1
	s_waitcnt vmcnt(0)
	v_add_nc_u32_e32 v0, s12, v4
.LBB2_728:                              ;   in Loop: Header=BB2_625 Depth=1
	v_add_co_u32 v5, vcc_lo, s13, v6
	v_add_co_ci_u32_e32 v6, vcc_lo, s15, v7, vcc_lo
	s_waitcnt vmcnt(0)
	global_store_b32 v[5:6], v0, off
.LBB2_729:                              ;   in Loop: Header=BB2_625 Depth=1
	s_or_b32 exec_lo, exec_lo, s6
	v_cmp_gt_i32_e32 vcc_lo, 0, v1
	s_mov_b32 s6, exec_lo
	v_cndmask_b32_e64 v0, 0x7fffffff, 0, vcc_lo
	s_delay_alu instid0(VALU_DEP_1) | instskip(NEXT) | instid1(VALU_DEP_1)
	v_xor_b32_e32 v0, v0, v1
	v_and_b32_e32 v0, s5, v0
	s_delay_alu instid0(VALU_DEP_1)
	v_cmpx_le_u32_e64 v0, v27
	s_cbranch_execz .LBB2_737
; %bb.730:                              ;   in Loop: Header=BB2_625 Depth=1
	s_mov_b32 s24, exec_lo
	s_mov_b32 s7, exec_lo
	v_mbcnt_lo_u32_b32 v0, s24, 0
                                        ; implicit-def: $vgpr5
	s_delay_alu instid0(VALU_DEP_1)
	v_cmpx_eq_u32_e32 0, v0
	s_cbranch_execz .LBB2_732
; %bb.731:                              ;   in Loop: Header=BB2_625 Depth=1
	s_bcnt1_i32_b32 s24, s24
	s_delay_alu instid0(SALU_CYCLE_1)
	v_mov_b32_e32 v5, s24
	global_atomic_add_u32 v5, v28, v5, s[8:9] offset:384 glc
.LBB2_732:                              ;   in Loop: Header=BB2_625 Depth=1
	s_or_b32 exec_lo, exec_lo, s7
	s_waitcnt vmcnt(0)
	v_readfirstlane_b32 s7, v5
	s_delay_alu instid0(VALU_DEP_1) | instskip(NEXT) | instid1(VALU_DEP_1)
	v_add_nc_u32_e32 v5, s7, v0
	v_ashrrev_i32_e32 v6, 31, v5
	s_delay_alu instid0(VALU_DEP_1) | instskip(NEXT) | instid1(VALU_DEP_1)
	v_lshlrev_b64 v[6:7], 2, v[5:6]
	v_add_co_u32 v8, vcc_lo, s28, v6
	s_delay_alu instid0(VALU_DEP_2)
	v_add_co_ci_u32_e32 v9, vcc_lo, s29, v7, vcc_lo
	s_and_not1_b32 vcc_lo, exec_lo, s11
	global_store_b32 v[8:9], v1, off
	s_cbranch_vccnz .LBB2_734
; %bb.733:                              ;   in Loop: Header=BB2_625 Depth=1
	v_ashrrev_i32_e32 v5, 31, v4
	s_delay_alu instid0(VALU_DEP_1) | instskip(NEXT) | instid1(VALU_DEP_1)
	v_lshlrev_b64 v[0:1], 2, v[4:5]
	v_add_co_u32 v0, vcc_lo, s14, v0
	s_delay_alu instid0(VALU_DEP_2)
	v_add_co_ci_u32_e32 v1, vcc_lo, s21, v1, vcc_lo
	global_load_b32 v0, v[0:1], off
	s_cbranch_execz .LBB2_735
	s_branch .LBB2_736
.LBB2_734:                              ;   in Loop: Header=BB2_625 Depth=1
                                        ; implicit-def: $vgpr0
.LBB2_735:                              ;   in Loop: Header=BB2_625 Depth=1
	s_waitcnt vmcnt(0)
	v_add3_u32 v0, v4, s12, 1
.LBB2_736:                              ;   in Loop: Header=BB2_625 Depth=1
	v_add_co_u32 v5, vcc_lo, s13, v6
	v_add_co_ci_u32_e32 v6, vcc_lo, s15, v7, vcc_lo
	s_waitcnt vmcnt(0)
	global_store_b32 v[5:6], v0, off
.LBB2_737:                              ;   in Loop: Header=BB2_625 Depth=1
	s_or_b32 exec_lo, exec_lo, s6
	v_cmp_gt_i32_e32 vcc_lo, 0, v2
	s_mov_b32 s6, exec_lo
	v_cndmask_b32_e64 v0, 0x7fffffff, 0, vcc_lo
	s_delay_alu instid0(VALU_DEP_1) | instskip(NEXT) | instid1(VALU_DEP_1)
	v_xor_b32_e32 v0, v0, v2
	v_and_b32_e32 v0, s5, v0
	s_delay_alu instid0(VALU_DEP_1)
	v_cmpx_le_u32_e64 v0, v27
	s_cbranch_execz .LBB2_745
; %bb.738:                              ;   in Loop: Header=BB2_625 Depth=1
	s_mov_b32 s24, exec_lo
	s_mov_b32 s7, exec_lo
	v_mbcnt_lo_u32_b32 v0, s24, 0
                                        ; implicit-def: $vgpr1
	s_delay_alu instid0(VALU_DEP_1)
	v_cmpx_eq_u32_e32 0, v0
	s_cbranch_execz .LBB2_740
; %bb.739:                              ;   in Loop: Header=BB2_625 Depth=1
	s_bcnt1_i32_b32 s24, s24
	s_delay_alu instid0(SALU_CYCLE_1)
	v_mov_b32_e32 v1, s24
	global_atomic_add_u32 v1, v28, v1, s[8:9] offset:384 glc
.LBB2_740:                              ;   in Loop: Header=BB2_625 Depth=1
	s_or_b32 exec_lo, exec_lo, s7
	s_waitcnt vmcnt(0)
	v_readfirstlane_b32 s7, v1
	s_delay_alu instid0(VALU_DEP_1) | instskip(NEXT) | instid1(VALU_DEP_1)
	v_add_nc_u32_e32 v0, s7, v0
	v_ashrrev_i32_e32 v1, 31, v0
	s_delay_alu instid0(VALU_DEP_1) | instskip(NEXT) | instid1(VALU_DEP_1)
	v_lshlrev_b64 v[0:1], 2, v[0:1]
	v_add_co_u32 v5, vcc_lo, s28, v0
	s_delay_alu instid0(VALU_DEP_2)
	v_add_co_ci_u32_e32 v6, vcc_lo, s29, v1, vcc_lo
	s_and_not1_b32 vcc_lo, exec_lo, s11
	global_store_b32 v[5:6], v2, off
	s_cbranch_vccnz .LBB2_742
; %bb.741:                              ;   in Loop: Header=BB2_625 Depth=1
	v_ashrrev_i32_e32 v5, 31, v4
	s_delay_alu instid0(VALU_DEP_1) | instskip(NEXT) | instid1(VALU_DEP_1)
	v_lshlrev_b64 v[5:6], 2, v[4:5]
	v_add_co_u32 v5, vcc_lo, s33, v5
	s_delay_alu instid0(VALU_DEP_2)
	v_add_co_ci_u32_e32 v6, vcc_lo, s34, v6, vcc_lo
	global_load_b32 v2, v[5:6], off
	s_cbranch_execz .LBB2_743
	s_branch .LBB2_744
.LBB2_742:                              ;   in Loop: Header=BB2_625 Depth=1
                                        ; implicit-def: $vgpr2
.LBB2_743:                              ;   in Loop: Header=BB2_625 Depth=1
	s_waitcnt vmcnt(0)
	v_add3_u32 v2, v4, s12, 2
.LBB2_744:                              ;   in Loop: Header=BB2_625 Depth=1
	v_add_co_u32 v0, vcc_lo, s13, v0
	v_add_co_ci_u32_e32 v1, vcc_lo, s15, v1, vcc_lo
	s_waitcnt vmcnt(0)
	global_store_b32 v[0:1], v2, off
.LBB2_745:                              ;   in Loop: Header=BB2_625 Depth=1
	s_or_b32 exec_lo, exec_lo, s6
	v_cmp_gt_i32_e32 vcc_lo, 0, v3
	s_mov_b32 s6, exec_lo
	v_cndmask_b32_e64 v0, 0x7fffffff, 0, vcc_lo
	s_delay_alu instid0(VALU_DEP_1) | instskip(NEXT) | instid1(VALU_DEP_1)
	v_xor_b32_e32 v0, v0, v3
	v_and_b32_e32 v0, s5, v0
	s_delay_alu instid0(VALU_DEP_1)
	v_cmpx_le_u32_e64 v0, v27
	s_cbranch_execz .LBB2_624
; %bb.746:                              ;   in Loop: Header=BB2_625 Depth=1
	s_mov_b32 s24, exec_lo
	s_mov_b32 s7, exec_lo
	v_mbcnt_lo_u32_b32 v0, s24, 0
                                        ; implicit-def: $vgpr1
	s_delay_alu instid0(VALU_DEP_1)
	v_cmpx_eq_u32_e32 0, v0
	s_cbranch_execz .LBB2_748
; %bb.747:                              ;   in Loop: Header=BB2_625 Depth=1
	s_bcnt1_i32_b32 s24, s24
	s_delay_alu instid0(SALU_CYCLE_1)
	v_mov_b32_e32 v1, s24
	global_atomic_add_u32 v1, v28, v1, s[8:9] offset:384 glc
.LBB2_748:                              ;   in Loop: Header=BB2_625 Depth=1
	s_or_b32 exec_lo, exec_lo, s7
	s_waitcnt vmcnt(0)
	v_readfirstlane_b32 s7, v1
	s_delay_alu instid0(VALU_DEP_1) | instskip(NEXT) | instid1(VALU_DEP_1)
	v_add_nc_u32_e32 v0, s7, v0
	v_ashrrev_i32_e32 v1, 31, v0
	s_delay_alu instid0(VALU_DEP_1) | instskip(NEXT) | instid1(VALU_DEP_1)
	v_lshlrev_b64 v[0:1], 2, v[0:1]
	v_add_co_u32 v5, vcc_lo, s28, v0
	s_delay_alu instid0(VALU_DEP_2)
	v_add_co_ci_u32_e32 v6, vcc_lo, s29, v1, vcc_lo
	s_and_not1_b32 vcc_lo, exec_lo, s11
	global_store_b32 v[5:6], v3, off
	s_cbranch_vccnz .LBB2_750
; %bb.749:                              ;   in Loop: Header=BB2_625 Depth=1
	v_ashrrev_i32_e32 v5, 31, v4
	s_delay_alu instid0(VALU_DEP_1) | instskip(NEXT) | instid1(VALU_DEP_1)
	v_lshlrev_b64 v[2:3], 2, v[4:5]
	v_add_co_u32 v2, vcc_lo, s35, v2
	s_delay_alu instid0(VALU_DEP_2)
	v_add_co_ci_u32_e32 v3, vcc_lo, s36, v3, vcc_lo
	global_load_b32 v2, v[2:3], off
	s_cbranch_execnz .LBB2_623
	s_branch .LBB2_622
.LBB2_750:                              ;   in Loop: Header=BB2_625 Depth=1
                                        ; implicit-def: $vgpr2
	s_branch .LBB2_622
.LBB2_751:
	s_or_b32 exec_lo, exec_lo, s3
	v_mov_b32_e32 v24, v20
.LBB2_752:
	s_or_b32 exec_lo, exec_lo, s4
	s_delay_alu instid0(SALU_CYCLE_1) | instskip(NEXT) | instid1(VALU_DEP_1)
	s_mov_b32 s3, exec_lo
	v_cmpx_gt_i32_e64 s18, v24
	s_cbranch_execz .LBB2_787
; %bb.753:
	v_lshl_add_u32 v4, v24, 2, s20
	v_mov_b32_e32 v8, 0
	s_lshl_b32 s4, -1, s2
	s_mov_b32 s5, 0
	s_branch .LBB2_757
.LBB2_754:                              ;   in Loop: Header=BB2_757 Depth=1
	s_waitcnt vmcnt(0)
	v_add3_u32 v2, s12, v4, 3
.LBB2_755:                              ;   in Loop: Header=BB2_757 Depth=1
	v_add_co_u32 v0, vcc_lo, s13, v0
	v_add_co_ci_u32_e32 v1, vcc_lo, s15, v1, vcc_lo
	s_waitcnt vmcnt(0)
	global_store_b32 v[0:1], v2, off
.LBB2_756:                              ;   in Loop: Header=BB2_757 Depth=1
	s_or_b32 exec_lo, exec_lo, s6
	v_add_nc_u32_e32 v24, s10, v24
	v_add_nc_u32_e32 v4, s31, v4
	s_delay_alu instid0(VALU_DEP_2) | instskip(SKIP_1) | instid1(SALU_CYCLE_1)
	v_cmp_le_i32_e32 vcc_lo, s18, v24
	s_or_b32 s5, vcc_lo, s5
	s_and_not1_b32 exec_lo, exec_lo, s5
	s_cbranch_execz .LBB2_787
.LBB2_757:                              ; =>This Inner Loop Header: Depth=1
	v_ashrrev_i32_e32 v25, 31, v24
	s_mov_b32 s6, exec_lo
	s_delay_alu instid0(VALU_DEP_1) | instskip(NEXT) | instid1(VALU_DEP_1)
	v_lshlrev_b64 v[0:1], 4, v[24:25]
	v_add_co_u32 v0, vcc_lo, s26, v0
	s_delay_alu instid0(VALU_DEP_2) | instskip(SKIP_4) | instid1(VALU_DEP_1)
	v_add_co_ci_u32_e32 v1, vcc_lo, s30, v1, vcc_lo
	global_load_b128 v[0:3], v[0:1], off
	s_waitcnt vmcnt(0)
	v_cmp_gt_i32_e32 vcc_lo, 0, v0
	v_cndmask_b32_e64 v5, 0x7fffffff, 0, vcc_lo
	v_xor_b32_e32 v5, v5, v0
	s_delay_alu instid0(VALU_DEP_1) | instskip(SKIP_1) | instid1(VALU_DEP_1)
	v_and_b32_e32 v5, s4, v5
	s_waitcnt lgkmcnt(0)
	v_cmpx_le_u32_e64 v5, v27
	s_cbranch_execz .LBB2_765
; %bb.758:                              ;   in Loop: Header=BB2_757 Depth=1
	s_mov_b32 s19, exec_lo
	s_mov_b32 s7, exec_lo
	v_mbcnt_lo_u32_b32 v5, s19, 0
                                        ; implicit-def: $vgpr6
	s_delay_alu instid0(VALU_DEP_1)
	v_cmpx_eq_u32_e32 0, v5
	s_cbranch_execz .LBB2_760
; %bb.759:                              ;   in Loop: Header=BB2_757 Depth=1
	s_bcnt1_i32_b32 s19, s19
	s_delay_alu instid0(SALU_CYCLE_1)
	v_mov_b32_e32 v6, s19
	global_atomic_add_u32 v6, v8, v6, s[8:9] offset:384 glc
.LBB2_760:                              ;   in Loop: Header=BB2_757 Depth=1
	s_or_b32 exec_lo, exec_lo, s7
	s_waitcnt vmcnt(0)
	v_readfirstlane_b32 s7, v6
	s_delay_alu instid0(VALU_DEP_1) | instskip(NEXT) | instid1(VALU_DEP_1)
	v_add_nc_u32_e32 v5, s7, v5
	v_ashrrev_i32_e32 v6, 31, v5
	s_delay_alu instid0(VALU_DEP_1) | instskip(NEXT) | instid1(VALU_DEP_1)
	v_lshlrev_b64 v[6:7], 2, v[5:6]
	v_add_co_u32 v9, vcc_lo, s28, v6
	s_delay_alu instid0(VALU_DEP_2)
	v_add_co_ci_u32_e32 v10, vcc_lo, s29, v7, vcc_lo
	s_and_not1_b32 vcc_lo, exec_lo, s11
	global_store_b32 v[9:10], v0, off
	s_cbranch_vccnz .LBB2_762
; %bb.761:                              ;   in Loop: Header=BB2_757 Depth=1
	v_ashrrev_i32_e32 v5, 31, v4
	s_delay_alu instid0(VALU_DEP_1) | instskip(NEXT) | instid1(VALU_DEP_1)
	v_lshlrev_b64 v[9:10], 2, v[4:5]
	v_add_co_u32 v9, vcc_lo, s16, v9
	s_delay_alu instid0(VALU_DEP_2)
	v_add_co_ci_u32_e32 v10, vcc_lo, s17, v10, vcc_lo
	global_load_b32 v0, v[9:10], off
	s_cbranch_execz .LBB2_763
	s_branch .LBB2_764
.LBB2_762:                              ;   in Loop: Header=BB2_757 Depth=1
                                        ; implicit-def: $vgpr0
.LBB2_763:                              ;   in Loop: Header=BB2_757 Depth=1
	s_waitcnt vmcnt(0)
	v_add_nc_u32_e32 v0, s12, v4
.LBB2_764:                              ;   in Loop: Header=BB2_757 Depth=1
	v_add_co_u32 v5, vcc_lo, s13, v6
	v_add_co_ci_u32_e32 v6, vcc_lo, s15, v7, vcc_lo
	s_waitcnt vmcnt(0)
	global_store_b32 v[5:6], v0, off
.LBB2_765:                              ;   in Loop: Header=BB2_757 Depth=1
	s_or_b32 exec_lo, exec_lo, s6
	v_cmp_gt_i32_e32 vcc_lo, 0, v1
	s_mov_b32 s6, exec_lo
	v_cndmask_b32_e64 v0, 0x7fffffff, 0, vcc_lo
	s_delay_alu instid0(VALU_DEP_1) | instskip(NEXT) | instid1(VALU_DEP_1)
	v_xor_b32_e32 v0, v0, v1
	v_and_b32_e32 v0, s4, v0
	s_delay_alu instid0(VALU_DEP_1)
	v_cmpx_le_u32_e64 v0, v27
	s_cbranch_execz .LBB2_773
; %bb.766:                              ;   in Loop: Header=BB2_757 Depth=1
	s_mov_b32 s19, exec_lo
	s_mov_b32 s7, exec_lo
	v_mbcnt_lo_u32_b32 v0, s19, 0
                                        ; implicit-def: $vgpr5
	s_delay_alu instid0(VALU_DEP_1)
	v_cmpx_eq_u32_e32 0, v0
	s_cbranch_execz .LBB2_768
; %bb.767:                              ;   in Loop: Header=BB2_757 Depth=1
	s_bcnt1_i32_b32 s19, s19
	s_delay_alu instid0(SALU_CYCLE_1)
	v_mov_b32_e32 v5, s19
	global_atomic_add_u32 v5, v8, v5, s[8:9] offset:384 glc
.LBB2_768:                              ;   in Loop: Header=BB2_757 Depth=1
	s_or_b32 exec_lo, exec_lo, s7
	s_waitcnt vmcnt(0)
	v_readfirstlane_b32 s7, v5
	s_delay_alu instid0(VALU_DEP_1) | instskip(NEXT) | instid1(VALU_DEP_1)
	v_add_nc_u32_e32 v5, s7, v0
	v_ashrrev_i32_e32 v6, 31, v5
	s_delay_alu instid0(VALU_DEP_1) | instskip(NEXT) | instid1(VALU_DEP_1)
	v_lshlrev_b64 v[6:7], 2, v[5:6]
	v_add_co_u32 v9, vcc_lo, s28, v6
	s_delay_alu instid0(VALU_DEP_2)
	v_add_co_ci_u32_e32 v10, vcc_lo, s29, v7, vcc_lo
	s_and_not1_b32 vcc_lo, exec_lo, s11
	global_store_b32 v[9:10], v1, off
	s_cbranch_vccnz .LBB2_770
; %bb.769:                              ;   in Loop: Header=BB2_757 Depth=1
	v_ashrrev_i32_e32 v5, 31, v4
	s_delay_alu instid0(VALU_DEP_1) | instskip(NEXT) | instid1(VALU_DEP_1)
	v_lshlrev_b64 v[0:1], 2, v[4:5]
	v_add_co_u32 v0, vcc_lo, s14, v0
	s_delay_alu instid0(VALU_DEP_2)
	v_add_co_ci_u32_e32 v1, vcc_lo, s21, v1, vcc_lo
	global_load_b32 v0, v[0:1], off
	s_cbranch_execz .LBB2_771
	s_branch .LBB2_772
.LBB2_770:                              ;   in Loop: Header=BB2_757 Depth=1
                                        ; implicit-def: $vgpr0
.LBB2_771:                              ;   in Loop: Header=BB2_757 Depth=1
	s_waitcnt vmcnt(0)
	v_add3_u32 v0, s12, v4, 1
.LBB2_772:                              ;   in Loop: Header=BB2_757 Depth=1
	v_add_co_u32 v5, vcc_lo, s13, v6
	v_add_co_ci_u32_e32 v6, vcc_lo, s15, v7, vcc_lo
	s_waitcnt vmcnt(0)
	global_store_b32 v[5:6], v0, off
.LBB2_773:                              ;   in Loop: Header=BB2_757 Depth=1
	s_or_b32 exec_lo, exec_lo, s6
	v_cmp_gt_i32_e32 vcc_lo, 0, v2
	s_mov_b32 s6, exec_lo
	v_cndmask_b32_e64 v0, 0x7fffffff, 0, vcc_lo
	s_delay_alu instid0(VALU_DEP_1) | instskip(NEXT) | instid1(VALU_DEP_1)
	v_xor_b32_e32 v0, v0, v2
	v_and_b32_e32 v0, s4, v0
	s_delay_alu instid0(VALU_DEP_1)
	v_cmpx_le_u32_e64 v0, v27
	s_cbranch_execz .LBB2_781
; %bb.774:                              ;   in Loop: Header=BB2_757 Depth=1
	s_mov_b32 s19, exec_lo
	s_mov_b32 s7, exec_lo
	v_mbcnt_lo_u32_b32 v0, s19, 0
                                        ; implicit-def: $vgpr1
	s_delay_alu instid0(VALU_DEP_1)
	v_cmpx_eq_u32_e32 0, v0
	s_cbranch_execz .LBB2_776
; %bb.775:                              ;   in Loop: Header=BB2_757 Depth=1
	s_bcnt1_i32_b32 s19, s19
	s_delay_alu instid0(SALU_CYCLE_1)
	v_mov_b32_e32 v1, s19
	global_atomic_add_u32 v1, v8, v1, s[8:9] offset:384 glc
.LBB2_776:                              ;   in Loop: Header=BB2_757 Depth=1
	s_or_b32 exec_lo, exec_lo, s7
	s_waitcnt vmcnt(0)
	v_readfirstlane_b32 s7, v1
	s_delay_alu instid0(VALU_DEP_1) | instskip(NEXT) | instid1(VALU_DEP_1)
	v_add_nc_u32_e32 v0, s7, v0
	v_ashrrev_i32_e32 v1, 31, v0
	s_delay_alu instid0(VALU_DEP_1) | instskip(NEXT) | instid1(VALU_DEP_1)
	v_lshlrev_b64 v[0:1], 2, v[0:1]
	v_add_co_u32 v5, vcc_lo, s28, v0
	s_delay_alu instid0(VALU_DEP_2)
	v_add_co_ci_u32_e32 v6, vcc_lo, s29, v1, vcc_lo
	s_and_not1_b32 vcc_lo, exec_lo, s11
	global_store_b32 v[5:6], v2, off
	s_cbranch_vccnz .LBB2_778
; %bb.777:                              ;   in Loop: Header=BB2_757 Depth=1
	v_ashrrev_i32_e32 v5, 31, v4
	s_delay_alu instid0(VALU_DEP_1) | instskip(NEXT) | instid1(VALU_DEP_1)
	v_lshlrev_b64 v[5:6], 2, v[4:5]
	v_add_co_u32 v5, vcc_lo, s33, v5
	s_delay_alu instid0(VALU_DEP_2)
	v_add_co_ci_u32_e32 v6, vcc_lo, s34, v6, vcc_lo
	global_load_b32 v2, v[5:6], off
	s_cbranch_execz .LBB2_779
	s_branch .LBB2_780
.LBB2_778:                              ;   in Loop: Header=BB2_757 Depth=1
                                        ; implicit-def: $vgpr2
.LBB2_779:                              ;   in Loop: Header=BB2_757 Depth=1
	s_waitcnt vmcnt(0)
	v_add3_u32 v2, s12, v4, 2
.LBB2_780:                              ;   in Loop: Header=BB2_757 Depth=1
	v_add_co_u32 v0, vcc_lo, s13, v0
	v_add_co_ci_u32_e32 v1, vcc_lo, s15, v1, vcc_lo
	s_waitcnt vmcnt(0)
	global_store_b32 v[0:1], v2, off
.LBB2_781:                              ;   in Loop: Header=BB2_757 Depth=1
	s_or_b32 exec_lo, exec_lo, s6
	v_cmp_gt_i32_e32 vcc_lo, 0, v3
	s_mov_b32 s6, exec_lo
	v_cndmask_b32_e64 v0, 0x7fffffff, 0, vcc_lo
	s_delay_alu instid0(VALU_DEP_1) | instskip(NEXT) | instid1(VALU_DEP_1)
	v_xor_b32_e32 v0, v0, v3
	v_and_b32_e32 v0, s4, v0
	s_delay_alu instid0(VALU_DEP_1)
	v_cmpx_le_u32_e64 v0, v27
	s_cbranch_execz .LBB2_756
; %bb.782:                              ;   in Loop: Header=BB2_757 Depth=1
	s_mov_b32 s19, exec_lo
	s_mov_b32 s7, exec_lo
	v_mbcnt_lo_u32_b32 v0, s19, 0
                                        ; implicit-def: $vgpr1
	s_delay_alu instid0(VALU_DEP_1)
	v_cmpx_eq_u32_e32 0, v0
	s_cbranch_execz .LBB2_784
; %bb.783:                              ;   in Loop: Header=BB2_757 Depth=1
	s_bcnt1_i32_b32 s19, s19
	s_delay_alu instid0(SALU_CYCLE_1)
	v_mov_b32_e32 v1, s19
	global_atomic_add_u32 v1, v8, v1, s[8:9] offset:384 glc
.LBB2_784:                              ;   in Loop: Header=BB2_757 Depth=1
	s_or_b32 exec_lo, exec_lo, s7
	s_waitcnt vmcnt(0)
	v_readfirstlane_b32 s7, v1
	s_delay_alu instid0(VALU_DEP_1) | instskip(NEXT) | instid1(VALU_DEP_1)
	v_add_nc_u32_e32 v0, s7, v0
	v_ashrrev_i32_e32 v1, 31, v0
	s_delay_alu instid0(VALU_DEP_1) | instskip(NEXT) | instid1(VALU_DEP_1)
	v_lshlrev_b64 v[0:1], 2, v[0:1]
	v_add_co_u32 v5, vcc_lo, s28, v0
	s_delay_alu instid0(VALU_DEP_2)
	v_add_co_ci_u32_e32 v6, vcc_lo, s29, v1, vcc_lo
	s_and_not1_b32 vcc_lo, exec_lo, s11
	global_store_b32 v[5:6], v3, off
	s_cbranch_vccnz .LBB2_786
; %bb.785:                              ;   in Loop: Header=BB2_757 Depth=1
	v_ashrrev_i32_e32 v5, 31, v4
	s_delay_alu instid0(VALU_DEP_1) | instskip(NEXT) | instid1(VALU_DEP_1)
	v_lshlrev_b64 v[2:3], 2, v[4:5]
	v_add_co_u32 v2, vcc_lo, s35, v2
	s_delay_alu instid0(VALU_DEP_2)
	v_add_co_ci_u32_e32 v3, vcc_lo, s36, v3, vcc_lo
	global_load_b32 v2, v[2:3], off
	s_cbranch_execnz .LBB2_755
	s_branch .LBB2_754
.LBB2_786:                              ;   in Loop: Header=BB2_757 Depth=1
                                        ; implicit-def: $vgpr2
	s_branch .LBB2_754
.LBB2_787:
	s_or_b32 exec_lo, exec_lo, s3
	s_and_saveexec_b32 s3, s1
	s_cbranch_execz .LBB2_794
; %bb.788:
	global_load_b32 v2, v[18:19], off
	s_lshl_b32 s1, -1, s2
	s_waitcnt vmcnt(0)
	v_cmp_gt_i32_e32 vcc_lo, 0, v2
	v_cndmask_b32_e64 v0, 0x7fffffff, 0, vcc_lo
	s_delay_alu instid0(VALU_DEP_1) | instskip(NEXT) | instid1(VALU_DEP_1)
	v_xor_b32_e32 v0, v0, v2
	v_and_b32_e32 v0, s1, v0
	s_waitcnt lgkmcnt(0)
	s_delay_alu instid0(VALU_DEP_1)
	v_cmp_le_u32_e32 vcc_lo, v0, v27
	s_and_b32 exec_lo, exec_lo, vcc_lo
	s_cbranch_execz .LBB2_794
; %bb.789:
	s_mov_b32 s4, exec_lo
	s_mov_b32 s1, exec_lo
	v_mbcnt_lo_u32_b32 v0, s4, 0
                                        ; implicit-def: $vgpr1
	s_delay_alu instid0(VALU_DEP_1)
	v_cmpx_eq_u32_e32 0, v0
	s_cbranch_execz .LBB2_791
; %bb.790:
	s_bcnt1_i32_b32 s4, s4
	v_mov_b32_e32 v1, 0
	v_mov_b32_e32 v3, s4
	global_atomic_add_u32 v1, v1, v3, s[8:9] offset:384 glc
.LBB2_791:
	s_or_b32 exec_lo, exec_lo, s1
	s_waitcnt vmcnt(0)
	v_readfirstlane_b32 s1, v1
	s_delay_alu instid0(VALU_DEP_1) | instskip(NEXT) | instid1(VALU_DEP_1)
	v_add_nc_u32_e32 v0, s1, v0
	v_ashrrev_i32_e32 v1, 31, v0
	s_delay_alu instid0(VALU_DEP_1) | instskip(NEXT) | instid1(VALU_DEP_1)
	v_lshlrev_b64 v[0:1], 2, v[0:1]
	v_add_co_u32 v3, vcc_lo, s28, v0
	s_delay_alu instid0(VALU_DEP_2)
	v_add_co_ci_u32_e32 v4, vcc_lo, s29, v1, vcc_lo
	s_and_not1_b32 vcc_lo, exec_lo, s11
	global_store_b32 v[3:4], v2, off
	s_cbranch_vccnz .LBB2_793
; %bb.792:
	global_load_b32 v42, v[16:17], off
.LBB2_793:
	v_add_co_u32 v0, vcc_lo, s13, v0
	v_add_co_ci_u32_e32 v1, vcc_lo, s15, v1, vcc_lo
	s_waitcnt vmcnt(0)
	global_store_b32 v[0:1], v42, off
.LBB2_794:
	s_or_b32 exec_lo, exec_lo, s3
	s_and_saveexec_b32 s1, s0
	s_cbranch_execz .LBB2_801
; %bb.795:
	global_load_b32 v2, v[14:15], off
	s_lshl_b32 s0, -1, s2
	s_waitcnt vmcnt(0)
	v_cmp_gt_i32_e32 vcc_lo, 0, v2
	v_cndmask_b32_e64 v0, 0x7fffffff, 0, vcc_lo
	s_delay_alu instid0(VALU_DEP_1) | instskip(NEXT) | instid1(VALU_DEP_1)
	v_xor_b32_e32 v0, v0, v2
	v_and_b32_e32 v0, s0, v0
	s_waitcnt lgkmcnt(0)
	s_delay_alu instid0(VALU_DEP_1)
	v_cmp_le_u32_e32 vcc_lo, v0, v27
	s_and_b32 exec_lo, exec_lo, vcc_lo
	s_cbranch_execz .LBB2_801
; %bb.796:
	s_mov_b32 s1, exec_lo
	s_mov_b32 s0, exec_lo
	v_mbcnt_lo_u32_b32 v0, s1, 0
                                        ; implicit-def: $vgpr1
	s_delay_alu instid0(VALU_DEP_1)
	v_cmpx_eq_u32_e32 0, v0
	s_cbranch_execz .LBB2_798
; %bb.797:
	s_bcnt1_i32_b32 s1, s1
	v_mov_b32_e32 v1, 0
	v_mov_b32_e32 v3, s1
	global_atomic_add_u32 v1, v1, v3, s[8:9] offset:384 glc
.LBB2_798:
	s_or_b32 exec_lo, exec_lo, s0
	s_waitcnt vmcnt(0)
	v_readfirstlane_b32 s0, v1
	s_delay_alu instid0(VALU_DEP_1) | instskip(NEXT) | instid1(VALU_DEP_1)
	v_add_nc_u32_e32 v0, s0, v0
	v_ashrrev_i32_e32 v1, 31, v0
	s_delay_alu instid0(VALU_DEP_1) | instskip(NEXT) | instid1(VALU_DEP_1)
	v_lshlrev_b64 v[0:1], 2, v[0:1]
	v_add_co_u32 v3, vcc_lo, s28, v0
	s_delay_alu instid0(VALU_DEP_2)
	v_add_co_ci_u32_e32 v4, vcc_lo, s29, v1, vcc_lo
	s_and_not1_b32 vcc_lo, exec_lo, s11
	global_store_b32 v[3:4], v2, off
	s_cbranch_vccnz .LBB2_800
; %bb.799:
	global_load_b32 v41, v[12:13], off
.LBB2_800:
	v_add_co_u32 v0, vcc_lo, s13, v0
	v_add_co_ci_u32_e32 v1, vcc_lo, s15, v1, vcc_lo
	s_waitcnt vmcnt(0)
	global_store_b32 v[0:1], v41, off
.LBB2_801:
	s_nop 0
	s_sendmsg sendmsg(MSG_DEALLOC_VGPRS)
	s_endpgm
	.section	.rodata,"a",@progbits
	.p2align	6, 0x0
	.amdhsa_kernel _ZN5aiter2mb23radix_kernel_persistentIfiLi10ELi1024ELb1ELb0ELNS0_5PhaseE0EEEvPKT_PKT0_PS3_PS6_PNS0_7CounterIS3_S6_EESA_S6_S8_S8_S6_S6_b
		.amdhsa_group_segment_fixed_size 8592
		.amdhsa_private_segment_fixed_size 0
		.amdhsa_kernarg_size 344
		.amdhsa_user_sgpr_count 14
		.amdhsa_user_sgpr_dispatch_ptr 0
		.amdhsa_user_sgpr_queue_ptr 0
		.amdhsa_user_sgpr_kernarg_segment_ptr 1
		.amdhsa_user_sgpr_dispatch_id 0
		.amdhsa_user_sgpr_private_segment_size 0
		.amdhsa_wavefront_size32 1
		.amdhsa_uses_dynamic_stack 0
		.amdhsa_enable_private_segment 0
		.amdhsa_system_sgpr_workgroup_id_x 1
		.amdhsa_system_sgpr_workgroup_id_y 1
		.amdhsa_system_sgpr_workgroup_id_z 0
		.amdhsa_system_sgpr_workgroup_info 0
		.amdhsa_system_vgpr_workitem_id 2
		.amdhsa_next_free_vgpr 68
		.amdhsa_next_free_sgpr 54
		.amdhsa_reserve_vcc 1
		.amdhsa_float_round_mode_32 0
		.amdhsa_float_round_mode_16_64 0
		.amdhsa_float_denorm_mode_32 3
		.amdhsa_float_denorm_mode_16_64 3
		.amdhsa_dx10_clamp 1
		.amdhsa_ieee_mode 1
		.amdhsa_fp16_overflow 0
		.amdhsa_workgroup_processor_mode 1
		.amdhsa_memory_ordered 1
		.amdhsa_forward_progress 0
		.amdhsa_shared_vgpr_count 0
		.amdhsa_exception_fp_ieee_invalid_op 0
		.amdhsa_exception_fp_denorm_src 0
		.amdhsa_exception_fp_ieee_div_zero 0
		.amdhsa_exception_fp_ieee_overflow 0
		.amdhsa_exception_fp_ieee_underflow 0
		.amdhsa_exception_fp_ieee_inexact 0
		.amdhsa_exception_int_div_zero 0
	.end_amdhsa_kernel
	.section	.text._ZN5aiter2mb23radix_kernel_persistentIfiLi10ELi1024ELb1ELb0ELNS0_5PhaseE0EEEvPKT_PKT0_PS3_PS6_PNS0_7CounterIS3_S6_EESA_S6_S8_S8_S6_S6_b,"axG",@progbits,_ZN5aiter2mb23radix_kernel_persistentIfiLi10ELi1024ELb1ELb0ELNS0_5PhaseE0EEEvPKT_PKT0_PS3_PS6_PNS0_7CounterIS3_S6_EESA_S6_S8_S8_S6_S6_b,comdat
.Lfunc_end2:
	.size	_ZN5aiter2mb23radix_kernel_persistentIfiLi10ELi1024ELb1ELb0ELNS0_5PhaseE0EEEvPKT_PKT0_PS3_PS6_PNS0_7CounterIS3_S6_EESA_S6_S8_S8_S6_S6_b, .Lfunc_end2-_ZN5aiter2mb23radix_kernel_persistentIfiLi10ELi1024ELb1ELb0ELNS0_5PhaseE0EEEvPKT_PKT0_PS3_PS6_PNS0_7CounterIS3_S6_EESA_S6_S8_S8_S6_S6_b
                                        ; -- End function
	.section	.AMDGPU.csdata,"",@progbits
; Kernel info:
; codeLenInByte = 25848
; NumSgprs: 56
; NumVgprs: 68
; ScratchSize: 0
; MemoryBound: 0
; FloatMode: 240
; IeeeMode: 1
; LDSByteSize: 8592 bytes/workgroup (compile time only)
; SGPRBlocks: 6
; VGPRBlocks: 8
; NumSGPRsForWavesPerEU: 56
; NumVGPRsForWavesPerEU: 68
; Occupancy: 16
; WaveLimiterHint : 0
; COMPUTE_PGM_RSRC2:SCRATCH_EN: 0
; COMPUTE_PGM_RSRC2:USER_SGPR: 14
; COMPUTE_PGM_RSRC2:TRAP_HANDLER: 0
; COMPUTE_PGM_RSRC2:TGID_X_EN: 1
; COMPUTE_PGM_RSRC2:TGID_Y_EN: 1
; COMPUTE_PGM_RSRC2:TGID_Z_EN: 0
; COMPUTE_PGM_RSRC2:TIDIG_COMP_CNT: 2
	.section	.text._ZN5aiter2mb23radix_kernel_persistentIfiLi11ELi1024ELb0ELb0ELNS0_5PhaseE0EEEvPKT_PKT0_PS3_PS6_PNS0_7CounterIS3_S6_EESA_S6_S8_S8_S6_S6_b,"axG",@progbits,_ZN5aiter2mb23radix_kernel_persistentIfiLi11ELi1024ELb0ELb0ELNS0_5PhaseE0EEEvPKT_PKT0_PS3_PS6_PNS0_7CounterIS3_S6_EESA_S6_S8_S8_S6_S6_b,comdat
	.protected	_ZN5aiter2mb23radix_kernel_persistentIfiLi11ELi1024ELb0ELb0ELNS0_5PhaseE0EEEvPKT_PKT0_PS3_PS6_PNS0_7CounterIS3_S6_EESA_S6_S8_S8_S6_S6_b ; -- Begin function _ZN5aiter2mb23radix_kernel_persistentIfiLi11ELi1024ELb0ELb0ELNS0_5PhaseE0EEEvPKT_PKT0_PS3_PS6_PNS0_7CounterIS3_S6_EESA_S6_S8_S8_S6_S6_b
	.globl	_ZN5aiter2mb23radix_kernel_persistentIfiLi11ELi1024ELb0ELb0ELNS0_5PhaseE0EEEvPKT_PKT0_PS3_PS6_PNS0_7CounterIS3_S6_EESA_S6_S8_S8_S6_S6_b
	.p2align	8
	.type	_ZN5aiter2mb23radix_kernel_persistentIfiLi11ELi1024ELb0ELb0ELNS0_5PhaseE0EEEvPKT_PKT0_PS3_PS6_PNS0_7CounterIS3_S6_EESA_S6_S8_S8_S6_S6_b,@function
_ZN5aiter2mb23radix_kernel_persistentIfiLi11ELi1024ELb0ELb0ELNS0_5PhaseE0EEEvPKT_PKT0_PS3_PS6_PNS0_7CounterIS3_S6_EESA_S6_S8_S8_S6_S6_b: ; @_ZN5aiter2mb23radix_kernel_persistentIfiLi11ELi1024ELb0ELb0ELNS0_5PhaseE0EEEvPKT_PKT0_PS3_PS6_PNS0_7CounterIS3_S6_EESA_S6_S8_S8_S6_S6_b
; %bb.0:
	s_mov_b32 s12, s15
	s_clause 0x1
	s_load_b128 s[4:7], s[0:1], 0x38
	s_load_b32 s15, s[0:1], 0x30
	s_mov_b32 s13, 0
	s_waitcnt lgkmcnt(0)
	s_cmp_lg_u64 s[4:5], 0
	s_mov_b32 s33, s15
	s_cselect_b32 s2, -1, 0
	s_cmp_eq_u64 s[4:5], 0
	s_cselect_b32 s3, -1, 0
	s_cmp_eq_u64 s[6:7], 0
	s_cselect_b32 s8, -1, 0
	s_delay_alu instid0(SALU_CYCLE_1) | instskip(NEXT) | instid1(SALU_CYCLE_1)
	s_or_b32 s3, s3, s8
	s_and_b32 vcc_lo, exec_lo, s3
	s_cbranch_vccnz .LBB3_2
; %bb.1:
	s_lshl_b64 s[8:9], s[12:13], 2
	s_delay_alu instid0(SALU_CYCLE_1)
	s_add_u32 s10, s4, s8
	s_addc_u32 s11, s5, s9
	s_add_u32 s6, s6, s8
	s_addc_u32 s7, s7, s9
	s_load_b32 s3, s[6:7], 0x0
	s_load_b32 s6, s[10:11], 0x0
	s_waitcnt lgkmcnt(0)
	s_sub_i32 s33, s3, s6
.LBB3_2:
	s_and_not1_b32 vcc_lo, exec_lo, s2
	s_cbranch_vccnz .LBB3_4
; %bb.3:
	s_lshl_b64 s[2:3], s[12:13], 2
	s_delay_alu instid0(SALU_CYCLE_1)
	s_add_u32 s2, s4, s2
	s_addc_u32 s3, s5, s3
	s_load_b32 s13, s[2:3], 0x0
.LBB3_4:
	s_clause 0x1
	s_load_b32 s39, s[0:1], 0x48
	s_load_b32 s16, s[0:1], 0x64
	v_and_b32_e32 v26, 0x3ff, v0
	s_add_u32 s24, s0, 0x58
	s_addc_u32 s25, s1, 0
	s_delay_alu instid0(VALU_DEP_1) | instskip(SKIP_1) | instid1(VALU_DEP_1)
	v_cmp_ne_u32_e64 s2, 0, v26
	v_cmp_eq_u32_e64 s3, 0, v26
	s_and_saveexec_b32 s4, s3
	s_cbranch_execz .LBB3_6
; %bb.5:
	s_waitcnt lgkmcnt(0)
	v_dual_mov_b32 v1, 0 :: v_dual_mov_b32 v2, s39
	v_mov_b32_e32 v3, s33
	ds_store_b96 v1, v[1:3] offset:16896
.LBB3_6:
	s_or_b32 exec_lo, exec_lo, s4
	s_clause 0x1
	s_load_b128 s[8:11], s[0:1], 0x0
	s_load_b128 s[4:7], s[0:1], 0x18
	s_ashr_i32 s17, s15, 31
	s_mul_hi_u32 s19, s15, s12
	s_mul_i32 s17, s17, s12
	s_mul_i32 s18, s15, s12
	s_add_i32 s19, s19, s17
	s_waitcnt lgkmcnt(0)
	s_ashr_i32 s21, s13, 31
	s_lshl_b64 s[18:19], s[18:19], 2
	s_mov_b32 s20, s13
	s_load_b32 s45, s[0:1], 0x58
	s_mul_i32 s22, s39, s12
	s_waitcnt lgkmcnt(0)
	s_barrier
	buffer_gl0_inv
	s_add_u32 s15, s10, s18
	s_addc_u32 s17, s11, s19
	s_lshl_b64 s[20:21], s[20:21], 2
	s_delay_alu instid0(SALU_CYCLE_1)
	s_add_u32 s15, s15, s20
	s_addc_u32 s17, s17, s21
	s_cmp_lg_u64 s[10:11], 0
	s_cselect_b32 s11, s17, 0
	s_cselect_b32 s10, s15, 0
	s_ashr_i32 s15, s39, 31
	s_mul_hi_u32 s17, s39, s12
	s_mul_i32 s15, s15, s12
	s_delay_alu instid0(SALU_CYCLE_1) | instskip(NEXT) | instid1(SALU_CYCLE_1)
	s_add_i32 s23, s17, s15
	s_lshl_b64 s[22:23], s[22:23], 2
	s_delay_alu instid0(SALU_CYCLE_1)
	s_add_u32 s15, s4, s22
	s_addc_u32 s30, s5, s23
	s_and_b32 s40, 0xffff, s16
	s_cmp_le_i32 s33, s39
	s_mov_b32 s5, -1
	s_cbranch_scc0 .LBB3_16
; %bb.7:
	v_cmp_gt_i32_e32 vcc_lo, s39, v26
	s_cmp_eq_u32 s14, 0
	s_mov_b32 s5, 0
	s_cselect_b32 s4, -1, 0
	s_delay_alu instid0(SALU_CYCLE_1) | instskip(NEXT) | instid1(SALU_CYCLE_1)
	s_and_b32 s4, s4, vcc_lo
	s_and_saveexec_b32 s16, s4
	s_cbranch_execz .LBB3_15
; %bb.8:
	v_mov_b32_e32 v1, v26
	s_cmp_lg_u64 s[10:11], 0
	s_mov_b32 s22, 0
	s_cselect_b32 s17, -1, 0
	s_set_inst_prefetch_distance 0x1
	s_branch .LBB3_11
	.p2align	6
.LBB3_9:                                ;   in Loop: Header=BB3_11 Depth=1
	s_waitcnt vmcnt(0)
	v_add_nc_u32_e32 v3, s13, v1
.LBB3_10:                               ;   in Loop: Header=BB3_11 Depth=1
	s_or_b32 exec_lo, exec_lo, s4
	v_ashrrev_i32_e32 v2, 31, v1
	s_delay_alu instid0(VALU_DEP_1) | instskip(SKIP_1) | instid1(VALU_DEP_1)
	v_lshlrev_b64 v[4:5], 2, v[1:2]
	v_add_nc_u32_e32 v1, s40, v1
	v_cmp_le_i32_e32 vcc_lo, s39, v1
	s_delay_alu instid0(VALU_DEP_3) | instskip(NEXT) | instid1(VALU_DEP_1)
	v_add_co_u32 v4, s4, s15, v4
	v_add_co_ci_u32_e64 v5, s4, s30, v5, s4
	s_or_b32 s22, vcc_lo, s22
	s_waitcnt vmcnt(0)
	global_store_b32 v[4:5], v3, off
	s_and_not1_b32 exec_lo, exec_lo, s22
	s_cbranch_execz .LBB3_15
.LBB3_11:                               ; =>This Inner Loop Header: Depth=1
	v_mov_b32_e32 v3, -1
	s_mov_b32 s4, exec_lo
	v_cmpx_gt_i32_e64 s33, v1
	s_cbranch_execz .LBB3_10
; %bb.12:                               ;   in Loop: Header=BB3_11 Depth=1
	s_and_not1_b32 vcc_lo, exec_lo, s17
	s_cbranch_vccnz .LBB3_14
; %bb.13:                               ;   in Loop: Header=BB3_11 Depth=1
	v_ashrrev_i32_e32 v2, 31, v1
	s_delay_alu instid0(VALU_DEP_1) | instskip(NEXT) | instid1(VALU_DEP_1)
	v_lshlrev_b64 v[2:3], 2, v[1:2]
	v_add_co_u32 v2, vcc_lo, s10, v2
	s_delay_alu instid0(VALU_DEP_2)
	v_add_co_ci_u32_e32 v3, vcc_lo, s11, v3, vcc_lo
	global_load_b32 v3, v[2:3], off
	s_cbranch_execnz .LBB3_10
	s_branch .LBB3_9
.LBB3_14:                               ;   in Loop: Header=BB3_11 Depth=1
                                        ; implicit-def: $vgpr3
	s_branch .LBB3_9
.LBB3_15:
	s_set_inst_prefetch_distance 0x2
	s_or_b32 exec_lo, exec_lo, s16
.LBB3_16:
	s_delay_alu instid0(SALU_CYCLE_1)
	s_and_not1_b32 vcc_lo, exec_lo, s5
	s_cbranch_vccnz .LBB3_801
; %bb.17:
	s_mul_i32 s4, s12, 0x300
	s_mul_hi_u32 s5, s12, 0x300
	s_add_u32 s16, s6, s4
	s_addc_u32 s17, s7, s5
	s_add_u32 s4, s8, s18
	s_addc_u32 s5, s9, s19
	;; [unrolled: 2-line block ×3, first 2 shown]
	s_and_b32 s26, s6, 15
	s_mov_b32 s27, 0
	s_sub_i32 s4, 16, s26
	s_load_b64 s[28:29], s[0:1], 0x28
	s_lshr_b32 s4, s4, 2
	s_cmp_lg_u64 s[26:27], 0
	s_mul_hi_u32 s49, s12, 0x6000
	s_cselect_b32 s4, s4, 0
	s_mul_i32 s50, s12, 0x6000
	s_min_i32 s20, s4, s33
	v_mov_b32_e32 v27, 0
	s_ashr_i32 s21, s20, 31
	s_mul_hi_u32 s9, s40, s45
	s_lshl_b64 s[0:1], s[20:21], 2
	s_mul_i32 s8, s40, s45
	s_add_u32 s12, s6, s0
	s_addc_u32 s26, s5, s1
	s_sub_i32 s0, s33, s20
	v_mad_u64_u32 v[24:25], null, s40, s14, v[26:27]
	s_ashr_i32 s1, s0, 31
	s_mul_hi_u32 s4, s8, 3
	s_lshr_b32 s1, s1, 30
	s_lshl_b64 s[22:23], s[8:9], 4
	s_add_i32 s0, s0, s1
	s_mul_i32 s1, s9, 3
	s_delay_alu instid0(VALU_DEP_1)
	v_mov_b32_e32 v20, v24
	s_ashr_i32 s18, s0, 2
	s_lshl_b32 s31, s8, 2
	s_add_i32 s37, s4, s1
	s_ashr_i32 s19, s18, 31
	s_add_u32 s41, s12, s22
	s_addc_u32 s42, s26, s23
	s_add_u32 s43, s41, s22
	s_addc_u32 s44, s42, s23
	s_and_b32 s0, s0, -4
	v_ashrrev_i32_e32 v21, 31, v24
	v_add3_u32 v1, s0, s20, v24
	v_lshlrev_b64 v[5:6], 2, v[24:25]
	s_mul_i32 s38, s8, 3
	v_cmp_gt_u64_e64 s1, s[20:21], v[24:25]
	v_add_co_u32 v22, vcc_lo, v20, s38
	v_ashrrev_i32_e32 v2, 31, v1
	v_bfe_u32 v25, v0, 20, 10
	v_bfe_u32 v45, v0, 10, 10
	v_lshrrev_b32_e32 v0, 3, v26
	v_add_co_ci_u32_e32 v23, vcc_lo, s37, v21, vcc_lo
	v_lshlrev_b64 v[7:8], 2, v[1:2]
	v_or_b32_e32 v2, 0x400, v26
	v_add_co_u32 v16, vcc_lo, s6, v5
	v_add_co_ci_u32_e32 v17, vcc_lo, s5, v6, vcc_lo
	s_delay_alu instid0(VALU_DEP_3) | instskip(SKIP_3) | instid1(SALU_CYCLE_1)
	v_lshrrev_b32_e32 v2, 3, v2
	v_dual_mov_b32 v4, v24 :: v_dual_lshlrev_b32 v9, 2, v26
	v_add_co_u32 v12, vcc_lo, s6, v7
	s_mov_b64 s[6:7], src_shared_base
	v_dual_mov_b32 v31, s7 :: v_dual_and_b32 v0, 0x7c, v0
	v_dual_mov_b32 v52, 1 :: v_dual_add_nc_u32 v5, -1, v26
	v_dual_mov_b32 v3, v27 :: v_dual_add_nc_u32 v28, 0x2100, v9
	v_and_b32_e32 v2, 0xfc, v2
	s_add_i32 s45, s45, -1
	s_lshl_b32 s46, s40, 8
	v_add_nc_u32_e32 v46, v9, v0
	v_lshrrev_b32_e32 v0, 5, v5
	s_cmp_eq_u64 s[10:11], 0
	v_add_nc_u32_e32 v47, v9, v2
	s_cselect_b32 s47, -1, 0
	s_cmp_lg_u64 s[10:11], 0
	v_ashrrev_i64 v[2:3], 30, v[3:4]
	v_dual_mov_b32 v51, 0x4204 :: v_dual_lshlrev_b32 v6, 1, v26
	v_lshrrev_b32_e32 v10, 4, v26
	v_add_lshl_u32 v49, v0, v5, 2
	v_or_b32_e32 v0, s14, v26
	s_cselect_b32 s9, -1, 0
	s_add_u32 s14, s10, 4
	s_addc_u32 s21, s11, 0
	v_cmp_gt_i32_e64 s0, s33, v1
	s_add_u32 s33, s10, 8
	s_addc_u32 s34, s11, 0
	v_add_co_ci_u32_e32 v13, vcc_lo, s5, v8, vcc_lo
	s_add_u32 s35, s10, 12
	v_add_lshl_u32 v48, v10, v6, 2
	v_lshlrev_b32_e32 v6, 7, v26
	v_add_co_u32 v18, vcc_lo, s10, v2
	s_addc_u32 s36, s11, 0
	s_lshl_b32 s48, s40, 2
	v_dual_mov_b32 v29, s7 :: v_dual_add_nc_u32 v30, 0x3100, v9
	s_waitcnt lgkmcnt(0)
	s_add_u32 s7, s28, s50
	v_add_co_ci_u32_e32 v19, vcc_lo, s11, v3, vcc_lo
	v_add_co_u32 v14, vcc_lo, s10, v7
	s_addc_u32 s28, s29, s49
	v_add_co_u32 v32, s7, s7, v9
	v_cmp_gt_u64_e64 s4, s[18:19], v[22:23]
	v_cmp_gt_u32_e64 s5, 32, v26
	v_cmp_eq_u32_e64 s6, 0, v0
	v_add_nc_u32_e32 v44, s13, v24
	v_add_co_ci_u32_e32 v15, vcc_lo, s11, v8, vcc_lo
	v_add_nc_u32_e32 v43, s13, v1
	v_add_co_ci_u32_e64 v33, null, s28, 0, s7
	v_add_nc_u32_e32 v50, 0x20fc, v9
	v_add_nc_u32_e32 v53, v9, v6
	v_mbcnt_lo_u32_b32 v54, -1, 0
	s_branch .LBB3_20
.LBB3_18:                               ;   in Loop: Header=BB3_20 Depth=1
	s_mov_b32 s7, -1
	s_mov_b32 s29, -1
                                        ; implicit-def: $sgpr27
                                        ; implicit-def: $vgpr32_vgpr33
                                        ; implicit-def: $sgpr28
.LBB3_19:                               ;   in Loop: Header=BB3_20 Depth=1
	s_delay_alu instid0(SALU_CYCLE_1)
	s_and_b32 vcc_lo, exec_lo, s29
	s_cbranch_vccnz .LBB3_619
.LBB3_20:                               ; =>This Loop Header: Depth=1
                                        ;     Child Loop BB3_22 Depth 2
                                        ;     Child Loop BB3_28 Depth 2
	;; [unrolled: 1-line block ×12, first 2 shown]
	s_waitcnt lgkmcnt(0)
	ds_load_2addr_b32 v[34:35], v51 offset1:1
	s_waitcnt lgkmcnt(0)
	v_cmp_eq_u32_e32 vcc_lo, 0, v35
	s_cbranch_vccnz .LBB3_18
; %bb.21:                               ;   in Loop: Header=BB3_20 Depth=1
	v_dual_mov_b32 v0, v28 :: v_dual_mov_b32 v1, v26
	s_mov_b32 s7, 0
.LBB3_22:                               ;   Parent Loop BB3_20 Depth=1
                                        ; =>  This Inner Loop Header: Depth=2
	s_delay_alu instid0(VALU_DEP_1) | instskip(SKIP_4) | instid1(SALU_CYCLE_1)
	v_add_nc_u32_e32 v1, s40, v1
	ds_store_b32 v0, v27
	v_add_nc_u32_e32 v0, s48, v0
	v_cmp_lt_u32_e32 vcc_lo, 0x7ff, v1
	s_or_b32 s7, vcc_lo, s7
	s_and_not1_b32 exec_lo, exec_lo, s7
	s_cbranch_execnz .LBB3_22
; %bb.23:                               ;   in Loop: Header=BB3_20 Depth=1
	s_or_b32 exec_lo, exec_lo, s7
	v_cmp_ne_u32_e32 vcc_lo, v35, v34
	s_mul_i32 s28, s27, -11
	s_waitcnt vmcnt(0) lgkmcnt(0)
	s_waitcnt_vscnt null, 0x0
	s_barrier
	buffer_gl0_inv
	s_cbranch_vccz .LBB3_60
; %bb.24:                               ;   in Loop: Header=BB3_20 Depth=1
	s_max_i32 s29, s28, 0xffffffeb
	s_delay_alu instid0(SALU_CYCLE_1)
	s_add_i32 s29, s29, 21
	s_cmp_lg_u32 s27, 0
	s_cbranch_scc0 .LBB3_61
; %bb.25:                               ;   in Loop: Header=BB3_20 Depth=1
	ds_load_b32 v37, v27 offset:16896
	v_mov_b32_e32 v35, v24
	s_add_i32 s7, s28, 32
	s_and_saveexec_b32 s49, s4
	s_cbranch_execz .LBB3_63
; %bb.26:                               ;   in Loop: Header=BB3_20 Depth=1
	v_dual_mov_b32 v8, v22 :: v_dual_mov_b32 v9, v23
	v_dual_mov_b32 v36, v21 :: v_dual_mov_b32 v35, v20
	s_lshl_b32 s51, -1, s7
	s_mov_b32 s50, 0
	s_branch .LBB3_28
.LBB3_27:                               ;   in Loop: Header=BB3_28 Depth=2
	s_or_b32 exec_lo, exec_lo, s52
	v_add_nc_u32_e32 v35, s31, v35
	s_delay_alu instid0(VALU_DEP_1) | instskip(SKIP_1) | instid1(VALU_DEP_2)
	v_ashrrev_i32_e32 v36, 31, v35
	v_add_co_u32 v8, vcc_lo, s38, v35
	v_add_co_ci_u32_e32 v9, vcc_lo, s37, v36, vcc_lo
	s_delay_alu instid0(VALU_DEP_1) | instskip(SKIP_1) | instid1(SALU_CYCLE_1)
	v_cmp_le_u64_e32 vcc_lo, s[18:19], v[8:9]
	s_or_b32 s50, vcc_lo, s50
	s_and_not1_b32 exec_lo, exec_lo, s50
	s_cbranch_execz .LBB3_62
.LBB3_28:                               ;   Parent Loop BB3_20 Depth=1
                                        ; =>  This Inner Loop Header: Depth=2
	s_delay_alu instid0(VALU_DEP_1) | instskip(SKIP_1) | instid1(VALU_DEP_1)
	v_lshlrev_b64 v[10:11], 4, v[35:36]
	s_mov_b32 s52, exec_lo
	v_add_co_u32 v0, vcc_lo, s12, v10
	s_delay_alu instid0(VALU_DEP_2)
	v_add_co_ci_u32_e32 v1, vcc_lo, s26, v11, vcc_lo
	v_add_co_u32 v4, vcc_lo, s41, v10
	v_add_co_ci_u32_e32 v5, vcc_lo, s42, v11, vcc_lo
	s_clause 0x1
	global_load_b128 v[0:3], v[0:1], off
	global_load_b128 v[4:7], v[4:5], off
	s_waitcnt vmcnt(1)
	v_cmp_gt_i32_e32 vcc_lo, 0, v0
	v_cndmask_b32_e64 v36, 0x7fffffff, 0, vcc_lo
	s_delay_alu instid0(VALU_DEP_1) | instskip(NEXT) | instid1(VALU_DEP_1)
	v_xor_b32_e32 v0, v36, v0
	v_and_b32_e32 v36, s51, v0
	s_waitcnt lgkmcnt(0)
	s_delay_alu instid0(VALU_DEP_1)
	v_cmpx_eq_u32_e64 v36, v37
	s_cbranch_execz .LBB3_30
; %bb.29:                               ;   in Loop: Header=BB3_28 Depth=2
	v_bfe_u32 v0, v0, s29, 11
	s_delay_alu instid0(VALU_DEP_1)
	v_lshlrev_b32_e32 v0, 2, v0
	ds_add_u32 v0, v52 offset:8448
.LBB3_30:                               ;   in Loop: Header=BB3_28 Depth=2
	s_or_b32 exec_lo, exec_lo, s52
	v_cmp_gt_i32_e32 vcc_lo, 0, v1
	s_mov_b32 s52, exec_lo
	v_cndmask_b32_e64 v0, 0x7fffffff, 0, vcc_lo
	s_delay_alu instid0(VALU_DEP_1) | instskip(NEXT) | instid1(VALU_DEP_1)
	v_xor_b32_e32 v0, v0, v1
	v_and_b32_e32 v1, s51, v0
	s_delay_alu instid0(VALU_DEP_1)
	v_cmpx_eq_u32_e64 v1, v37
	s_cbranch_execz .LBB3_32
; %bb.31:                               ;   in Loop: Header=BB3_28 Depth=2
	v_bfe_u32 v0, v0, s29, 11
	s_delay_alu instid0(VALU_DEP_1)
	v_lshlrev_b32_e32 v0, 2, v0
	ds_add_u32 v0, v52 offset:8448
.LBB3_32:                               ;   in Loop: Header=BB3_28 Depth=2
	s_or_b32 exec_lo, exec_lo, s52
	v_cmp_gt_i32_e32 vcc_lo, 0, v2
	s_mov_b32 s52, exec_lo
	v_cndmask_b32_e64 v0, 0x7fffffff, 0, vcc_lo
	s_delay_alu instid0(VALU_DEP_1) | instskip(NEXT) | instid1(VALU_DEP_1)
	v_xor_b32_e32 v0, v0, v2
	v_and_b32_e32 v1, s51, v0
	;; [unrolled: 16-line block ×3, first 2 shown]
	s_delay_alu instid0(VALU_DEP_1)
	v_cmpx_eq_u32_e64 v1, v37
	s_cbranch_execz .LBB3_36
; %bb.35:                               ;   in Loop: Header=BB3_28 Depth=2
	v_bfe_u32 v0, v0, s29, 11
	s_delay_alu instid0(VALU_DEP_1)
	v_lshlrev_b32_e32 v0, 2, v0
	ds_add_u32 v0, v52 offset:8448
.LBB3_36:                               ;   in Loop: Header=BB3_28 Depth=2
	s_or_b32 exec_lo, exec_lo, s52
	v_lshlrev_b64 v[0:1], 4, v[8:9]
	v_add_co_u32 v2, vcc_lo, s43, v10
	v_add_co_ci_u32_e32 v3, vcc_lo, s44, v11, vcc_lo
	s_mov_b32 s52, exec_lo
	s_delay_alu instid0(VALU_DEP_3) | instskip(NEXT) | instid1(VALU_DEP_4)
	v_add_co_u32 v0, vcc_lo, s12, v0
	v_add_co_ci_u32_e32 v1, vcc_lo, s26, v1, vcc_lo
	s_waitcnt vmcnt(0)
	v_cmp_gt_i32_e32 vcc_lo, 0, v4
	s_clause 0x1
	global_load_b128 v[8:11], v[2:3], off
	global_load_b128 v[0:3], v[0:1], off
	v_cndmask_b32_e64 v36, 0x7fffffff, 0, vcc_lo
	s_delay_alu instid0(VALU_DEP_1) | instskip(NEXT) | instid1(VALU_DEP_1)
	v_xor_b32_e32 v4, v36, v4
	v_and_b32_e32 v36, s51, v4
	s_delay_alu instid0(VALU_DEP_1)
	v_cmpx_eq_u32_e64 v36, v37
	s_cbranch_execz .LBB3_38
; %bb.37:                               ;   in Loop: Header=BB3_28 Depth=2
	v_bfe_u32 v4, v4, s29, 11
	s_delay_alu instid0(VALU_DEP_1)
	v_lshlrev_b32_e32 v4, 2, v4
	ds_add_u32 v4, v52 offset:8448
.LBB3_38:                               ;   in Loop: Header=BB3_28 Depth=2
	s_or_b32 exec_lo, exec_lo, s52
	v_cmp_gt_i32_e32 vcc_lo, 0, v5
	s_mov_b32 s52, exec_lo
	v_cndmask_b32_e64 v4, 0x7fffffff, 0, vcc_lo
	s_delay_alu instid0(VALU_DEP_1) | instskip(NEXT) | instid1(VALU_DEP_1)
	v_xor_b32_e32 v4, v4, v5
	v_and_b32_e32 v5, s51, v4
	s_delay_alu instid0(VALU_DEP_1)
	v_cmpx_eq_u32_e64 v5, v37
	s_cbranch_execz .LBB3_40
; %bb.39:                               ;   in Loop: Header=BB3_28 Depth=2
	v_bfe_u32 v4, v4, s29, 11
	s_delay_alu instid0(VALU_DEP_1)
	v_lshlrev_b32_e32 v4, 2, v4
	ds_add_u32 v4, v52 offset:8448
.LBB3_40:                               ;   in Loop: Header=BB3_28 Depth=2
	s_or_b32 exec_lo, exec_lo, s52
	v_cmp_gt_i32_e32 vcc_lo, 0, v6
	s_mov_b32 s52, exec_lo
	;; [unrolled: 16-line block ×3, first 2 shown]
	v_cndmask_b32_e64 v4, 0x7fffffff, 0, vcc_lo
	s_delay_alu instid0(VALU_DEP_1) | instskip(NEXT) | instid1(VALU_DEP_1)
	v_xor_b32_e32 v4, v4, v7
	v_and_b32_e32 v5, s51, v4
	s_delay_alu instid0(VALU_DEP_1)
	v_cmpx_eq_u32_e64 v5, v37
	s_cbranch_execz .LBB3_44
; %bb.43:                               ;   in Loop: Header=BB3_28 Depth=2
	v_bfe_u32 v4, v4, s29, 11
	s_delay_alu instid0(VALU_DEP_1)
	v_lshlrev_b32_e32 v4, 2, v4
	ds_add_u32 v4, v52 offset:8448
.LBB3_44:                               ;   in Loop: Header=BB3_28 Depth=2
	s_or_b32 exec_lo, exec_lo, s52
	s_waitcnt vmcnt(1)
	v_cmp_gt_i32_e32 vcc_lo, 0, v8
	s_mov_b32 s52, exec_lo
	v_cndmask_b32_e64 v4, 0x7fffffff, 0, vcc_lo
	s_delay_alu instid0(VALU_DEP_1) | instskip(NEXT) | instid1(VALU_DEP_1)
	v_xor_b32_e32 v4, v4, v8
	v_and_b32_e32 v5, s51, v4
	s_delay_alu instid0(VALU_DEP_1)
	v_cmpx_eq_u32_e64 v5, v37
	s_cbranch_execz .LBB3_46
; %bb.45:                               ;   in Loop: Header=BB3_28 Depth=2
	v_bfe_u32 v4, v4, s29, 11
	s_delay_alu instid0(VALU_DEP_1)
	v_lshlrev_b32_e32 v4, 2, v4
	ds_add_u32 v4, v52 offset:8448
.LBB3_46:                               ;   in Loop: Header=BB3_28 Depth=2
	s_or_b32 exec_lo, exec_lo, s52
	v_cmp_gt_i32_e32 vcc_lo, 0, v9
	s_mov_b32 s52, exec_lo
	v_cndmask_b32_e64 v4, 0x7fffffff, 0, vcc_lo
	s_delay_alu instid0(VALU_DEP_1) | instskip(NEXT) | instid1(VALU_DEP_1)
	v_xor_b32_e32 v4, v4, v9
	v_and_b32_e32 v5, s51, v4
	s_delay_alu instid0(VALU_DEP_1)
	v_cmpx_eq_u32_e64 v5, v37
	s_cbranch_execz .LBB3_48
; %bb.47:                               ;   in Loop: Header=BB3_28 Depth=2
	v_bfe_u32 v4, v4, s29, 11
	s_delay_alu instid0(VALU_DEP_1)
	v_lshlrev_b32_e32 v4, 2, v4
	ds_add_u32 v4, v52 offset:8448
.LBB3_48:                               ;   in Loop: Header=BB3_28 Depth=2
	s_or_b32 exec_lo, exec_lo, s52
	;; [unrolled: 16-line block ×4, first 2 shown]
	s_waitcnt vmcnt(0)
	v_cmp_gt_i32_e32 vcc_lo, 0, v0
	s_mov_b32 s52, exec_lo
	v_cndmask_b32_e64 v4, 0x7fffffff, 0, vcc_lo
	s_delay_alu instid0(VALU_DEP_1) | instskip(NEXT) | instid1(VALU_DEP_1)
	v_xor_b32_e32 v0, v4, v0
	v_and_b32_e32 v4, s51, v0
	s_delay_alu instid0(VALU_DEP_1)
	v_cmpx_eq_u32_e64 v4, v37
	s_cbranch_execz .LBB3_54
; %bb.53:                               ;   in Loop: Header=BB3_28 Depth=2
	v_bfe_u32 v0, v0, s29, 11
	s_delay_alu instid0(VALU_DEP_1)
	v_lshlrev_b32_e32 v0, 2, v0
	ds_add_u32 v0, v52 offset:8448
.LBB3_54:                               ;   in Loop: Header=BB3_28 Depth=2
	s_or_b32 exec_lo, exec_lo, s52
	v_cmp_gt_i32_e32 vcc_lo, 0, v1
	s_mov_b32 s52, exec_lo
	v_cndmask_b32_e64 v0, 0x7fffffff, 0, vcc_lo
	s_delay_alu instid0(VALU_DEP_1) | instskip(NEXT) | instid1(VALU_DEP_1)
	v_xor_b32_e32 v0, v0, v1
	v_and_b32_e32 v1, s51, v0
	s_delay_alu instid0(VALU_DEP_1)
	v_cmpx_eq_u32_e64 v1, v37
	s_cbranch_execz .LBB3_56
; %bb.55:                               ;   in Loop: Header=BB3_28 Depth=2
	v_bfe_u32 v0, v0, s29, 11
	s_delay_alu instid0(VALU_DEP_1)
	v_lshlrev_b32_e32 v0, 2, v0
	ds_add_u32 v0, v52 offset:8448
.LBB3_56:                               ;   in Loop: Header=BB3_28 Depth=2
	s_or_b32 exec_lo, exec_lo, s52
	;; [unrolled: 16-line block ×3, first 2 shown]
	v_cmp_gt_i32_e32 vcc_lo, 0, v3
	s_mov_b32 s52, exec_lo
	v_cndmask_b32_e64 v0, 0x7fffffff, 0, vcc_lo
	s_delay_alu instid0(VALU_DEP_1) | instskip(NEXT) | instid1(VALU_DEP_1)
	v_xor_b32_e32 v0, v0, v3
	v_and_b32_e32 v1, s51, v0
	s_delay_alu instid0(VALU_DEP_1)
	v_cmpx_eq_u32_e64 v1, v37
	s_cbranch_execz .LBB3_27
; %bb.59:                               ;   in Loop: Header=BB3_28 Depth=2
	v_bfe_u32 v0, v0, s29, 11
	s_delay_alu instid0(VALU_DEP_1)
	v_lshlrev_b32_e32 v0, 2, v0
	ds_add_u32 v0, v52 offset:8448
	s_branch .LBB3_27
.LBB3_60:                               ;   in Loop: Header=BB3_20 Depth=1
	s_mov_b32 s29, -1
	s_mov_b32 s7, 0
                                        ; implicit-def: $sgpr27
                                        ; implicit-def: $vgpr32_vgpr33
	s_branch .LBB3_19
.LBB3_61:                               ;   in Loop: Header=BB3_20 Depth=1
	s_mov_b32 s49, 0
                                        ; implicit-def: $vgpr0
	s_cbranch_execnz .LBB3_82
	s_branch .LBB3_94
.LBB3_62:                               ;   in Loop: Header=BB3_20 Depth=1
	s_or_b32 exec_lo, exec_lo, s50
.LBB3_63:                               ;   in Loop: Header=BB3_20 Depth=1
	s_delay_alu instid0(SALU_CYCLE_1) | instskip(NEXT) | instid1(SALU_CYCLE_1)
	s_or_b32 exec_lo, exec_lo, s49
	s_mov_b32 s49, exec_lo
	v_cmpx_gt_i32_e64 s18, v35
	s_cbranch_execz .LBB3_74
; %bb.64:                               ;   in Loop: Header=BB3_20 Depth=1
	s_lshl_b32 s50, -1, s7
	s_mov_b32 s51, 0
	s_branch .LBB3_66
.LBB3_65:                               ;   in Loop: Header=BB3_66 Depth=2
	s_or_b32 exec_lo, exec_lo, s52
	v_add_nc_u32_e32 v35, s8, v35
	s_delay_alu instid0(VALU_DEP_1) | instskip(SKIP_1) | instid1(SALU_CYCLE_1)
	v_cmp_le_i32_e32 vcc_lo, s18, v35
	s_or_b32 s51, vcc_lo, s51
	s_and_not1_b32 exec_lo, exec_lo, s51
	s_cbranch_execz .LBB3_74
.LBB3_66:                               ;   Parent Loop BB3_20 Depth=1
                                        ; =>  This Inner Loop Header: Depth=2
	v_ashrrev_i32_e32 v36, 31, v35
	s_mov_b32 s52, exec_lo
	s_delay_alu instid0(VALU_DEP_1) | instskip(NEXT) | instid1(VALU_DEP_1)
	v_lshlrev_b64 v[0:1], 4, v[35:36]
	v_add_co_u32 v0, vcc_lo, s12, v0
	s_delay_alu instid0(VALU_DEP_2) | instskip(SKIP_4) | instid1(VALU_DEP_1)
	v_add_co_ci_u32_e32 v1, vcc_lo, s26, v1, vcc_lo
	global_load_b128 v[0:3], v[0:1], off
	s_waitcnt vmcnt(0)
	v_cmp_gt_i32_e32 vcc_lo, 0, v0
	v_cndmask_b32_e64 v4, 0x7fffffff, 0, vcc_lo
	v_xor_b32_e32 v0, v4, v0
	s_delay_alu instid0(VALU_DEP_1) | instskip(SKIP_1) | instid1(VALU_DEP_1)
	v_and_b32_e32 v4, s50, v0
	s_waitcnt lgkmcnt(0)
	v_cmpx_eq_u32_e64 v4, v37
	s_cbranch_execz .LBB3_68
; %bb.67:                               ;   in Loop: Header=BB3_66 Depth=2
	v_bfe_u32 v0, v0, s29, 11
	s_delay_alu instid0(VALU_DEP_1)
	v_lshlrev_b32_e32 v0, 2, v0
	ds_add_u32 v0, v52 offset:8448
.LBB3_68:                               ;   in Loop: Header=BB3_66 Depth=2
	s_or_b32 exec_lo, exec_lo, s52
	v_cmp_gt_i32_e32 vcc_lo, 0, v1
	s_mov_b32 s52, exec_lo
	v_cndmask_b32_e64 v0, 0x7fffffff, 0, vcc_lo
	s_delay_alu instid0(VALU_DEP_1) | instskip(NEXT) | instid1(VALU_DEP_1)
	v_xor_b32_e32 v0, v0, v1
	v_and_b32_e32 v1, s50, v0
	s_delay_alu instid0(VALU_DEP_1)
	v_cmpx_eq_u32_e64 v1, v37
	s_cbranch_execz .LBB3_70
; %bb.69:                               ;   in Loop: Header=BB3_66 Depth=2
	v_bfe_u32 v0, v0, s29, 11
	s_delay_alu instid0(VALU_DEP_1)
	v_lshlrev_b32_e32 v0, 2, v0
	ds_add_u32 v0, v52 offset:8448
.LBB3_70:                               ;   in Loop: Header=BB3_66 Depth=2
	s_or_b32 exec_lo, exec_lo, s52
	v_cmp_gt_i32_e32 vcc_lo, 0, v2
	s_mov_b32 s52, exec_lo
	v_cndmask_b32_e64 v0, 0x7fffffff, 0, vcc_lo
	s_delay_alu instid0(VALU_DEP_1) | instskip(NEXT) | instid1(VALU_DEP_1)
	v_xor_b32_e32 v0, v0, v2
	v_and_b32_e32 v1, s50, v0
	s_delay_alu instid0(VALU_DEP_1)
	;; [unrolled: 16-line block ×3, first 2 shown]
	v_cmpx_eq_u32_e64 v1, v37
	s_cbranch_execz .LBB3_65
; %bb.73:                               ;   in Loop: Header=BB3_66 Depth=2
	v_bfe_u32 v0, v0, s29, 11
	s_delay_alu instid0(VALU_DEP_1)
	v_lshlrev_b32_e32 v0, 2, v0
	ds_add_u32 v0, v52 offset:8448
	s_branch .LBB3_65
.LBB3_74:                               ;   in Loop: Header=BB3_20 Depth=1
	s_or_b32 exec_lo, exec_lo, s49
	s_and_saveexec_b32 s49, s1
	s_cbranch_execz .LBB3_77
; %bb.75:                               ;   in Loop: Header=BB3_20 Depth=1
	global_load_b32 v0, v[16:17], off
	s_lshl_b32 s50, -1, s7
	s_waitcnt vmcnt(0)
	v_cmp_gt_i32_e32 vcc_lo, 0, v0
	v_cndmask_b32_e64 v1, 0x7fffffff, 0, vcc_lo
	s_delay_alu instid0(VALU_DEP_1) | instskip(NEXT) | instid1(VALU_DEP_1)
	v_xor_b32_e32 v0, v1, v0
	v_and_b32_e32 v1, s50, v0
	s_waitcnt lgkmcnt(0)
	s_delay_alu instid0(VALU_DEP_1)
	v_cmp_eq_u32_e32 vcc_lo, v1, v37
	s_and_b32 exec_lo, exec_lo, vcc_lo
	s_cbranch_execz .LBB3_77
; %bb.76:                               ;   in Loop: Header=BB3_20 Depth=1
	v_bfe_u32 v0, v0, s29, 11
	s_delay_alu instid0(VALU_DEP_1)
	v_lshlrev_b32_e32 v0, 2, v0
	ds_add_u32 v0, v52 offset:8448
.LBB3_77:                               ;   in Loop: Header=BB3_20 Depth=1
	s_or_b32 exec_lo, exec_lo, s49
	s_mov_b32 s50, 0
	s_mov_b32 s49, 0
                                        ; implicit-def: $vgpr0
	s_and_saveexec_b32 s51, s0
	s_cbranch_execz .LBB3_81
; %bb.78:                               ;   in Loop: Header=BB3_20 Depth=1
	global_load_b32 v0, v[12:13], off
	s_lshl_b32 s7, -1, s7
	s_waitcnt vmcnt(0)
	v_cmp_gt_i32_e32 vcc_lo, 0, v0
	v_cndmask_b32_e64 v1, 0x7fffffff, 0, vcc_lo
	s_delay_alu instid0(VALU_DEP_1) | instskip(NEXT) | instid1(VALU_DEP_1)
	v_xor_b32_e32 v1, v1, v0
	v_and_b32_e32 v0, s7, v1
	s_mov_b32 s7, 0
	s_waitcnt lgkmcnt(0)
	s_delay_alu instid0(VALU_DEP_1) | instskip(SKIP_1) | instid1(SALU_CYCLE_1)
	v_cmp_eq_u32_e32 vcc_lo, v0, v37
                                        ; implicit-def: $vgpr0
	s_and_saveexec_b32 s49, vcc_lo
	s_xor_b32 s49, exec_lo, s49
; %bb.79:                               ;   in Loop: Header=BB3_20 Depth=1
	s_mov_b32 s7, exec_lo
	v_bfe_u32 v0, v1, s29, 11
; %bb.80:                               ;   in Loop: Header=BB3_20 Depth=1
	s_or_b32 exec_lo, exec_lo, s49
	s_delay_alu instid0(SALU_CYCLE_1)
	s_and_b32 s49, s7, exec_lo
.LBB3_81:                               ;   in Loop: Header=BB3_20 Depth=1
	s_or_b32 exec_lo, exec_lo, s51
	s_delay_alu instid0(SALU_CYCLE_1)
	s_and_b32 vcc_lo, exec_lo, s50
	s_cbranch_vccz .LBB3_94
.LBB3_82:                               ;   in Loop: Header=BB3_20 Depth=1
	v_mov_b32_e32 v0, v24
	s_and_saveexec_b32 s7, s4
	s_cbranch_execz .LBB3_86
; %bb.83:                               ;   in Loop: Header=BB3_20 Depth=1
	v_dual_mov_b32 v2, v22 :: v_dual_mov_b32 v3, v23
	v_dual_mov_b32 v0, v20 :: v_dual_mov_b32 v1, v21
	s_mov_b32 s50, 0
.LBB3_84:                               ;   Parent Loop BB3_20 Depth=1
                                        ; =>  This Inner Loop Header: Depth=2
	s_delay_alu instid0(VALU_DEP_1) | instskip(NEXT) | instid1(VALU_DEP_3)
	v_lshlrev_b64 v[8:9], 4, v[0:1]
	v_lshlrev_b64 v[1:2], 4, v[2:3]
	v_add_nc_u32_e32 v0, s31, v0
	s_delay_alu instid0(VALU_DEP_3) | instskip(NEXT) | instid1(VALU_DEP_4)
	v_add_co_u32 v4, vcc_lo, s12, v8
	v_add_co_ci_u32_e32 v5, vcc_lo, s26, v9, vcc_lo
	v_add_co_u32 v10, vcc_lo, s41, v8
	v_add_co_ci_u32_e32 v11, vcc_lo, s42, v9, vcc_lo
	global_load_b128 v[4:7], v[4:5], off
	v_add_co_u32 v35, vcc_lo, s43, v8
	v_add_co_ci_u32_e32 v36, vcc_lo, s44, v9, vcc_lo
	global_load_b128 v[8:11], v[10:11], off
	s_waitcnt lgkmcnt(0)
	v_add_co_u32 v37, vcc_lo, s12, v1
	v_add_co_ci_u32_e32 v38, vcc_lo, s26, v2, vcc_lo
	s_waitcnt vmcnt(1)
	v_cmp_gt_i32_e32 vcc_lo, 0, v4
	v_cndmask_b32_e64 v1, 0x7fffffff, 0, vcc_lo
	v_cmp_gt_i32_e32 vcc_lo, 0, v5
	s_delay_alu instid0(VALU_DEP_2) | instskip(SKIP_2) | instid1(VALU_DEP_3)
	v_xor_b32_e32 v1, v1, v4
	v_cndmask_b32_e64 v2, 0x7fffffff, 0, vcc_lo
	v_cmp_gt_i32_e32 vcc_lo, 0, v6
	v_bfe_u32 v1, v1, s29, 11
	s_delay_alu instid0(VALU_DEP_3) | instskip(SKIP_2) | instid1(VALU_DEP_4)
	v_xor_b32_e32 v2, v2, v5
	v_cndmask_b32_e64 v3, 0x7fffffff, 0, vcc_lo
	v_cmp_gt_i32_e32 vcc_lo, 0, v7
	v_lshlrev_b32_e32 v1, 2, v1
	s_delay_alu instid0(VALU_DEP_4) | instskip(NEXT) | instid1(VALU_DEP_4)
	v_bfe_u32 v2, v2, s29, 11
	v_xor_b32_e32 v3, v3, v6
	v_cndmask_b32_e64 v39, 0x7fffffff, 0, vcc_lo
	s_waitcnt vmcnt(0)
	v_cmp_gt_i32_e32 vcc_lo, 0, v8
	v_lshlrev_b32_e32 v2, 2, v2
	v_bfe_u32 v3, v3, s29, 11
	v_xor_b32_e32 v4, v39, v7
	v_cndmask_b32_e64 v5, 0x7fffffff, 0, vcc_lo
	v_cmp_gt_i32_e32 vcc_lo, 0, v9
	s_delay_alu instid0(VALU_DEP_4) | instskip(NEXT) | instid1(VALU_DEP_4)
	v_lshlrev_b32_e32 v3, 2, v3
	v_bfe_u32 v4, v4, s29, 11
	s_delay_alu instid0(VALU_DEP_4) | instskip(SKIP_2) | instid1(VALU_DEP_4)
	v_xor_b32_e32 v5, v5, v8
	v_cndmask_b32_e64 v6, 0x7fffffff, 0, vcc_lo
	v_cmp_gt_i32_e32 vcc_lo, 0, v10
	v_lshlrev_b32_e32 v4, 2, v4
	ds_add_u32 v1, v52 offset:8448
	ds_add_u32 v2, v52 offset:8448
	;; [unrolled: 1-line block ×4, first 2 shown]
	s_clause 0x1
	global_load_b128 v[1:4], v[35:36], off
	global_load_b128 v[35:38], v[37:38], off
	v_cndmask_b32_e64 v7, 0x7fffffff, 0, vcc_lo
	v_cmp_gt_i32_e32 vcc_lo, 0, v11
	v_xor_b32_e32 v6, v6, v9
	v_bfe_u32 v5, v5, s29, 11
	s_delay_alu instid0(VALU_DEP_4) | instskip(SKIP_1) | instid1(VALU_DEP_4)
	v_xor_b32_e32 v7, v7, v10
	v_cndmask_b32_e64 v39, 0x7fffffff, 0, vcc_lo
	v_bfe_u32 v6, v6, s29, 11
	s_delay_alu instid0(VALU_DEP_4) | instskip(NEXT) | instid1(VALU_DEP_4)
	v_lshlrev_b32_e32 v5, 2, v5
	v_bfe_u32 v7, v7, s29, 11
	s_delay_alu instid0(VALU_DEP_4) | instskip(NEXT) | instid1(VALU_DEP_4)
	v_xor_b32_e32 v8, v39, v11
	v_lshlrev_b32_e32 v6, 2, v6
	s_delay_alu instid0(VALU_DEP_3) | instskip(NEXT) | instid1(VALU_DEP_3)
	v_lshlrev_b32_e32 v7, 2, v7
	v_bfe_u32 v8, v8, s29, 11
	s_delay_alu instid0(VALU_DEP_1)
	v_lshlrev_b32_e32 v8, 2, v8
	ds_add_u32 v5, v52 offset:8448
	ds_add_u32 v6, v52 offset:8448
	;; [unrolled: 1-line block ×4, first 2 shown]
	s_waitcnt vmcnt(1)
	v_cmp_gt_i32_e32 vcc_lo, 0, v1
	v_cndmask_b32_e64 v5, 0x7fffffff, 0, vcc_lo
	v_cmp_gt_i32_e32 vcc_lo, 0, v2
	s_delay_alu instid0(VALU_DEP_2) | instskip(SKIP_2) | instid1(VALU_DEP_3)
	v_xor_b32_e32 v1, v5, v1
	v_cndmask_b32_e64 v6, 0x7fffffff, 0, vcc_lo
	v_cmp_gt_i32_e32 vcc_lo, 0, v3
	v_bfe_u32 v1, v1, s29, 11
	s_delay_alu instid0(VALU_DEP_3) | instskip(SKIP_2) | instid1(VALU_DEP_4)
	v_xor_b32_e32 v2, v6, v2
	v_cndmask_b32_e64 v7, 0x7fffffff, 0, vcc_lo
	v_cmp_gt_i32_e32 vcc_lo, 0, v4
	v_lshlrev_b32_e32 v1, 2, v1
	s_delay_alu instid0(VALU_DEP_4) | instskip(NEXT) | instid1(VALU_DEP_4)
	v_bfe_u32 v2, v2, s29, 11
	v_xor_b32_e32 v3, v7, v3
	v_cndmask_b32_e64 v8, 0x7fffffff, 0, vcc_lo
	s_waitcnt vmcnt(0)
	v_cmp_gt_i32_e32 vcc_lo, 0, v35
	v_lshlrev_b32_e32 v2, 2, v2
	v_bfe_u32 v3, v3, s29, 11
	v_xor_b32_e32 v4, v8, v4
	v_cndmask_b32_e64 v9, 0x7fffffff, 0, vcc_lo
	v_cmp_gt_i32_e32 vcc_lo, 0, v36
	s_delay_alu instid0(VALU_DEP_4) | instskip(NEXT) | instid1(VALU_DEP_4)
	v_lshlrev_b32_e32 v3, 2, v3
	v_bfe_u32 v4, v4, s29, 11
	s_delay_alu instid0(VALU_DEP_4) | instskip(SKIP_2) | instid1(VALU_DEP_4)
	v_xor_b32_e32 v5, v9, v35
	v_cndmask_b32_e64 v10, 0x7fffffff, 0, vcc_lo
	v_cmp_gt_i32_e32 vcc_lo, 0, v37
	v_lshlrev_b32_e32 v4, 2, v4
	s_delay_alu instid0(VALU_DEP_4) | instskip(NEXT) | instid1(VALU_DEP_4)
	v_bfe_u32 v5, v5, s29, 11
	v_xor_b32_e32 v6, v10, v36
	v_cndmask_b32_e64 v11, 0x7fffffff, 0, vcc_lo
	v_cmp_gt_i32_e32 vcc_lo, 0, v38
	s_delay_alu instid0(VALU_DEP_4) | instskip(NEXT) | instid1(VALU_DEP_4)
	v_lshlrev_b32_e32 v5, 2, v5
	v_bfe_u32 v6, v6, s29, 11
	s_delay_alu instid0(VALU_DEP_4) | instskip(SKIP_1) | instid1(VALU_DEP_3)
	v_xor_b32_e32 v7, v11, v37
	v_cndmask_b32_e64 v39, 0x7fffffff, 0, vcc_lo
	v_lshlrev_b32_e32 v6, 2, v6
	s_delay_alu instid0(VALU_DEP_3) | instskip(NEXT) | instid1(VALU_DEP_3)
	v_bfe_u32 v7, v7, s29, 11
	v_xor_b32_e32 v8, v39, v38
	s_delay_alu instid0(VALU_DEP_2) | instskip(NEXT) | instid1(VALU_DEP_2)
	v_lshlrev_b32_e32 v7, 2, v7
	v_bfe_u32 v8, v8, s29, 11
	s_delay_alu instid0(VALU_DEP_1)
	v_lshlrev_b32_e32 v8, 2, v8
	ds_add_u32 v1, v52 offset:8448
	ds_add_u32 v2, v52 offset:8448
	;; [unrolled: 1-line block ×8, first 2 shown]
	v_ashrrev_i32_e32 v1, 31, v0
	v_add_co_u32 v2, vcc_lo, s38, v0
	s_delay_alu instid0(VALU_DEP_2) | instskip(NEXT) | instid1(VALU_DEP_1)
	v_add_co_ci_u32_e32 v3, vcc_lo, s37, v1, vcc_lo
	v_cmp_le_u64_e32 vcc_lo, s[18:19], v[2:3]
	s_or_b32 s50, vcc_lo, s50
	s_delay_alu instid0(SALU_CYCLE_1)
	s_and_not1_b32 exec_lo, exec_lo, s50
	s_cbranch_execnz .LBB3_84
; %bb.85:                               ;   in Loop: Header=BB3_20 Depth=1
	s_or_b32 exec_lo, exec_lo, s50
.LBB3_86:                               ;   in Loop: Header=BB3_20 Depth=1
	s_delay_alu instid0(SALU_CYCLE_1) | instskip(NEXT) | instid1(SALU_CYCLE_1)
	s_or_b32 exec_lo, exec_lo, s7
	s_mov_b32 s7, exec_lo
	v_cmpx_gt_i32_e64 s18, v0
	s_cbranch_execz .LBB3_89
; %bb.87:                               ;   in Loop: Header=BB3_20 Depth=1
	s_mov_b32 s50, 0
.LBB3_88:                               ;   Parent Loop BB3_20 Depth=1
                                        ; =>  This Inner Loop Header: Depth=2
	v_ashrrev_i32_e32 v1, 31, v0
	s_delay_alu instid0(VALU_DEP_1) | instskip(SKIP_1) | instid1(VALU_DEP_2)
	v_lshlrev_b64 v[1:2], 4, v[0:1]
	v_add_nc_u32_e32 v0, s8, v0
	v_add_co_u32 v1, vcc_lo, s12, v1
	s_delay_alu instid0(VALU_DEP_3)
	v_add_co_ci_u32_e32 v2, vcc_lo, s26, v2, vcc_lo
	global_load_b128 v[1:4], v[1:2], off
	s_waitcnt vmcnt(0)
	v_cmp_gt_i32_e32 vcc_lo, 0, v1
	v_cndmask_b32_e64 v5, 0x7fffffff, 0, vcc_lo
	v_cmp_gt_i32_e32 vcc_lo, 0, v2
	s_delay_alu instid0(VALU_DEP_2) | instskip(SKIP_2) | instid1(VALU_DEP_3)
	v_xor_b32_e32 v1, v5, v1
	v_cndmask_b32_e64 v6, 0x7fffffff, 0, vcc_lo
	v_cmp_gt_i32_e32 vcc_lo, 0, v3
	v_bfe_u32 v1, v1, s29, 11
	s_delay_alu instid0(VALU_DEP_3) | instskip(SKIP_2) | instid1(VALU_DEP_4)
	v_xor_b32_e32 v2, v6, v2
	v_cndmask_b32_e64 v7, 0x7fffffff, 0, vcc_lo
	v_cmp_gt_i32_e32 vcc_lo, 0, v4
	v_lshlrev_b32_e32 v1, 2, v1
	s_delay_alu instid0(VALU_DEP_4) | instskip(NEXT) | instid1(VALU_DEP_4)
	v_bfe_u32 v2, v2, s29, 11
	v_xor_b32_e32 v3, v7, v3
	v_cndmask_b32_e64 v8, 0x7fffffff, 0, vcc_lo
	v_cmp_le_i32_e32 vcc_lo, s18, v0
	s_delay_alu instid0(VALU_DEP_4) | instskip(NEXT) | instid1(VALU_DEP_4)
	v_lshlrev_b32_e32 v2, 2, v2
	v_bfe_u32 v3, v3, s29, 11
	s_delay_alu instid0(VALU_DEP_4) | instskip(SKIP_1) | instid1(VALU_DEP_2)
	v_xor_b32_e32 v4, v8, v4
	s_or_b32 s50, vcc_lo, s50
	v_lshlrev_b32_e32 v3, 2, v3
	s_delay_alu instid0(VALU_DEP_2) | instskip(NEXT) | instid1(VALU_DEP_1)
	v_bfe_u32 v4, v4, s29, 11
	v_lshlrev_b32_e32 v4, 2, v4
	ds_add_u32 v1, v52 offset:8448
	ds_add_u32 v2, v52 offset:8448
	;; [unrolled: 1-line block ×4, first 2 shown]
	s_and_not1_b32 exec_lo, exec_lo, s50
	s_cbranch_execnz .LBB3_88
.LBB3_89:                               ;   in Loop: Header=BB3_20 Depth=1
	s_or_b32 exec_lo, exec_lo, s7
	s_and_saveexec_b32 s7, s1
	s_cbranch_execz .LBB3_91
; %bb.90:                               ;   in Loop: Header=BB3_20 Depth=1
	global_load_b32 v0, v[16:17], off
	s_waitcnt vmcnt(0)
	v_cmp_gt_i32_e32 vcc_lo, 0, v0
	v_cndmask_b32_e64 v1, 0x7fffffff, 0, vcc_lo
	s_delay_alu instid0(VALU_DEP_1) | instskip(NEXT) | instid1(VALU_DEP_1)
	v_xor_b32_e32 v0, v1, v0
	v_bfe_u32 v0, v0, s29, 11
	s_delay_alu instid0(VALU_DEP_1)
	v_lshlrev_b32_e32 v0, 2, v0
	ds_add_u32 v0, v52 offset:8448
.LBB3_91:                               ;   in Loop: Header=BB3_20 Depth=1
	s_or_b32 exec_lo, exec_lo, s7
                                        ; implicit-def: $vgpr0
	s_and_saveexec_b32 s7, s0
	s_cbranch_execz .LBB3_93
; %bb.92:                               ;   in Loop: Header=BB3_20 Depth=1
	global_load_b32 v0, v[12:13], off
	s_or_b32 s49, s49, exec_lo
	s_waitcnt vmcnt(0)
	v_cmp_gt_i32_e32 vcc_lo, 0, v0
	v_cndmask_b32_e64 v1, 0x7fffffff, 0, vcc_lo
	s_delay_alu instid0(VALU_DEP_1) | instskip(NEXT) | instid1(VALU_DEP_1)
	v_xor_b32_e32 v0, v1, v0
	v_bfe_u32 v0, v0, s29, 11
.LBB3_93:                               ;   in Loop: Header=BB3_20 Depth=1
	s_or_b32 exec_lo, exec_lo, s7
.LBB3_94:                               ;   in Loop: Header=BB3_20 Depth=1
	s_and_saveexec_b32 s7, s49
	s_cbranch_execz .LBB3_96
; %bb.95:                               ;   in Loop: Header=BB3_20 Depth=1
	s_delay_alu instid0(VALU_DEP_1)
	v_lshlrev_b32_e32 v0, 2, v0
	ds_add_u32 v0, v52 offset:8448
.LBB3_96:                               ;   in Loop: Header=BB3_20 Depth=1
	s_or_b32 exec_lo, exec_lo, s7
	v_dual_mov_b32 v0, v32 :: v_dual_mov_b32 v3, v26
	v_dual_mov_b32 v2, v28 :: v_dual_mov_b32 v1, v33
	s_mov_b32 s49, 0
	s_waitcnt lgkmcnt(0)
	s_barrier
	buffer_gl0_inv
	s_branch .LBB3_98
	.p2align	6
.LBB3_97:                               ;   in Loop: Header=BB3_98 Depth=2
	s_or_b32 exec_lo, exec_lo, s7
	v_add_nc_u32_e32 v3, s40, v3
	v_add_co_u32 v0, s7, v0, s48
	s_delay_alu instid0(VALU_DEP_1) | instskip(NEXT) | instid1(VALU_DEP_3)
	v_add_co_ci_u32_e64 v1, s7, 0, v1, s7
	v_cmp_lt_u32_e32 vcc_lo, 0x7ff, v3
	v_add_nc_u32_e32 v2, s48, v2
	s_or_b32 s49, vcc_lo, s49
	s_delay_alu instid0(SALU_CYCLE_1)
	s_and_not1_b32 exec_lo, exec_lo, s49
	s_cbranch_execz .LBB3_100
.LBB3_98:                               ;   Parent Loop BB3_20 Depth=1
                                        ; =>  This Inner Loop Header: Depth=2
	ds_load_b32 v4, v2
	s_mov_b32 s7, exec_lo
	s_waitcnt lgkmcnt(0)
	v_cmpx_ne_u32_e32 0, v4
	s_cbranch_execz .LBB3_97
; %bb.99:                               ;   in Loop: Header=BB3_98 Depth=2
	global_atomic_add_u32 v[0:1], v4, off
	s_branch .LBB3_97
.LBB3_100:                              ;   in Loop: Header=BB3_20 Depth=1
	s_or_b32 exec_lo, exec_lo, s49
	s_mov_b32 s7, 0
	s_waitcnt_vscnt null, 0x0
	s_barrier
	buffer_gl0_inv
	s_and_saveexec_b32 s49, s3
	s_cbranch_execz .LBB3_102
; %bb.101:                              ;   in Loop: Header=BB3_20 Depth=1
	v_mov_b32_e32 v0, s45
	global_atomic_inc_u32 v0, v27, v0, s[16:17] offset:256 glc
	s_waitcnt vmcnt(0)
	v_cmp_eq_u32_e32 vcc_lo, s45, v0
	s_and_b32 s7, vcc_lo, exec_lo
.LBB3_102:                              ;   in Loop: Header=BB3_20 Depth=1
	s_or_b32 exec_lo, exec_lo, s49
	global_load_b32 v0, v27, s[24:25] offset:14
	v_cndmask_b32_e64 v1, 0, 1, s7
	s_delay_alu instid0(VALU_DEP_1) | instskip(NEXT) | instid1(VALU_DEP_1)
	v_or_b32_dpp v1, v1, v1 row_shl:1 row_mask:0xf bank_mask:0xf bound_ctrl:1
	v_or_b32_dpp v1, v1, v1 row_shl:2 row_mask:0xf bank_mask:0xf bound_ctrl:1
	s_delay_alu instid0(VALU_DEP_1) | instskip(NEXT) | instid1(VALU_DEP_1)
	v_or_b32_dpp v1, v1, v1 row_shl:4 row_mask:0xf bank_mask:0xf bound_ctrl:1
	v_or_b32_dpp v1, v1, v1 row_shl:8 row_mask:0xf bank_mask:0xf bound_ctrl:1
	s_waitcnt vmcnt(0)
	v_readfirstlane_b32 s49, v0
	s_delay_alu instid0(VALU_DEP_2) | instskip(NEXT) | instid1(VALU_DEP_2)
	v_mov_b32_dpp v0, v1 row_share:0 row_mask:0xf bank_mask:0xf bound_ctrl:1
	s_and_b32 s7, s49, 0xffff
	s_lshr_b32 s49, s49, 16
	s_mul_i32 s50, s46, s7
	s_delay_alu instid0(VALU_DEP_1) | instskip(SKIP_1) | instid1(SALU_CYCLE_1)
	v_permlanex16_b32 v1, v0, 0, 0 op_sel:[0,1]
	s_ashr_i32 s50, s50, 8
	s_mul_i32 s49, s50, s49
	s_delay_alu instid0(VALU_DEP_1) | instskip(SKIP_1) | instid1(SALU_CYCLE_1)
	v_or_b32_e32 v2, v1, v0
	s_add_i32 s49, s49, 31
	s_and_not1_b32 s49, s49, 31
	s_delay_alu instid0(SALU_CYCLE_1)
	s_cmp_eq_u32 s49, 32
	s_cbranch_scc1 .LBB3_111
; %bb.103:                              ;   in Loop: Header=BB3_20 Depth=1
	v_mad_u32_u24 v3, v25, s7, v45
	s_mov_b32 s7, exec_lo
	s_delay_alu instid0(VALU_DEP_1) | instskip(NEXT) | instid1(VALU_DEP_1)
	v_mad_u64_u32 v[0:1], null, v3, s40, v[26:27]
	v_lshrrev_b32_e32 v1, 5, v0
	s_delay_alu instid0(VALU_DEP_1) | instskip(NEXT) | instid1(VALU_DEP_1)
	v_or_b32_e32 v1, v54, v1
	v_cmpx_eq_u32_e32 0, v1
	s_cbranch_execz .LBB3_105
; %bb.104:                              ;   in Loop: Header=BB3_20 Depth=1
	ds_store_b32 v27, v2 offset:16640
.LBB3_105:                              ;   in Loop: Header=BB3_20 Depth=1
	s_or_b32 exec_lo, exec_lo, s7
	v_cmp_eq_u32_e32 vcc_lo, 0, v54
	v_cmp_lt_u32_e64 s7, 31, v0
	s_waitcnt lgkmcnt(0)
	s_barrier
	buffer_gl0_inv
	s_and_b32 s49, s7, vcc_lo
	s_delay_alu instid0(SALU_CYCLE_1)
	s_and_saveexec_b32 s7, s49
	s_cbranch_execz .LBB3_110
; %bb.106:                              ;   in Loop: Header=BB3_20 Depth=1
	s_mov_b32 s50, exec_lo
	s_mov_b32 s49, 0
.LBB3_107:                              ;   Parent Loop BB3_20 Depth=1
                                        ; =>  This Inner Loop Header: Depth=2
	s_ctz_i32_b32 s51, s50
	s_delay_alu instid0(SALU_CYCLE_1) | instskip(SKIP_1) | instid1(SALU_CYCLE_1)
	v_readlane_b32 s52, v2, s51
	s_lshl_b32 s51, 1, s51
	s_and_not1_b32 s50, s50, s51
	s_delay_alu instid0(VALU_DEP_1)
	s_or_b32 s49, s49, s52
	s_cmp_lg_u32 s50, 0
	s_cbranch_scc1 .LBB3_107
; %bb.108:                              ;   in Loop: Header=BB3_20 Depth=1
	v_mbcnt_lo_u32_b32 v0, exec_lo, 0
	s_mov_b32 s50, exec_lo
	s_delay_alu instid0(VALU_DEP_1)
	v_cmpx_eq_u32_e32 0, v0
	s_xor_b32 s50, exec_lo, s50
	s_cbranch_execz .LBB3_110
; %bb.109:                              ;   in Loop: Header=BB3_20 Depth=1
	v_mov_b32_e32 v0, s49
	ds_or_b32 v27, v0 offset:16640
.LBB3_110:                              ;   in Loop: Header=BB3_20 Depth=1
	s_or_b32 exec_lo, exec_lo, s7
	s_waitcnt lgkmcnt(0)
	s_barrier
	buffer_gl0_inv
	ds_load_b32 v2, v27 offset:16640
	s_waitcnt lgkmcnt(0)
	s_barrier
	buffer_gl0_inv
.LBB3_111:                              ;   in Loop: Header=BB3_20 Depth=1
	s_mov_b32 s7, exec_lo
	v_cmpx_ne_u32_e32 0, v2
	s_xor_b32 s7, exec_lo, s7
	s_cbranch_execz .LBB3_115
; %bb.112:                              ;   in Loop: Header=BB3_20 Depth=1
	s_and_saveexec_b32 s49, s3
	s_cbranch_execz .LBB3_114
; %bb.113:                              ;   in Loop: Header=BB3_20 Depth=1
	s_add_i32 s50, s27, 1
	v_dual_mov_b32 v0, s16 :: v_dual_mov_b32 v1, s17
	v_mov_b32_e32 v2, s50
	flat_store_b32 v[0:1], v2 offset:640
.LBB3_114:                              ;   in Loop: Header=BB3_20 Depth=1
	s_or_b32 exec_lo, exec_lo, s49
.LBB3_115:                              ;   in Loop: Header=BB3_20 Depth=1
	s_and_not1_saveexec_b32 s7, s7
	s_cbranch_execz .LBB3_121
; %bb.116:                              ;   in Loop: Header=BB3_20 Depth=1
	s_and_saveexec_b32 s49, s3
	s_cbranch_execz .LBB3_120
; %bb.117:                              ;   in Loop: Header=BB3_20 Depth=1
	v_dual_mov_b32 v0, s16 :: v_dual_mov_b32 v1, s17
	flat_load_b32 v0, v[0:1] offset:640 glc
	s_waitcnt vmcnt(0) lgkmcnt(0)
	buffer_gl1_inv
	buffer_gl0_inv
	v_cmp_ge_u32_e32 vcc_lo, s27, v0
	s_and_b32 exec_lo, exec_lo, vcc_lo
	s_cbranch_execz .LBB3_120
; %bb.118:                              ;   in Loop: Header=BB3_20 Depth=1
	s_mov_b32 s50, 0
.LBB3_119:                              ;   Parent Loop BB3_20 Depth=1
                                        ; =>  This Inner Loop Header: Depth=2
	v_dual_mov_b32 v0, s16 :: v_dual_mov_b32 v1, s17
	s_sleep 1
	flat_load_b32 v0, v[0:1] offset:640 glc
	s_waitcnt vmcnt(0) lgkmcnt(0)
	buffer_gl1_inv
	buffer_gl0_inv
	v_readfirstlane_b32 s51, v0
	s_delay_alu instid0(VALU_DEP_1) | instskip(SKIP_1) | instid1(SALU_CYCLE_1)
	s_cmp_gt_u32 s51, s27
	s_cselect_b32 s51, -1, 0
	s_and_b32 s51, exec_lo, s51
	s_delay_alu instid0(SALU_CYCLE_1) | instskip(NEXT) | instid1(SALU_CYCLE_1)
	s_or_b32 s50, s51, s50
	s_and_not1_b32 exec_lo, exec_lo, s50
	s_cbranch_execnz .LBB3_119
.LBB3_120:                              ;   in Loop: Header=BB3_20 Depth=1
	s_or_b32 exec_lo, exec_lo, s49
	s_waitcnt lgkmcnt(0)
	s_waitcnt_vscnt null, 0x0
	s_barrier
	buffer_gl0_inv
.LBB3_121:                              ;   in Loop: Header=BB3_20 Depth=1
	s_or_b32 exec_lo, exec_lo, s7
	v_dual_mov_b32 v0, v32 :: v_dual_mov_b32 v3, v26
	v_dual_mov_b32 v2, v28 :: v_dual_mov_b32 v1, v33
	s_mov_b32 s49, 0
.LBB3_122:                              ;   Parent Loop BB3_20 Depth=1
                                        ; =>  This Inner Loop Header: Depth=2
	global_load_b32 v4, v[0:1], off
	v_add_nc_u32_e32 v3, s40, v3
	v_add_co_u32 v0, vcc_lo, v0, s48
	v_add_co_ci_u32_e32 v1, vcc_lo, 0, v1, vcc_lo
	s_delay_alu instid0(VALU_DEP_3) | instskip(NEXT) | instid1(VALU_DEP_1)
	v_cmp_lt_u32_e64 s7, 0x7ff, v3
	s_or_b32 s49, s7, s49
	s_waitcnt vmcnt(0)
	ds_store_b32 v2, v4
	v_add_nc_u32_e32 v2, s48, v2
	s_and_not1_b32 exec_lo, exec_lo, s49
	s_cbranch_execnz .LBB3_122
; %bb.123:                              ;   in Loop: Header=BB3_20 Depth=1
	s_or_b32 exec_lo, exec_lo, s49
	s_waitcnt lgkmcnt(0)
	s_waitcnt_vscnt null, 0x0
	s_barrier
	buffer_gl0_inv
	flat_load_b32 v0, v[28:29] glc dlc
	s_waitcnt vmcnt(0)
	flat_load_b32 v1, v[30:31] glc dlc
	s_waitcnt vmcnt(0) lgkmcnt(1)
	ds_store_b32 v46, v0
	s_waitcnt lgkmcnt(1)
	ds_store_b32 v47, v1 offset:4096
	s_waitcnt lgkmcnt(0)
	s_barrier
	buffer_gl0_inv
	ds_load_2addr_b32 v[0:1], v48 offset1:1
	s_waitcnt lgkmcnt(0)
	s_barrier
	buffer_gl0_inv
	v_add_nc_u32_e32 v2, v1, v0
	ds_store_b32 v46, v2
	s_waitcnt lgkmcnt(0)
	s_barrier
	buffer_gl0_inv
	s_and_saveexec_b32 s7, s5
	s_cbranch_execz .LBB3_125
; %bb.124:                              ;   in Loop: Header=BB3_20 Depth=1
	ds_load_2addr_b32 v[3:4], v53 offset1:1
	ds_load_2addr_b32 v[5:6], v53 offset0:2 offset1:3
	ds_load_2addr_b32 v[7:8], v53 offset0:4 offset1:5
	;; [unrolled: 1-line block ×3, first 2 shown]
	v_and_b32_e32 v71, 15, v54
	ds_load_2addr_b32 v[35:36], v53 offset0:8 offset1:9
	ds_load_2addr_b32 v[37:38], v53 offset0:10 offset1:11
	;; [unrolled: 1-line block ×4, first 2 shown]
	v_cmp_ne_u32_e32 vcc_lo, 0, v71
	ds_load_2addr_b32 v[55:56], v53 offset0:16 offset1:17
	ds_load_2addr_b32 v[57:58], v53 offset0:18 offset1:19
	;; [unrolled: 1-line block ×8, first 2 shown]
	v_bfe_i32 v73, v54, 4, 1
	s_waitcnt lgkmcnt(15)
	v_add_nc_u32_e32 v11, v4, v3
	s_waitcnt lgkmcnt(14)
	s_delay_alu instid0(VALU_DEP_1) | instskip(SKIP_1) | instid1(VALU_DEP_1)
	v_add3_u32 v11, v11, v5, v6
	s_waitcnt lgkmcnt(13)
	v_add3_u32 v11, v11, v7, v8
	s_waitcnt lgkmcnt(12)
	s_delay_alu instid0(VALU_DEP_1) | instskip(SKIP_1) | instid1(VALU_DEP_1)
	v_add3_u32 v11, v11, v9, v10
	s_waitcnt lgkmcnt(11)
	v_add3_u32 v11, v11, v35, v36
	;; [unrolled: 5-line block ×7, first 2 shown]
	s_waitcnt lgkmcnt(0)
	s_delay_alu instid0(VALU_DEP_1) | instskip(NEXT) | instid1(VALU_DEP_1)
	v_add3_u32 v11, v11, v69, v70
	v_mov_b32_dpp v72, v11 row_shr:1 row_mask:0xf bank_mask:0xf
	s_delay_alu instid0(VALU_DEP_1) | instskip(SKIP_1) | instid1(VALU_DEP_2)
	v_cndmask_b32_e32 v72, 0, v72, vcc_lo
	v_cmp_lt_u32_e32 vcc_lo, 1, v71
	v_add_nc_u32_e32 v11, v72, v11
	s_delay_alu instid0(VALU_DEP_1) | instskip(NEXT) | instid1(VALU_DEP_1)
	v_mov_b32_dpp v72, v11 row_shr:2 row_mask:0xf bank_mask:0xf
	v_cndmask_b32_e32 v72, 0, v72, vcc_lo
	v_cmp_lt_u32_e32 vcc_lo, 3, v71
	s_delay_alu instid0(VALU_DEP_2) | instskip(NEXT) | instid1(VALU_DEP_1)
	v_add_nc_u32_e32 v11, v11, v72
	v_mov_b32_dpp v72, v11 row_shr:4 row_mask:0xf bank_mask:0xf
	s_delay_alu instid0(VALU_DEP_1) | instskip(SKIP_1) | instid1(VALU_DEP_2)
	v_cndmask_b32_e32 v72, 0, v72, vcc_lo
	v_cmp_lt_u32_e32 vcc_lo, 7, v71
	v_add_nc_u32_e32 v11, v11, v72
	s_delay_alu instid0(VALU_DEP_1) | instskip(NEXT) | instid1(VALU_DEP_1)
	v_mov_b32_dpp v72, v11 row_shr:8 row_mask:0xf bank_mask:0xf
	v_dual_cndmask_b32 v71, 0, v72 :: v_dual_add_nc_u32 v72, -1, v54
	s_delay_alu instid0(VALU_DEP_1) | instskip(NEXT) | instid1(VALU_DEP_2)
	v_add_nc_u32_e32 v11, v11, v71
	v_cmp_gt_i32_e32 vcc_lo, 0, v72
	ds_swizzle_b32 v71, v11 offset:swizzle(BROADCAST,32,15)
	v_cndmask_b32_e32 v72, v72, v54, vcc_lo
	s_delay_alu instid0(VALU_DEP_1) | instskip(SKIP_2) | instid1(VALU_DEP_1)
	v_lshlrev_b32_e32 v72, 2, v72
	s_waitcnt lgkmcnt(0)
	v_and_b32_e32 v71, v73, v71
	v_add_nc_u32_e32 v11, v11, v71
	ds_bpermute_b32 v11, v72, v11
	s_waitcnt lgkmcnt(0)
	v_add_nc_u32_e32 v3, v11, v3
	s_delay_alu instid0(VALU_DEP_1) | instskip(NEXT) | instid1(VALU_DEP_1)
	v_cndmask_b32_e64 v2, v3, v2, s3
	v_add_nc_u32_e32 v3, v2, v4
	s_delay_alu instid0(VALU_DEP_1) | instskip(NEXT) | instid1(VALU_DEP_1)
	v_add_nc_u32_e32 v4, v3, v5
	v_add_nc_u32_e32 v5, v4, v6
	s_delay_alu instid0(VALU_DEP_1) | instskip(NEXT) | instid1(VALU_DEP_1)
	v_add_nc_u32_e32 v6, v5, v7
	;; [unrolled: 3-line block ×3, first 2 shown]
	v_add_nc_u32_e32 v9, v8, v10
	ds_store_2addr_b32 v53, v2, v3 offset1:1
	ds_store_2addr_b32 v53, v4, v5 offset0:2 offset1:3
	ds_store_2addr_b32 v53, v6, v7 offset0:4 offset1:5
	;; [unrolled: 1-line block ×3, first 2 shown]
	v_add_nc_u32_e32 v10, v9, v35
	s_delay_alu instid0(VALU_DEP_1) | instskip(NEXT) | instid1(VALU_DEP_1)
	v_add_nc_u32_e32 v11, v10, v36
	v_add_nc_u32_e32 v35, v11, v37
	s_delay_alu instid0(VALU_DEP_1) | instskip(NEXT) | instid1(VALU_DEP_1)
	v_add_nc_u32_e32 v36, v35, v38
	;; [unrolled: 3-line block ×3, first 2 shown]
	v_add_nc_u32_e32 v39, v38, v41
	s_delay_alu instid0(VALU_DEP_1)
	v_add_nc_u32_e32 v40, v39, v42
	ds_store_2addr_b32 v53, v10, v11 offset0:8 offset1:9
	ds_store_2addr_b32 v53, v35, v36 offset0:10 offset1:11
	;; [unrolled: 1-line block ×4, first 2 shown]
	v_add_nc_u32_e32 v41, v40, v55
	s_delay_alu instid0(VALU_DEP_1) | instskip(NEXT) | instid1(VALU_DEP_1)
	v_add_nc_u32_e32 v42, v41, v56
	v_add_nc_u32_e32 v55, v42, v57
	s_delay_alu instid0(VALU_DEP_1) | instskip(NEXT) | instid1(VALU_DEP_1)
	v_add_nc_u32_e32 v56, v55, v58
	;; [unrolled: 3-line block ×7, first 2 shown]
	v_add_nc_u32_e32 v2, v66, v69
	s_delay_alu instid0(VALU_DEP_1)
	v_add_nc_u32_e32 v3, v2, v70
	ds_store_2addr_b32 v53, v41, v42 offset0:16 offset1:17
	ds_store_2addr_b32 v53, v55, v56 offset0:18 offset1:19
	;; [unrolled: 1-line block ×8, first 2 shown]
.LBB3_125:                              ;   in Loop: Header=BB3_20 Depth=1
	s_or_b32 exec_lo, exec_lo, s7
	v_mov_b32_e32 v2, 0
	s_waitcnt lgkmcnt(0)
	s_barrier
	buffer_gl0_inv
	s_and_saveexec_b32 s7, s2
	s_cbranch_execz .LBB3_127
; %bb.126:                              ;   in Loop: Header=BB3_20 Depth=1
	ds_load_b32 v2, v49
.LBB3_127:                              ;   in Loop: Header=BB3_20 Depth=1
	s_or_b32 exec_lo, exec_lo, s7
	s_waitcnt lgkmcnt(0)
	v_add_nc_u32_e32 v0, v2, v0
	s_barrier
	buffer_gl0_inv
	v_mov_b32_e32 v3, v50
	v_dual_mov_b32 v4, v26 :: v_dual_add_nc_u32 v1, v0, v1
	s_mov_b32 s49, 0
	ds_store_2addr_b32 v48, v0, v1 offset1:1
	s_waitcnt lgkmcnt(0)
	s_barrier
	buffer_gl0_inv
	ds_load_b32 v0, v46
	ds_load_b32 v1, v47 offset:4096
	s_waitcnt lgkmcnt(1)
	flat_store_b32 v[28:29], v0 dlc
	s_waitcnt_vscnt null, 0x0
	s_waitcnt lgkmcnt(1)
	flat_store_b32 v[30:31], v1 dlc
	s_waitcnt_vscnt null, 0x0
	s_waitcnt lgkmcnt(0)
	s_barrier
	buffer_gl0_inv
	ds_load_b32 v0, v27 offset:16896
	s_set_inst_prefetch_distance 0x1
	s_branch .LBB3_129
	.p2align	6
.LBB3_128:                              ;   in Loop: Header=BB3_129 Depth=2
	s_or_b32 exec_lo, exec_lo, s7
	v_add_nc_u32_e32 v4, s40, v4
	v_add_nc_u32_e32 v3, s48, v3
	s_delay_alu instid0(VALU_DEP_2) | instskip(SKIP_1) | instid1(SALU_CYCLE_1)
	v_cmp_lt_u32_e32 vcc_lo, 0x7ff, v4
	s_or_b32 s49, vcc_lo, s49
	s_and_not1_b32 exec_lo, exec_lo, s49
	s_cbranch_execz .LBB3_133
.LBB3_129:                              ;   Parent Loop BB3_20 Depth=1
                                        ; =>  This Inner Loop Header: Depth=2
	v_mov_b32_e32 v2, 0
	s_mov_b32 s7, exec_lo
	v_cmpx_ne_u32_e32 0, v4
	s_cbranch_execz .LBB3_131
; %bb.130:                              ;   in Loop: Header=BB3_129 Depth=2
	ds_load_b32 v2, v3
.LBB3_131:                              ;   in Loop: Header=BB3_129 Depth=2
	s_or_b32 exec_lo, exec_lo, s7
	ds_load_b32 v5, v3 offset:4
	s_waitcnt lgkmcnt(1)
	v_cmp_gt_i32_e32 vcc_lo, v34, v2
	s_waitcnt lgkmcnt(0)
	v_cmp_ge_i32_e64 s7, v5, v34
	s_delay_alu instid0(VALU_DEP_1) | instskip(NEXT) | instid1(SALU_CYCLE_1)
	s_and_b32 s50, vcc_lo, s7
	s_and_saveexec_b32 s7, s50
	s_cbranch_execz .LBB3_128
; %bb.132:                              ;   in Loop: Header=BB3_129 Depth=2
	v_sub_nc_u32_e32 v1, v34, v2
	v_sub_nc_u32_e32 v2, v5, v2
	v_lshl_or_b32 v0, v4, s29, v0
	ds_store_b96 v27, v[0:2] offset:16896
	s_branch .LBB3_128
.LBB3_133:                              ;   in Loop: Header=BB3_20 Depth=1
	s_set_inst_prefetch_distance 0x2
	s_or_b32 exec_lo, exec_lo, s49
	s_cmp_eq_u32 s27, 2
	s_waitcnt lgkmcnt(0)
	s_barrier
	buffer_gl0_inv
	s_cbranch_scc0 .LBB3_618
; %bb.134:                              ;   in Loop: Header=BB3_20 Depth=1
	ds_load_b64 v[34:35], v27 offset:16896
	s_and_saveexec_b32 s7, s6
	s_cbranch_execz .LBB3_136
; %bb.135:                              ;   in Loop: Header=BB3_20 Depth=1
	s_waitcnt lgkmcnt(0)
	s_clause 0x1
	global_store_b32 v27, v35, s[16:17]
	global_store_b32 v27, v34, s[16:17] offset:12
.LBB3_136:                              ;   in Loop: Header=BB3_20 Depth=1
	s_or_b32 exec_lo, exec_lo, s7
	v_mov_b32_e32 v36, v24
	s_and_saveexec_b32 s7, s4
	s_cbranch_execz .LBB3_492
; %bb.137:                              ;   in Loop: Header=BB3_20 Depth=1
	v_dual_mov_b32 v39, v23 :: v_dual_mov_b32 v38, v22
	v_dual_mov_b32 v37, v21 :: v_dual_mov_b32 v36, v20
	s_mov_b32 s29, 0
	s_branch .LBB3_139
.LBB3_138:                              ;   in Loop: Header=BB3_139 Depth=2
	s_or_b32 exec_lo, exec_lo, s49
	v_add_nc_u32_e32 v36, s31, v36
	s_delay_alu instid0(VALU_DEP_1) | instskip(SKIP_1) | instid1(VALU_DEP_2)
	v_ashrrev_i32_e32 v37, 31, v36
	v_add_co_u32 v38, vcc_lo, s38, v36
	v_add_co_ci_u32_e32 v39, vcc_lo, s37, v37, vcc_lo
	s_delay_alu instid0(VALU_DEP_1) | instskip(SKIP_1) | instid1(SALU_CYCLE_1)
	v_cmp_le_u64_e32 vcc_lo, s[18:19], v[38:39]
	s_or_b32 s29, vcc_lo, s29
	s_and_not1_b32 exec_lo, exec_lo, s29
	s_cbranch_execz .LBB3_491
.LBB3_139:                              ;   Parent Loop BB3_20 Depth=1
                                        ; =>  This Inner Loop Header: Depth=2
	s_delay_alu instid0(VALU_DEP_1) | instskip(SKIP_2) | instid1(VALU_DEP_1)
	v_lshlrev_b64 v[0:1], 4, v[36:37]
	s_mov_b32 s50, 0
	s_mov_b32 s49, exec_lo
                                        ; implicit-def: $vgpr40
	v_add_co_u32 v4, vcc_lo, s12, v0
	s_delay_alu instid0(VALU_DEP_2) | instskip(NEXT) | instid1(VALU_DEP_2)
	v_add_co_ci_u32_e32 v5, vcc_lo, s26, v1, vcc_lo
	v_add_co_u32 v8, vcc_lo, v4, s22
	global_load_b128 v[0:3], v[4:5], off
	v_add_co_ci_u32_e32 v9, vcc_lo, s23, v5, vcc_lo
	global_load_b128 v[4:7], v[8:9], off
	s_waitcnt vmcnt(1)
	v_cmp_gt_i32_e32 vcc_lo, 0, v0
	v_cndmask_b32_e64 v10, 0x7fffffff, 0, vcc_lo
	s_delay_alu instid0(VALU_DEP_1) | instskip(SKIP_2) | instid1(VALU_DEP_2)
	v_xor_b32_e32 v11, v10, v0
	v_lshl_add_u32 v10, v36, 2, s20
                                        ; implicit-def: $vgpr0
	s_waitcnt lgkmcnt(0)
	v_cmpx_ge_u32_e64 v11, v34
	s_xor_b32 s49, exec_lo, s49
	s_cbranch_execz .LBB3_146
; %bb.140:                              ;   in Loop: Header=BB3_139 Depth=2
	s_mov_b32 s51, 0
	s_mov_b32 s50, exec_lo
                                        ; implicit-def: $vgpr0
                                        ; implicit-def: $vgpr40
	v_cmpx_eq_u32_e64 v11, v34
	s_cbranch_execz .LBB3_158
; %bb.141:                              ;   in Loop: Header=BB3_139 Depth=2
	s_mov_b32 s52, exec_lo
	s_mov_b32 s51, exec_lo
	v_mbcnt_lo_u32_b32 v0, s52, 0
                                        ; implicit-def: $vgpr11
	s_delay_alu instid0(VALU_DEP_1)
	v_cmpx_eq_u32_e32 0, v0
	s_cbranch_execz .LBB3_143
; %bb.142:                              ;   in Loop: Header=BB3_139 Depth=2
	s_bcnt1_i32_b32 s52, s52
	s_delay_alu instid0(SALU_CYCLE_1)
	v_mov_b32_e32 v11, s52
	global_atomic_add_u32 v11, v27, v11, s[16:17] offset:512 glc
.LBB3_143:                              ;   in Loop: Header=BB3_139 Depth=2
	s_or_b32 exec_lo, exec_lo, s51
	s_waitcnt vmcnt(0)
	v_readfirstlane_b32 s51, v11
	s_mov_b32 s52, 0
                                        ; implicit-def: $vgpr40
	s_delay_alu instid0(VALU_DEP_1) | instskip(SKIP_1) | instid1(VALU_DEP_1)
	v_add_nc_u32_e32 v11, s51, v0
	s_mov_b32 s51, exec_lo
                                        ; implicit-def: $vgpr0
	v_cmpx_lt_i32_e64 v11, v35
	s_xor_b32 s51, exec_lo, s51
	s_cbranch_execz .LBB3_157
; %bb.144:                              ;   in Loop: Header=BB3_139 Depth=2
	v_xad_u32 v40, v11, -1, s39
	s_and_not1_b32 vcc_lo, exec_lo, s9
	s_cbranch_vccnz .LBB3_154
; %bb.145:                              ;   in Loop: Header=BB3_139 Depth=2
	v_ashrrev_i32_e32 v11, 31, v10
	s_delay_alu instid0(VALU_DEP_1) | instskip(NEXT) | instid1(VALU_DEP_1)
	v_lshlrev_b64 v[41:42], 2, v[10:11]
	v_add_co_u32 v41, vcc_lo, s10, v41
	s_delay_alu instid0(VALU_DEP_2)
	v_add_co_ci_u32_e32 v42, vcc_lo, s11, v42, vcc_lo
	global_load_b32 v0, v[41:42], off
	s_and_not1_b32 vcc_lo, exec_lo, s52
	s_cbranch_vccz .LBB3_155
	s_branch .LBB3_156
.LBB3_146:                              ;   in Loop: Header=BB3_139 Depth=2
	s_and_not1_saveexec_b32 s49, s49
	s_cbranch_execz .LBB3_159
.LBB3_147:                              ;   in Loop: Header=BB3_139 Depth=2
	s_mov_b32 s52, exec_lo
	s_mov_b32 s51, exec_lo
	s_waitcnt vmcnt(0)
	v_mbcnt_lo_u32_b32 v0, s52, 0
                                        ; implicit-def: $vgpr11
	s_delay_alu instid0(VALU_DEP_1)
	v_cmpx_eq_u32_e32 0, v0
	s_cbranch_execz .LBB3_149
; %bb.148:                              ;   in Loop: Header=BB3_139 Depth=2
	s_bcnt1_i32_b32 s52, s52
	s_delay_alu instid0(SALU_CYCLE_1)
	v_mov_b32_e32 v11, s52
	global_atomic_add_u32 v11, v27, v11, s[16:17] offset:384 glc
.LBB3_149:                              ;   in Loop: Header=BB3_139 Depth=2
	s_or_b32 exec_lo, exec_lo, s51
	s_waitcnt vmcnt(0)
	v_readfirstlane_b32 s51, v11
	s_and_not1_b32 vcc_lo, exec_lo, s9
	s_delay_alu instid0(VALU_DEP_1)
	v_add_nc_u32_e32 v40, s51, v0
	s_cbranch_vccnz .LBB3_151
; %bb.150:                              ;   in Loop: Header=BB3_139 Depth=2
	v_ashrrev_i32_e32 v11, 31, v10
	s_delay_alu instid0(VALU_DEP_1) | instskip(NEXT) | instid1(VALU_DEP_1)
	v_lshlrev_b64 v[41:42], 2, v[10:11]
	v_add_co_u32 v41, vcc_lo, s10, v41
	s_delay_alu instid0(VALU_DEP_2)
	v_add_co_ci_u32_e32 v42, vcc_lo, s11, v42, vcc_lo
	global_load_b32 v0, v[41:42], off
	s_cbranch_execz .LBB3_152
	s_branch .LBB3_153
.LBB3_151:                              ;   in Loop: Header=BB3_139 Depth=2
                                        ; implicit-def: $vgpr0
.LBB3_152:                              ;   in Loop: Header=BB3_139 Depth=2
	s_waitcnt vmcnt(0)
	v_add_nc_u32_e32 v0, s13, v10
.LBB3_153:                              ;   in Loop: Header=BB3_139 Depth=2
	s_or_b32 s50, s50, exec_lo
	s_or_b32 exec_lo, exec_lo, s49
	s_and_saveexec_b32 s49, s50
	s_cbranch_execnz .LBB3_160
	s_branch .LBB3_161
.LBB3_154:                              ;   in Loop: Header=BB3_139 Depth=2
                                        ; implicit-def: $vgpr0
.LBB3_155:                              ;   in Loop: Header=BB3_139 Depth=2
	s_waitcnt vmcnt(0)
	v_add_nc_u32_e32 v0, s13, v10
.LBB3_156:                              ;   in Loop: Header=BB3_139 Depth=2
	s_mov_b32 s52, exec_lo
.LBB3_157:                              ;   in Loop: Header=BB3_139 Depth=2
	s_or_b32 exec_lo, exec_lo, s51
	s_delay_alu instid0(SALU_CYCLE_1)
	s_and_b32 s51, s52, exec_lo
.LBB3_158:                              ;   in Loop: Header=BB3_139 Depth=2
	s_or_b32 exec_lo, exec_lo, s50
	s_delay_alu instid0(SALU_CYCLE_1)
	s_and_b32 s50, s51, exec_lo
	s_and_not1_saveexec_b32 s49, s49
	s_cbranch_execnz .LBB3_147
.LBB3_159:                              ;   in Loop: Header=BB3_139 Depth=2
	s_or_b32 exec_lo, exec_lo, s49
	s_and_saveexec_b32 s49, s50
	s_cbranch_execz .LBB3_161
.LBB3_160:                              ;   in Loop: Header=BB3_139 Depth=2
	v_ashrrev_i32_e32 v41, 31, v40
	s_delay_alu instid0(VALU_DEP_1) | instskip(NEXT) | instid1(VALU_DEP_1)
	v_lshlrev_b64 v[40:41], 2, v[40:41]
	v_add_co_u32 v40, vcc_lo, s15, v40
	s_delay_alu instid0(VALU_DEP_2)
	v_add_co_ci_u32_e32 v41, vcc_lo, s30, v41, vcc_lo
	s_waitcnt vmcnt(0)
	global_store_b32 v[40:41], v0, off
.LBB3_161:                              ;   in Loop: Header=BB3_139 Depth=2
	s_or_b32 exec_lo, exec_lo, s49
	v_cmp_gt_i32_e32 vcc_lo, 0, v1
	s_mov_b32 s50, 0
	s_mov_b32 s49, exec_lo
                                        ; implicit-def: $vgpr11
	s_waitcnt vmcnt(0)
	v_cndmask_b32_e64 v0, 0x7fffffff, 0, vcc_lo
	s_delay_alu instid0(VALU_DEP_1) | instskip(SKIP_1) | instid1(VALU_DEP_2)
	v_xor_b32_e32 v37, v0, v1
	v_add_nc_u32_e32 v1, 1, v10
                                        ; implicit-def: $vgpr0
	v_cmpx_ge_u32_e64 v37, v34
	s_xor_b32 s49, exec_lo, s49
	s_cbranch_execz .LBB3_168
; %bb.162:                              ;   in Loop: Header=BB3_139 Depth=2
	s_mov_b32 s51, 0
	s_mov_b32 s50, exec_lo
                                        ; implicit-def: $vgpr11
                                        ; implicit-def: $vgpr0
	v_cmpx_eq_u32_e64 v37, v34
	s_cbranch_execz .LBB3_180
; %bb.163:                              ;   in Loop: Header=BB3_139 Depth=2
	s_mov_b32 s52, exec_lo
	s_mov_b32 s51, exec_lo
	v_mbcnt_lo_u32_b32 v0, s52, 0
                                        ; implicit-def: $vgpr11
	s_delay_alu instid0(VALU_DEP_1)
	v_cmpx_eq_u32_e32 0, v0
	s_cbranch_execz .LBB3_165
; %bb.164:                              ;   in Loop: Header=BB3_139 Depth=2
	s_bcnt1_i32_b32 s52, s52
	s_delay_alu instid0(SALU_CYCLE_1)
	v_mov_b32_e32 v11, s52
	global_atomic_add_u32 v11, v27, v11, s[16:17] offset:512 glc
.LBB3_165:                              ;   in Loop: Header=BB3_139 Depth=2
	s_or_b32 exec_lo, exec_lo, s51
	s_waitcnt vmcnt(0)
	v_readfirstlane_b32 s51, v11
	s_mov_b32 s52, 0
                                        ; implicit-def: $vgpr11
	s_delay_alu instid0(VALU_DEP_1) | instskip(SKIP_1) | instid1(VALU_DEP_1)
	v_add_nc_u32_e32 v37, s51, v0
	s_mov_b32 s51, exec_lo
                                        ; implicit-def: $vgpr0
	v_cmpx_lt_i32_e64 v37, v35
	s_cbranch_execz .LBB3_179
; %bb.166:                              ;   in Loop: Header=BB3_139 Depth=2
	v_xad_u32 v0, v37, -1, s39
	s_and_not1_b32 vcc_lo, exec_lo, s9
	s_cbranch_vccnz .LBB3_176
; %bb.167:                              ;   in Loop: Header=BB3_139 Depth=2
	v_ashrrev_i32_e32 v11, 31, v10
	s_delay_alu instid0(VALU_DEP_1) | instskip(NEXT) | instid1(VALU_DEP_1)
	v_lshlrev_b64 v[40:41], 2, v[10:11]
	v_add_co_u32 v40, vcc_lo, s14, v40
	s_delay_alu instid0(VALU_DEP_2)
	v_add_co_ci_u32_e32 v41, vcc_lo, s21, v41, vcc_lo
	global_load_b32 v11, v[40:41], off
	s_and_not1_b32 vcc_lo, exec_lo, s52
	s_cbranch_vccz .LBB3_177
	s_branch .LBB3_178
.LBB3_168:                              ;   in Loop: Header=BB3_139 Depth=2
	s_and_not1_saveexec_b32 s49, s49
	s_cbranch_execz .LBB3_181
.LBB3_169:                              ;   in Loop: Header=BB3_139 Depth=2
	s_mov_b32 s52, exec_lo
	s_mov_b32 s51, exec_lo
	v_mbcnt_lo_u32_b32 v0, s52, 0
                                        ; implicit-def: $vgpr11
	s_delay_alu instid0(VALU_DEP_1)
	v_cmpx_eq_u32_e32 0, v0
	s_cbranch_execz .LBB3_171
; %bb.170:                              ;   in Loop: Header=BB3_139 Depth=2
	s_bcnt1_i32_b32 s52, s52
	s_waitcnt vmcnt(0)
	v_mov_b32_e32 v11, s52
	global_atomic_add_u32 v11, v27, v11, s[16:17] offset:384 glc
.LBB3_171:                              ;   in Loop: Header=BB3_139 Depth=2
	s_or_b32 exec_lo, exec_lo, s51
	s_waitcnt vmcnt(0)
	v_readfirstlane_b32 s51, v11
	s_and_not1_b32 vcc_lo, exec_lo, s9
	s_delay_alu instid0(VALU_DEP_1)
	v_add_nc_u32_e32 v0, s51, v0
	s_cbranch_vccnz .LBB3_173
; %bb.172:                              ;   in Loop: Header=BB3_139 Depth=2
	v_ashrrev_i32_e32 v11, 31, v10
	s_delay_alu instid0(VALU_DEP_1) | instskip(NEXT) | instid1(VALU_DEP_1)
	v_lshlrev_b64 v[40:41], 2, v[10:11]
	v_add_co_u32 v40, vcc_lo, s14, v40
	s_delay_alu instid0(VALU_DEP_2)
	v_add_co_ci_u32_e32 v41, vcc_lo, s21, v41, vcc_lo
	global_load_b32 v11, v[40:41], off
	s_cbranch_execz .LBB3_174
	s_branch .LBB3_175
.LBB3_173:                              ;   in Loop: Header=BB3_139 Depth=2
                                        ; implicit-def: $vgpr11
.LBB3_174:                              ;   in Loop: Header=BB3_139 Depth=2
	s_waitcnt vmcnt(0)
	v_add_nc_u32_e32 v11, s13, v1
.LBB3_175:                              ;   in Loop: Header=BB3_139 Depth=2
	s_or_b32 s50, s50, exec_lo
	s_or_b32 exec_lo, exec_lo, s49
	s_and_saveexec_b32 s49, s50
	s_cbranch_execnz .LBB3_182
	s_branch .LBB3_183
.LBB3_176:                              ;   in Loop: Header=BB3_139 Depth=2
                                        ; implicit-def: $vgpr11
.LBB3_177:                              ;   in Loop: Header=BB3_139 Depth=2
	s_waitcnt vmcnt(0)
	v_add_nc_u32_e32 v11, s13, v1
.LBB3_178:                              ;   in Loop: Header=BB3_139 Depth=2
	s_mov_b32 s52, exec_lo
.LBB3_179:                              ;   in Loop: Header=BB3_139 Depth=2
	s_or_b32 exec_lo, exec_lo, s51
	s_delay_alu instid0(SALU_CYCLE_1)
	s_and_b32 s51, s52, exec_lo
.LBB3_180:                              ;   in Loop: Header=BB3_139 Depth=2
	s_or_b32 exec_lo, exec_lo, s50
	s_delay_alu instid0(SALU_CYCLE_1)
	s_and_b32 s50, s51, exec_lo
                                        ; implicit-def: $vgpr1
	s_and_not1_saveexec_b32 s49, s49
	s_cbranch_execnz .LBB3_169
.LBB3_181:                              ;   in Loop: Header=BB3_139 Depth=2
	s_or_b32 exec_lo, exec_lo, s49
	s_and_saveexec_b32 s49, s50
	s_cbranch_execz .LBB3_183
.LBB3_182:                              ;   in Loop: Header=BB3_139 Depth=2
	v_ashrrev_i32_e32 v1, 31, v0
	s_delay_alu instid0(VALU_DEP_1) | instskip(NEXT) | instid1(VALU_DEP_1)
	v_lshlrev_b64 v[0:1], 2, v[0:1]
	v_add_co_u32 v0, vcc_lo, s15, v0
	s_delay_alu instid0(VALU_DEP_2)
	v_add_co_ci_u32_e32 v1, vcc_lo, s30, v1, vcc_lo
	s_waitcnt vmcnt(0)
	global_store_b32 v[0:1], v11, off
.LBB3_183:                              ;   in Loop: Header=BB3_139 Depth=2
	s_or_b32 exec_lo, exec_lo, s49
	v_cmp_gt_i32_e32 vcc_lo, 0, v2
	v_add_nc_u32_e32 v1, 2, v10
	s_mov_b32 s50, 0
	s_mov_b32 s49, exec_lo
	v_cndmask_b32_e64 v0, 0x7fffffff, 0, vcc_lo
	s_waitcnt vmcnt(0)
	s_delay_alu instid0(VALU_DEP_1) | instskip(NEXT) | instid1(VALU_DEP_1)
	v_xor_b32_e32 v11, v0, v2
                                        ; implicit-def: $vgpr2
                                        ; implicit-def: $vgpr0
	v_cmpx_ge_u32_e64 v11, v34
	s_xor_b32 s49, exec_lo, s49
	s_cbranch_execz .LBB3_190
; %bb.184:                              ;   in Loop: Header=BB3_139 Depth=2
	s_mov_b32 s51, 0
	s_mov_b32 s50, exec_lo
                                        ; implicit-def: $vgpr2
                                        ; implicit-def: $vgpr0
	v_cmpx_eq_u32_e64 v11, v34
	s_cbranch_execz .LBB3_202
; %bb.185:                              ;   in Loop: Header=BB3_139 Depth=2
	s_mov_b32 s52, exec_lo
	s_mov_b32 s51, exec_lo
	v_mbcnt_lo_u32_b32 v0, s52, 0
                                        ; implicit-def: $vgpr2
	s_delay_alu instid0(VALU_DEP_1)
	v_cmpx_eq_u32_e32 0, v0
	s_cbranch_execz .LBB3_187
; %bb.186:                              ;   in Loop: Header=BB3_139 Depth=2
	s_bcnt1_i32_b32 s52, s52
	s_delay_alu instid0(SALU_CYCLE_1)
	v_mov_b32_e32 v2, s52
	global_atomic_add_u32 v2, v27, v2, s[16:17] offset:512 glc
.LBB3_187:                              ;   in Loop: Header=BB3_139 Depth=2
	s_or_b32 exec_lo, exec_lo, s51
	s_waitcnt vmcnt(0)
	v_readfirstlane_b32 s51, v2
	s_mov_b32 s52, 0
                                        ; implicit-def: $vgpr2
	s_delay_alu instid0(VALU_DEP_1) | instskip(SKIP_1) | instid1(VALU_DEP_1)
	v_add_nc_u32_e32 v11, s51, v0
	s_mov_b32 s51, exec_lo
                                        ; implicit-def: $vgpr0
	v_cmpx_lt_i32_e64 v11, v35
	s_cbranch_execz .LBB3_201
; %bb.188:                              ;   in Loop: Header=BB3_139 Depth=2
	v_xad_u32 v0, v11, -1, s39
	s_and_not1_b32 vcc_lo, exec_lo, s9
	s_cbranch_vccnz .LBB3_198
; %bb.189:                              ;   in Loop: Header=BB3_139 Depth=2
	v_ashrrev_i32_e32 v11, 31, v10
	s_delay_alu instid0(VALU_DEP_1) | instskip(NEXT) | instid1(VALU_DEP_1)
	v_lshlrev_b64 v[40:41], 2, v[10:11]
	v_add_co_u32 v40, vcc_lo, s33, v40
	s_delay_alu instid0(VALU_DEP_2)
	v_add_co_ci_u32_e32 v41, vcc_lo, s34, v41, vcc_lo
	global_load_b32 v2, v[40:41], off
	s_and_not1_b32 vcc_lo, exec_lo, s52
	s_cbranch_vccz .LBB3_199
	s_branch .LBB3_200
.LBB3_190:                              ;   in Loop: Header=BB3_139 Depth=2
	s_and_not1_saveexec_b32 s49, s49
	s_cbranch_execz .LBB3_203
.LBB3_191:                              ;   in Loop: Header=BB3_139 Depth=2
	s_mov_b32 s52, exec_lo
	s_mov_b32 s51, exec_lo
	v_mbcnt_lo_u32_b32 v0, s52, 0
                                        ; implicit-def: $vgpr2
	s_delay_alu instid0(VALU_DEP_1)
	v_cmpx_eq_u32_e32 0, v0
	s_cbranch_execz .LBB3_193
; %bb.192:                              ;   in Loop: Header=BB3_139 Depth=2
	s_bcnt1_i32_b32 s52, s52
	s_waitcnt vmcnt(0)
	v_mov_b32_e32 v2, s52
	global_atomic_add_u32 v2, v27, v2, s[16:17] offset:384 glc
.LBB3_193:                              ;   in Loop: Header=BB3_139 Depth=2
	s_or_b32 exec_lo, exec_lo, s51
	s_waitcnt vmcnt(0)
	v_readfirstlane_b32 s51, v2
	s_and_not1_b32 vcc_lo, exec_lo, s9
	s_delay_alu instid0(VALU_DEP_1)
	v_add_nc_u32_e32 v0, s51, v0
	s_cbranch_vccnz .LBB3_195
; %bb.194:                              ;   in Loop: Header=BB3_139 Depth=2
	v_ashrrev_i32_e32 v11, 31, v10
	s_delay_alu instid0(VALU_DEP_1) | instskip(NEXT) | instid1(VALU_DEP_1)
	v_lshlrev_b64 v[40:41], 2, v[10:11]
	v_add_co_u32 v40, vcc_lo, s33, v40
	s_delay_alu instid0(VALU_DEP_2)
	v_add_co_ci_u32_e32 v41, vcc_lo, s34, v41, vcc_lo
	global_load_b32 v2, v[40:41], off
	s_cbranch_execz .LBB3_196
	s_branch .LBB3_197
.LBB3_195:                              ;   in Loop: Header=BB3_139 Depth=2
                                        ; implicit-def: $vgpr2
.LBB3_196:                              ;   in Loop: Header=BB3_139 Depth=2
	s_waitcnt vmcnt(0)
	v_add_nc_u32_e32 v2, s13, v1
.LBB3_197:                              ;   in Loop: Header=BB3_139 Depth=2
	s_or_b32 s50, s50, exec_lo
	s_or_b32 exec_lo, exec_lo, s49
	s_and_saveexec_b32 s49, s50
	s_cbranch_execnz .LBB3_204
	s_branch .LBB3_205
.LBB3_198:                              ;   in Loop: Header=BB3_139 Depth=2
                                        ; implicit-def: $vgpr2
.LBB3_199:                              ;   in Loop: Header=BB3_139 Depth=2
	s_waitcnt vmcnt(0)
	v_add_nc_u32_e32 v2, s13, v1
.LBB3_200:                              ;   in Loop: Header=BB3_139 Depth=2
	s_mov_b32 s52, exec_lo
.LBB3_201:                              ;   in Loop: Header=BB3_139 Depth=2
	s_or_b32 exec_lo, exec_lo, s51
	s_delay_alu instid0(SALU_CYCLE_1)
	s_and_b32 s51, s52, exec_lo
.LBB3_202:                              ;   in Loop: Header=BB3_139 Depth=2
	s_or_b32 exec_lo, exec_lo, s50
	s_delay_alu instid0(SALU_CYCLE_1)
	s_and_b32 s50, s51, exec_lo
                                        ; implicit-def: $vgpr1
	s_and_not1_saveexec_b32 s49, s49
	s_cbranch_execnz .LBB3_191
.LBB3_203:                              ;   in Loop: Header=BB3_139 Depth=2
	s_or_b32 exec_lo, exec_lo, s49
	s_and_saveexec_b32 s49, s50
	s_cbranch_execz .LBB3_205
.LBB3_204:                              ;   in Loop: Header=BB3_139 Depth=2
	v_ashrrev_i32_e32 v1, 31, v0
	s_delay_alu instid0(VALU_DEP_1) | instskip(NEXT) | instid1(VALU_DEP_1)
	v_lshlrev_b64 v[0:1], 2, v[0:1]
	v_add_co_u32 v0, vcc_lo, s15, v0
	s_delay_alu instid0(VALU_DEP_2)
	v_add_co_ci_u32_e32 v1, vcc_lo, s30, v1, vcc_lo
	s_waitcnt vmcnt(0)
	global_store_b32 v[0:1], v2, off
.LBB3_205:                              ;   in Loop: Header=BB3_139 Depth=2
	s_or_b32 exec_lo, exec_lo, s49
	v_cmp_gt_i32_e32 vcc_lo, 0, v3
	v_add_nc_u32_e32 v1, 3, v10
	s_mov_b32 s50, 0
	s_mov_b32 s49, exec_lo
                                        ; implicit-def: $vgpr2
	v_cndmask_b32_e64 v0, 0x7fffffff, 0, vcc_lo
	s_delay_alu instid0(VALU_DEP_1) | instskip(NEXT) | instid1(VALU_DEP_1)
	v_xor_b32_e32 v3, v0, v3
                                        ; implicit-def: $vgpr0
	v_cmpx_ge_u32_e64 v3, v34
	s_xor_b32 s49, exec_lo, s49
	s_cbranch_execz .LBB3_212
; %bb.206:                              ;   in Loop: Header=BB3_139 Depth=2
	s_mov_b32 s51, 0
	s_mov_b32 s50, exec_lo
                                        ; implicit-def: $vgpr2
                                        ; implicit-def: $vgpr0
	v_cmpx_eq_u32_e64 v3, v34
	s_cbranch_execz .LBB3_224
; %bb.207:                              ;   in Loop: Header=BB3_139 Depth=2
	s_mov_b32 s52, exec_lo
	s_mov_b32 s51, exec_lo
	v_mbcnt_lo_u32_b32 v0, s52, 0
                                        ; implicit-def: $vgpr2
	s_delay_alu instid0(VALU_DEP_1)
	v_cmpx_eq_u32_e32 0, v0
	s_cbranch_execz .LBB3_209
; %bb.208:                              ;   in Loop: Header=BB3_139 Depth=2
	s_bcnt1_i32_b32 s52, s52
	s_waitcnt vmcnt(0)
	v_mov_b32_e32 v2, s52
	global_atomic_add_u32 v2, v27, v2, s[16:17] offset:512 glc
.LBB3_209:                              ;   in Loop: Header=BB3_139 Depth=2
	s_or_b32 exec_lo, exec_lo, s51
	s_waitcnt vmcnt(0)
	v_readfirstlane_b32 s51, v2
	s_mov_b32 s52, 0
                                        ; implicit-def: $vgpr2
	s_delay_alu instid0(VALU_DEP_1) | instskip(SKIP_1) | instid1(VALU_DEP_1)
	v_add_nc_u32_e32 v3, s51, v0
	s_mov_b32 s51, exec_lo
                                        ; implicit-def: $vgpr0
	v_cmpx_lt_i32_e64 v3, v35
	s_cbranch_execz .LBB3_223
; %bb.210:                              ;   in Loop: Header=BB3_139 Depth=2
	v_xad_u32 v0, v3, -1, s39
	s_and_not1_b32 vcc_lo, exec_lo, s9
	s_cbranch_vccnz .LBB3_220
; %bb.211:                              ;   in Loop: Header=BB3_139 Depth=2
	v_ashrrev_i32_e32 v11, 31, v10
	s_delay_alu instid0(VALU_DEP_1) | instskip(NEXT) | instid1(VALU_DEP_1)
	v_lshlrev_b64 v[2:3], 2, v[10:11]
	v_add_co_u32 v2, vcc_lo, s35, v2
	s_delay_alu instid0(VALU_DEP_2)
	v_add_co_ci_u32_e32 v3, vcc_lo, s36, v3, vcc_lo
	global_load_b32 v2, v[2:3], off
	s_and_not1_b32 vcc_lo, exec_lo, s52
	s_cbranch_vccz .LBB3_221
	s_branch .LBB3_222
.LBB3_212:                              ;   in Loop: Header=BB3_139 Depth=2
	s_and_not1_saveexec_b32 s49, s49
	s_cbranch_execz .LBB3_225
.LBB3_213:                              ;   in Loop: Header=BB3_139 Depth=2
	s_mov_b32 s52, exec_lo
	s_mov_b32 s51, exec_lo
	v_mbcnt_lo_u32_b32 v0, s52, 0
                                        ; implicit-def: $vgpr2
	s_delay_alu instid0(VALU_DEP_1)
	v_cmpx_eq_u32_e32 0, v0
	s_cbranch_execz .LBB3_215
; %bb.214:                              ;   in Loop: Header=BB3_139 Depth=2
	s_bcnt1_i32_b32 s52, s52
	s_waitcnt vmcnt(0)
	v_mov_b32_e32 v2, s52
	global_atomic_add_u32 v2, v27, v2, s[16:17] offset:384 glc
.LBB3_215:                              ;   in Loop: Header=BB3_139 Depth=2
	s_or_b32 exec_lo, exec_lo, s51
	s_waitcnt vmcnt(0)
	v_readfirstlane_b32 s51, v2
	s_and_not1_b32 vcc_lo, exec_lo, s9
	s_delay_alu instid0(VALU_DEP_1)
	v_add_nc_u32_e32 v0, s51, v0
	s_cbranch_vccnz .LBB3_217
; %bb.216:                              ;   in Loop: Header=BB3_139 Depth=2
	v_ashrrev_i32_e32 v11, 31, v10
	s_delay_alu instid0(VALU_DEP_1) | instskip(NEXT) | instid1(VALU_DEP_1)
	v_lshlrev_b64 v[2:3], 2, v[10:11]
	v_add_co_u32 v2, vcc_lo, s35, v2
	s_delay_alu instid0(VALU_DEP_2)
	v_add_co_ci_u32_e32 v3, vcc_lo, s36, v3, vcc_lo
	global_load_b32 v2, v[2:3], off
	s_cbranch_execz .LBB3_218
	s_branch .LBB3_219
.LBB3_217:                              ;   in Loop: Header=BB3_139 Depth=2
                                        ; implicit-def: $vgpr2
.LBB3_218:                              ;   in Loop: Header=BB3_139 Depth=2
	s_waitcnt vmcnt(0)
	v_add_nc_u32_e32 v2, s13, v1
.LBB3_219:                              ;   in Loop: Header=BB3_139 Depth=2
	s_or_b32 s50, s50, exec_lo
	s_or_b32 exec_lo, exec_lo, s49
	s_and_saveexec_b32 s49, s50
	s_cbranch_execnz .LBB3_226
	s_branch .LBB3_227
.LBB3_220:                              ;   in Loop: Header=BB3_139 Depth=2
                                        ; implicit-def: $vgpr2
.LBB3_221:                              ;   in Loop: Header=BB3_139 Depth=2
	s_waitcnt vmcnt(0)
	v_add_nc_u32_e32 v2, s13, v1
.LBB3_222:                              ;   in Loop: Header=BB3_139 Depth=2
	s_mov_b32 s52, exec_lo
.LBB3_223:                              ;   in Loop: Header=BB3_139 Depth=2
	s_or_b32 exec_lo, exec_lo, s51
	s_delay_alu instid0(SALU_CYCLE_1)
	s_and_b32 s51, s52, exec_lo
.LBB3_224:                              ;   in Loop: Header=BB3_139 Depth=2
	s_or_b32 exec_lo, exec_lo, s50
	s_delay_alu instid0(SALU_CYCLE_1)
	s_and_b32 s50, s51, exec_lo
                                        ; implicit-def: $vgpr1
                                        ; implicit-def: $vgpr10
	s_and_not1_saveexec_b32 s49, s49
	s_cbranch_execnz .LBB3_213
.LBB3_225:                              ;   in Loop: Header=BB3_139 Depth=2
	s_or_b32 exec_lo, exec_lo, s49
	s_and_saveexec_b32 s49, s50
	s_cbranch_execz .LBB3_227
.LBB3_226:                              ;   in Loop: Header=BB3_139 Depth=2
	v_ashrrev_i32_e32 v1, 31, v0
	s_delay_alu instid0(VALU_DEP_1) | instskip(NEXT) | instid1(VALU_DEP_1)
	v_lshlrev_b64 v[0:1], 2, v[0:1]
	v_add_co_u32 v0, vcc_lo, s15, v0
	s_delay_alu instid0(VALU_DEP_2)
	v_add_co_ci_u32_e32 v1, vcc_lo, s30, v1, vcc_lo
	s_waitcnt vmcnt(0)
	global_store_b32 v[0:1], v2, off
.LBB3_227:                              ;   in Loop: Header=BB3_139 Depth=2
	s_or_b32 exec_lo, exec_lo, s49
	v_lshlrev_b64 v[0:1], 4, v[38:39]
	s_waitcnt vmcnt(0)
	v_add_co_u32 v2, vcc_lo, v8, s22
	v_add_co_ci_u32_e32 v3, vcc_lo, s23, v9, vcc_lo
	v_add_co_u32 v37, null, v36, s8
	s_delay_alu instid0(VALU_DEP_4)
	v_add_co_u32 v0, vcc_lo, s12, v0
	v_add_co_ci_u32_e32 v1, vcc_lo, s26, v1, vcc_lo
	v_cmp_gt_i32_e32 vcc_lo, 0, v4
	s_clause 0x1
	global_load_b128 v[8:11], v[2:3], off
	global_load_b128 v[0:3], v[0:1], off
	s_mov_b32 s50, 0
	s_mov_b32 s49, exec_lo
	v_cndmask_b32_e64 v39, 0x7fffffff, 0, vcc_lo
                                        ; implicit-def: $vgpr41
	s_delay_alu instid0(VALU_DEP_1) | instskip(SKIP_1) | instid1(VALU_DEP_2)
	v_xor_b32_e32 v40, v39, v4
	v_lshl_add_u32 v39, v37, 2, s20
                                        ; implicit-def: $vgpr4
	v_cmpx_ge_u32_e64 v40, v34
	s_xor_b32 s49, exec_lo, s49
	s_cbranch_execz .LBB3_234
; %bb.228:                              ;   in Loop: Header=BB3_139 Depth=2
	s_mov_b32 s51, 0
	s_mov_b32 s50, exec_lo
                                        ; implicit-def: $vgpr4
                                        ; implicit-def: $vgpr41
	v_cmpx_eq_u32_e64 v40, v34
	s_cbranch_execz .LBB3_246
; %bb.229:                              ;   in Loop: Header=BB3_139 Depth=2
	s_mov_b32 s52, exec_lo
	s_mov_b32 s51, exec_lo
	v_mbcnt_lo_u32_b32 v4, s52, 0
                                        ; implicit-def: $vgpr40
	s_delay_alu instid0(VALU_DEP_1)
	v_cmpx_eq_u32_e32 0, v4
	s_cbranch_execz .LBB3_231
; %bb.230:                              ;   in Loop: Header=BB3_139 Depth=2
	s_bcnt1_i32_b32 s52, s52
	s_delay_alu instid0(SALU_CYCLE_1)
	v_mov_b32_e32 v40, s52
	global_atomic_add_u32 v40, v27, v40, s[16:17] offset:512 glc
.LBB3_231:                              ;   in Loop: Header=BB3_139 Depth=2
	s_or_b32 exec_lo, exec_lo, s51
	s_waitcnt vmcnt(0)
	v_readfirstlane_b32 s51, v40
	s_mov_b32 s52, 0
                                        ; implicit-def: $vgpr41
	s_delay_alu instid0(VALU_DEP_1) | instskip(SKIP_1) | instid1(VALU_DEP_1)
	v_add_nc_u32_e32 v40, s51, v4
	s_mov_b32 s51, exec_lo
                                        ; implicit-def: $vgpr4
	v_cmpx_lt_i32_e64 v40, v35
	s_xor_b32 s51, exec_lo, s51
	s_cbranch_execz .LBB3_245
; %bb.232:                              ;   in Loop: Header=BB3_139 Depth=2
	v_xad_u32 v41, v40, -1, s39
	s_and_not1_b32 vcc_lo, exec_lo, s9
	s_cbranch_vccnz .LBB3_242
; %bb.233:                              ;   in Loop: Header=BB3_139 Depth=2
	v_ashrrev_i32_e32 v40, 31, v39
	s_delay_alu instid0(VALU_DEP_1) | instskip(NEXT) | instid1(VALU_DEP_1)
	v_lshlrev_b64 v[55:56], 2, v[39:40]
	v_add_co_u32 v55, vcc_lo, s10, v55
	s_delay_alu instid0(VALU_DEP_2)
	v_add_co_ci_u32_e32 v56, vcc_lo, s11, v56, vcc_lo
	global_load_b32 v4, v[55:56], off
	s_and_not1_b32 vcc_lo, exec_lo, s52
	s_cbranch_vccz .LBB3_243
	s_branch .LBB3_244
.LBB3_234:                              ;   in Loop: Header=BB3_139 Depth=2
	s_and_not1_saveexec_b32 s49, s49
	s_cbranch_execz .LBB3_247
.LBB3_235:                              ;   in Loop: Header=BB3_139 Depth=2
	s_mov_b32 s52, exec_lo
	s_mov_b32 s51, exec_lo
	s_waitcnt vmcnt(0)
	v_mbcnt_lo_u32_b32 v4, s52, 0
                                        ; implicit-def: $vgpr40
	s_delay_alu instid0(VALU_DEP_1)
	v_cmpx_eq_u32_e32 0, v4
	s_cbranch_execz .LBB3_237
; %bb.236:                              ;   in Loop: Header=BB3_139 Depth=2
	s_bcnt1_i32_b32 s52, s52
	s_delay_alu instid0(SALU_CYCLE_1)
	v_mov_b32_e32 v40, s52
	global_atomic_add_u32 v40, v27, v40, s[16:17] offset:384 glc
.LBB3_237:                              ;   in Loop: Header=BB3_139 Depth=2
	s_or_b32 exec_lo, exec_lo, s51
	s_waitcnt vmcnt(0)
	v_readfirstlane_b32 s51, v40
	s_and_not1_b32 vcc_lo, exec_lo, s9
	s_delay_alu instid0(VALU_DEP_1)
	v_add_nc_u32_e32 v41, s51, v4
	s_cbranch_vccnz .LBB3_239
; %bb.238:                              ;   in Loop: Header=BB3_139 Depth=2
	v_ashrrev_i32_e32 v40, 31, v39
	s_delay_alu instid0(VALU_DEP_1) | instskip(NEXT) | instid1(VALU_DEP_1)
	v_lshlrev_b64 v[55:56], 2, v[39:40]
	v_add_co_u32 v55, vcc_lo, s10, v55
	s_delay_alu instid0(VALU_DEP_2)
	v_add_co_ci_u32_e32 v56, vcc_lo, s11, v56, vcc_lo
	global_load_b32 v4, v[55:56], off
	s_cbranch_execz .LBB3_240
	s_branch .LBB3_241
.LBB3_239:                              ;   in Loop: Header=BB3_139 Depth=2
                                        ; implicit-def: $vgpr4
.LBB3_240:                              ;   in Loop: Header=BB3_139 Depth=2
	s_waitcnt vmcnt(0)
	v_add_nc_u32_e32 v4, s13, v39
.LBB3_241:                              ;   in Loop: Header=BB3_139 Depth=2
	s_or_b32 s50, s50, exec_lo
	s_or_b32 exec_lo, exec_lo, s49
	s_and_saveexec_b32 s49, s50
	s_cbranch_execnz .LBB3_248
	s_branch .LBB3_249
.LBB3_242:                              ;   in Loop: Header=BB3_139 Depth=2
                                        ; implicit-def: $vgpr4
.LBB3_243:                              ;   in Loop: Header=BB3_139 Depth=2
	s_waitcnt vmcnt(0)
	v_add_nc_u32_e32 v4, s13, v39
.LBB3_244:                              ;   in Loop: Header=BB3_139 Depth=2
	s_mov_b32 s52, exec_lo
.LBB3_245:                              ;   in Loop: Header=BB3_139 Depth=2
	s_or_b32 exec_lo, exec_lo, s51
	s_delay_alu instid0(SALU_CYCLE_1)
	s_and_b32 s51, s52, exec_lo
.LBB3_246:                              ;   in Loop: Header=BB3_139 Depth=2
	s_or_b32 exec_lo, exec_lo, s50
	s_delay_alu instid0(SALU_CYCLE_1)
	s_and_b32 s50, s51, exec_lo
	s_and_not1_saveexec_b32 s49, s49
	s_cbranch_execnz .LBB3_235
.LBB3_247:                              ;   in Loop: Header=BB3_139 Depth=2
	s_or_b32 exec_lo, exec_lo, s49
	s_and_saveexec_b32 s49, s50
	s_cbranch_execz .LBB3_249
.LBB3_248:                              ;   in Loop: Header=BB3_139 Depth=2
	v_ashrrev_i32_e32 v42, 31, v41
	s_delay_alu instid0(VALU_DEP_1) | instskip(NEXT) | instid1(VALU_DEP_1)
	v_lshlrev_b64 v[40:41], 2, v[41:42]
	v_add_co_u32 v40, vcc_lo, s15, v40
	s_delay_alu instid0(VALU_DEP_2)
	v_add_co_ci_u32_e32 v41, vcc_lo, s30, v41, vcc_lo
	s_waitcnt vmcnt(0)
	global_store_b32 v[40:41], v4, off
.LBB3_249:                              ;   in Loop: Header=BB3_139 Depth=2
	s_or_b32 exec_lo, exec_lo, s49
	v_cmp_gt_i32_e32 vcc_lo, 0, v5
	s_mov_b32 s50, 0
	s_mov_b32 s49, exec_lo
                                        ; implicit-def: $vgpr40
	s_waitcnt vmcnt(0)
	v_cndmask_b32_e64 v4, 0x7fffffff, 0, vcc_lo
	s_delay_alu instid0(VALU_DEP_1) | instskip(SKIP_1) | instid1(VALU_DEP_2)
	v_xor_b32_e32 v41, v4, v5
	v_add_nc_u32_e32 v5, 1, v39
                                        ; implicit-def: $vgpr4
	v_cmpx_ge_u32_e64 v41, v34
	s_xor_b32 s49, exec_lo, s49
	s_cbranch_execz .LBB3_256
; %bb.250:                              ;   in Loop: Header=BB3_139 Depth=2
	s_mov_b32 s51, 0
	s_mov_b32 s50, exec_lo
                                        ; implicit-def: $vgpr40
                                        ; implicit-def: $vgpr4
	v_cmpx_eq_u32_e64 v41, v34
	s_cbranch_execz .LBB3_268
; %bb.251:                              ;   in Loop: Header=BB3_139 Depth=2
	s_mov_b32 s52, exec_lo
	s_mov_b32 s51, exec_lo
	v_mbcnt_lo_u32_b32 v4, s52, 0
                                        ; implicit-def: $vgpr40
	s_delay_alu instid0(VALU_DEP_1)
	v_cmpx_eq_u32_e32 0, v4
	s_cbranch_execz .LBB3_253
; %bb.252:                              ;   in Loop: Header=BB3_139 Depth=2
	s_bcnt1_i32_b32 s52, s52
	s_delay_alu instid0(SALU_CYCLE_1)
	v_mov_b32_e32 v40, s52
	global_atomic_add_u32 v40, v27, v40, s[16:17] offset:512 glc
.LBB3_253:                              ;   in Loop: Header=BB3_139 Depth=2
	s_or_b32 exec_lo, exec_lo, s51
	s_waitcnt vmcnt(0)
	v_readfirstlane_b32 s51, v40
	s_mov_b32 s52, 0
                                        ; implicit-def: $vgpr40
	s_delay_alu instid0(VALU_DEP_1) | instskip(SKIP_1) | instid1(VALU_DEP_1)
	v_add_nc_u32_e32 v41, s51, v4
	s_mov_b32 s51, exec_lo
                                        ; implicit-def: $vgpr4
	v_cmpx_lt_i32_e64 v41, v35
	s_cbranch_execz .LBB3_267
; %bb.254:                              ;   in Loop: Header=BB3_139 Depth=2
	v_xad_u32 v4, v41, -1, s39
	s_and_not1_b32 vcc_lo, exec_lo, s9
	s_cbranch_vccnz .LBB3_264
; %bb.255:                              ;   in Loop: Header=BB3_139 Depth=2
	v_ashrrev_i32_e32 v40, 31, v39
	s_delay_alu instid0(VALU_DEP_1) | instskip(NEXT) | instid1(VALU_DEP_1)
	v_lshlrev_b64 v[40:41], 2, v[39:40]
	v_add_co_u32 v40, vcc_lo, s14, v40
	s_delay_alu instid0(VALU_DEP_2)
	v_add_co_ci_u32_e32 v41, vcc_lo, s21, v41, vcc_lo
	global_load_b32 v40, v[40:41], off
	s_and_not1_b32 vcc_lo, exec_lo, s52
	s_cbranch_vccz .LBB3_265
	s_branch .LBB3_266
.LBB3_256:                              ;   in Loop: Header=BB3_139 Depth=2
	s_and_not1_saveexec_b32 s49, s49
	s_cbranch_execz .LBB3_269
.LBB3_257:                              ;   in Loop: Header=BB3_139 Depth=2
	s_mov_b32 s52, exec_lo
	s_mov_b32 s51, exec_lo
	v_mbcnt_lo_u32_b32 v4, s52, 0
                                        ; implicit-def: $vgpr40
	s_delay_alu instid0(VALU_DEP_1)
	v_cmpx_eq_u32_e32 0, v4
	s_cbranch_execz .LBB3_259
; %bb.258:                              ;   in Loop: Header=BB3_139 Depth=2
	s_bcnt1_i32_b32 s52, s52
	s_waitcnt vmcnt(0)
	v_mov_b32_e32 v40, s52
	global_atomic_add_u32 v40, v27, v40, s[16:17] offset:384 glc
.LBB3_259:                              ;   in Loop: Header=BB3_139 Depth=2
	s_or_b32 exec_lo, exec_lo, s51
	s_waitcnt vmcnt(0)
	v_readfirstlane_b32 s51, v40
	s_and_not1_b32 vcc_lo, exec_lo, s9
	s_delay_alu instid0(VALU_DEP_1)
	v_add_nc_u32_e32 v4, s51, v4
	s_cbranch_vccnz .LBB3_261
; %bb.260:                              ;   in Loop: Header=BB3_139 Depth=2
	v_ashrrev_i32_e32 v40, 31, v39
	s_delay_alu instid0(VALU_DEP_1) | instskip(NEXT) | instid1(VALU_DEP_1)
	v_lshlrev_b64 v[40:41], 2, v[39:40]
	v_add_co_u32 v40, vcc_lo, s14, v40
	s_delay_alu instid0(VALU_DEP_2)
	v_add_co_ci_u32_e32 v41, vcc_lo, s21, v41, vcc_lo
	global_load_b32 v40, v[40:41], off
	s_cbranch_execz .LBB3_262
	s_branch .LBB3_263
.LBB3_261:                              ;   in Loop: Header=BB3_139 Depth=2
                                        ; implicit-def: $vgpr40
.LBB3_262:                              ;   in Loop: Header=BB3_139 Depth=2
	s_waitcnt vmcnt(0)
	v_add_nc_u32_e32 v40, s13, v5
.LBB3_263:                              ;   in Loop: Header=BB3_139 Depth=2
	s_or_b32 s50, s50, exec_lo
	s_or_b32 exec_lo, exec_lo, s49
	s_and_saveexec_b32 s49, s50
	s_cbranch_execnz .LBB3_270
	s_branch .LBB3_271
.LBB3_264:                              ;   in Loop: Header=BB3_139 Depth=2
                                        ; implicit-def: $vgpr40
.LBB3_265:                              ;   in Loop: Header=BB3_139 Depth=2
	s_waitcnt vmcnt(0)
	v_add_nc_u32_e32 v40, s13, v5
.LBB3_266:                              ;   in Loop: Header=BB3_139 Depth=2
	s_mov_b32 s52, exec_lo
.LBB3_267:                              ;   in Loop: Header=BB3_139 Depth=2
	s_or_b32 exec_lo, exec_lo, s51
	s_delay_alu instid0(SALU_CYCLE_1)
	s_and_b32 s51, s52, exec_lo
.LBB3_268:                              ;   in Loop: Header=BB3_139 Depth=2
	s_or_b32 exec_lo, exec_lo, s50
	s_delay_alu instid0(SALU_CYCLE_1)
	s_and_b32 s50, s51, exec_lo
                                        ; implicit-def: $vgpr5
	s_and_not1_saveexec_b32 s49, s49
	s_cbranch_execnz .LBB3_257
.LBB3_269:                              ;   in Loop: Header=BB3_139 Depth=2
	s_or_b32 exec_lo, exec_lo, s49
	s_and_saveexec_b32 s49, s50
	s_cbranch_execz .LBB3_271
.LBB3_270:                              ;   in Loop: Header=BB3_139 Depth=2
	v_ashrrev_i32_e32 v5, 31, v4
	s_delay_alu instid0(VALU_DEP_1) | instskip(NEXT) | instid1(VALU_DEP_1)
	v_lshlrev_b64 v[4:5], 2, v[4:5]
	v_add_co_u32 v4, vcc_lo, s15, v4
	s_delay_alu instid0(VALU_DEP_2)
	v_add_co_ci_u32_e32 v5, vcc_lo, s30, v5, vcc_lo
	s_waitcnt vmcnt(0)
	global_store_b32 v[4:5], v40, off
.LBB3_271:                              ;   in Loop: Header=BB3_139 Depth=2
	s_or_b32 exec_lo, exec_lo, s49
	v_cmp_gt_i32_e32 vcc_lo, 0, v6
	v_add_nc_u32_e32 v5, 2, v39
	s_mov_b32 s50, 0
	s_mov_b32 s49, exec_lo
	v_cndmask_b32_e64 v4, 0x7fffffff, 0, vcc_lo
	s_waitcnt vmcnt(0)
	s_delay_alu instid0(VALU_DEP_1) | instskip(NEXT) | instid1(VALU_DEP_1)
	v_xor_b32_e32 v40, v4, v6
                                        ; implicit-def: $vgpr6
                                        ; implicit-def: $vgpr4
	v_cmpx_ge_u32_e64 v40, v34
	s_xor_b32 s49, exec_lo, s49
	s_cbranch_execz .LBB3_278
; %bb.272:                              ;   in Loop: Header=BB3_139 Depth=2
	s_mov_b32 s51, 0
	s_mov_b32 s50, exec_lo
                                        ; implicit-def: $vgpr6
                                        ; implicit-def: $vgpr4
	v_cmpx_eq_u32_e64 v40, v34
	s_cbranch_execz .LBB3_290
; %bb.273:                              ;   in Loop: Header=BB3_139 Depth=2
	s_mov_b32 s52, exec_lo
	s_mov_b32 s51, exec_lo
	v_mbcnt_lo_u32_b32 v4, s52, 0
                                        ; implicit-def: $vgpr6
	s_delay_alu instid0(VALU_DEP_1)
	v_cmpx_eq_u32_e32 0, v4
	s_cbranch_execz .LBB3_275
; %bb.274:                              ;   in Loop: Header=BB3_139 Depth=2
	s_bcnt1_i32_b32 s52, s52
	s_delay_alu instid0(SALU_CYCLE_1)
	v_mov_b32_e32 v6, s52
	global_atomic_add_u32 v6, v27, v6, s[16:17] offset:512 glc
.LBB3_275:                              ;   in Loop: Header=BB3_139 Depth=2
	s_or_b32 exec_lo, exec_lo, s51
	s_waitcnt vmcnt(0)
	v_readfirstlane_b32 s51, v6
	s_mov_b32 s52, 0
                                        ; implicit-def: $vgpr6
	s_delay_alu instid0(VALU_DEP_1) | instskip(SKIP_1) | instid1(VALU_DEP_1)
	v_add_nc_u32_e32 v40, s51, v4
	s_mov_b32 s51, exec_lo
                                        ; implicit-def: $vgpr4
	v_cmpx_lt_i32_e64 v40, v35
	s_cbranch_execz .LBB3_289
; %bb.276:                              ;   in Loop: Header=BB3_139 Depth=2
	v_xad_u32 v4, v40, -1, s39
	s_and_not1_b32 vcc_lo, exec_lo, s9
	s_cbranch_vccnz .LBB3_286
; %bb.277:                              ;   in Loop: Header=BB3_139 Depth=2
	v_ashrrev_i32_e32 v40, 31, v39
	s_delay_alu instid0(VALU_DEP_1) | instskip(NEXT) | instid1(VALU_DEP_1)
	v_lshlrev_b64 v[40:41], 2, v[39:40]
	v_add_co_u32 v40, vcc_lo, s33, v40
	s_delay_alu instid0(VALU_DEP_2)
	v_add_co_ci_u32_e32 v41, vcc_lo, s34, v41, vcc_lo
	global_load_b32 v6, v[40:41], off
	s_and_not1_b32 vcc_lo, exec_lo, s52
	s_cbranch_vccz .LBB3_287
	s_branch .LBB3_288
.LBB3_278:                              ;   in Loop: Header=BB3_139 Depth=2
	s_and_not1_saveexec_b32 s49, s49
	s_cbranch_execz .LBB3_291
.LBB3_279:                              ;   in Loop: Header=BB3_139 Depth=2
	s_mov_b32 s52, exec_lo
	s_mov_b32 s51, exec_lo
	v_mbcnt_lo_u32_b32 v4, s52, 0
                                        ; implicit-def: $vgpr6
	s_delay_alu instid0(VALU_DEP_1)
	v_cmpx_eq_u32_e32 0, v4
	s_cbranch_execz .LBB3_281
; %bb.280:                              ;   in Loop: Header=BB3_139 Depth=2
	s_bcnt1_i32_b32 s52, s52
	s_waitcnt vmcnt(0)
	v_mov_b32_e32 v6, s52
	global_atomic_add_u32 v6, v27, v6, s[16:17] offset:384 glc
.LBB3_281:                              ;   in Loop: Header=BB3_139 Depth=2
	s_or_b32 exec_lo, exec_lo, s51
	s_waitcnt vmcnt(0)
	v_readfirstlane_b32 s51, v6
	s_and_not1_b32 vcc_lo, exec_lo, s9
	s_delay_alu instid0(VALU_DEP_1)
	v_add_nc_u32_e32 v4, s51, v4
	s_cbranch_vccnz .LBB3_283
; %bb.282:                              ;   in Loop: Header=BB3_139 Depth=2
	v_ashrrev_i32_e32 v40, 31, v39
	s_delay_alu instid0(VALU_DEP_1) | instskip(NEXT) | instid1(VALU_DEP_1)
	v_lshlrev_b64 v[40:41], 2, v[39:40]
	v_add_co_u32 v40, vcc_lo, s33, v40
	s_delay_alu instid0(VALU_DEP_2)
	v_add_co_ci_u32_e32 v41, vcc_lo, s34, v41, vcc_lo
	global_load_b32 v6, v[40:41], off
	s_cbranch_execz .LBB3_284
	s_branch .LBB3_285
.LBB3_283:                              ;   in Loop: Header=BB3_139 Depth=2
                                        ; implicit-def: $vgpr6
.LBB3_284:                              ;   in Loop: Header=BB3_139 Depth=2
	s_waitcnt vmcnt(0)
	v_add_nc_u32_e32 v6, s13, v5
.LBB3_285:                              ;   in Loop: Header=BB3_139 Depth=2
	s_or_b32 s50, s50, exec_lo
	s_or_b32 exec_lo, exec_lo, s49
	s_and_saveexec_b32 s49, s50
	s_cbranch_execnz .LBB3_292
	s_branch .LBB3_293
.LBB3_286:                              ;   in Loop: Header=BB3_139 Depth=2
                                        ; implicit-def: $vgpr6
.LBB3_287:                              ;   in Loop: Header=BB3_139 Depth=2
	s_waitcnt vmcnt(0)
	v_add_nc_u32_e32 v6, s13, v5
.LBB3_288:                              ;   in Loop: Header=BB3_139 Depth=2
	s_mov_b32 s52, exec_lo
.LBB3_289:                              ;   in Loop: Header=BB3_139 Depth=2
	s_or_b32 exec_lo, exec_lo, s51
	s_delay_alu instid0(SALU_CYCLE_1)
	s_and_b32 s51, s52, exec_lo
.LBB3_290:                              ;   in Loop: Header=BB3_139 Depth=2
	s_or_b32 exec_lo, exec_lo, s50
	s_delay_alu instid0(SALU_CYCLE_1)
	s_and_b32 s50, s51, exec_lo
                                        ; implicit-def: $vgpr5
	s_and_not1_saveexec_b32 s49, s49
	s_cbranch_execnz .LBB3_279
.LBB3_291:                              ;   in Loop: Header=BB3_139 Depth=2
	s_or_b32 exec_lo, exec_lo, s49
	s_and_saveexec_b32 s49, s50
	s_cbranch_execz .LBB3_293
.LBB3_292:                              ;   in Loop: Header=BB3_139 Depth=2
	v_ashrrev_i32_e32 v5, 31, v4
	s_delay_alu instid0(VALU_DEP_1) | instskip(NEXT) | instid1(VALU_DEP_1)
	v_lshlrev_b64 v[4:5], 2, v[4:5]
	v_add_co_u32 v4, vcc_lo, s15, v4
	s_delay_alu instid0(VALU_DEP_2)
	v_add_co_ci_u32_e32 v5, vcc_lo, s30, v5, vcc_lo
	s_waitcnt vmcnt(0)
	global_store_b32 v[4:5], v6, off
.LBB3_293:                              ;   in Loop: Header=BB3_139 Depth=2
	s_or_b32 exec_lo, exec_lo, s49
	v_cmp_gt_i32_e32 vcc_lo, 0, v7
	v_add_nc_u32_e32 v5, 3, v39
	s_mov_b32 s50, 0
	s_mov_b32 s49, exec_lo
                                        ; implicit-def: $vgpr6
	v_cndmask_b32_e64 v4, 0x7fffffff, 0, vcc_lo
	s_delay_alu instid0(VALU_DEP_1) | instskip(NEXT) | instid1(VALU_DEP_1)
	v_xor_b32_e32 v7, v4, v7
                                        ; implicit-def: $vgpr4
	v_cmpx_ge_u32_e64 v7, v34
	s_xor_b32 s49, exec_lo, s49
	s_cbranch_execz .LBB3_300
; %bb.294:                              ;   in Loop: Header=BB3_139 Depth=2
	s_mov_b32 s51, 0
	s_mov_b32 s50, exec_lo
                                        ; implicit-def: $vgpr6
                                        ; implicit-def: $vgpr4
	v_cmpx_eq_u32_e64 v7, v34
	s_cbranch_execz .LBB3_312
; %bb.295:                              ;   in Loop: Header=BB3_139 Depth=2
	s_mov_b32 s52, exec_lo
	s_mov_b32 s51, exec_lo
	v_mbcnt_lo_u32_b32 v4, s52, 0
                                        ; implicit-def: $vgpr6
	s_delay_alu instid0(VALU_DEP_1)
	v_cmpx_eq_u32_e32 0, v4
	s_cbranch_execz .LBB3_297
; %bb.296:                              ;   in Loop: Header=BB3_139 Depth=2
	s_bcnt1_i32_b32 s52, s52
	s_waitcnt vmcnt(0)
	v_mov_b32_e32 v6, s52
	global_atomic_add_u32 v6, v27, v6, s[16:17] offset:512 glc
.LBB3_297:                              ;   in Loop: Header=BB3_139 Depth=2
	s_or_b32 exec_lo, exec_lo, s51
	s_waitcnt vmcnt(0)
	v_readfirstlane_b32 s51, v6
	s_mov_b32 s52, 0
                                        ; implicit-def: $vgpr6
	s_delay_alu instid0(VALU_DEP_1) | instskip(SKIP_1) | instid1(VALU_DEP_1)
	v_add_nc_u32_e32 v7, s51, v4
	s_mov_b32 s51, exec_lo
                                        ; implicit-def: $vgpr4
	v_cmpx_lt_i32_e64 v7, v35
	s_cbranch_execz .LBB3_311
; %bb.298:                              ;   in Loop: Header=BB3_139 Depth=2
	v_xad_u32 v4, v7, -1, s39
	s_and_not1_b32 vcc_lo, exec_lo, s9
	s_cbranch_vccnz .LBB3_308
; %bb.299:                              ;   in Loop: Header=BB3_139 Depth=2
	v_ashrrev_i32_e32 v40, 31, v39
	s_delay_alu instid0(VALU_DEP_1) | instskip(NEXT) | instid1(VALU_DEP_1)
	v_lshlrev_b64 v[6:7], 2, v[39:40]
	v_add_co_u32 v6, vcc_lo, s35, v6
	s_delay_alu instid0(VALU_DEP_2)
	v_add_co_ci_u32_e32 v7, vcc_lo, s36, v7, vcc_lo
	global_load_b32 v6, v[6:7], off
	s_and_not1_b32 vcc_lo, exec_lo, s52
	s_cbranch_vccz .LBB3_309
	s_branch .LBB3_310
.LBB3_300:                              ;   in Loop: Header=BB3_139 Depth=2
	s_and_not1_saveexec_b32 s49, s49
	s_cbranch_execz .LBB3_313
.LBB3_301:                              ;   in Loop: Header=BB3_139 Depth=2
	s_mov_b32 s52, exec_lo
	s_mov_b32 s51, exec_lo
	v_mbcnt_lo_u32_b32 v4, s52, 0
                                        ; implicit-def: $vgpr6
	s_delay_alu instid0(VALU_DEP_1)
	v_cmpx_eq_u32_e32 0, v4
	s_cbranch_execz .LBB3_303
; %bb.302:                              ;   in Loop: Header=BB3_139 Depth=2
	s_bcnt1_i32_b32 s52, s52
	s_waitcnt vmcnt(0)
	v_mov_b32_e32 v6, s52
	global_atomic_add_u32 v6, v27, v6, s[16:17] offset:384 glc
.LBB3_303:                              ;   in Loop: Header=BB3_139 Depth=2
	s_or_b32 exec_lo, exec_lo, s51
	s_waitcnt vmcnt(0)
	v_readfirstlane_b32 s51, v6
	s_and_not1_b32 vcc_lo, exec_lo, s9
	s_delay_alu instid0(VALU_DEP_1)
	v_add_nc_u32_e32 v4, s51, v4
	s_cbranch_vccnz .LBB3_305
; %bb.304:                              ;   in Loop: Header=BB3_139 Depth=2
	v_ashrrev_i32_e32 v40, 31, v39
	s_delay_alu instid0(VALU_DEP_1) | instskip(NEXT) | instid1(VALU_DEP_1)
	v_lshlrev_b64 v[6:7], 2, v[39:40]
	v_add_co_u32 v6, vcc_lo, s35, v6
	s_delay_alu instid0(VALU_DEP_2)
	v_add_co_ci_u32_e32 v7, vcc_lo, s36, v7, vcc_lo
	global_load_b32 v6, v[6:7], off
	s_cbranch_execz .LBB3_306
	s_branch .LBB3_307
.LBB3_305:                              ;   in Loop: Header=BB3_139 Depth=2
                                        ; implicit-def: $vgpr6
.LBB3_306:                              ;   in Loop: Header=BB3_139 Depth=2
	s_waitcnt vmcnt(0)
	v_add_nc_u32_e32 v6, s13, v5
.LBB3_307:                              ;   in Loop: Header=BB3_139 Depth=2
	s_or_b32 s50, s50, exec_lo
	s_or_b32 exec_lo, exec_lo, s49
	s_and_saveexec_b32 s49, s50
	s_cbranch_execnz .LBB3_314
	s_branch .LBB3_315
.LBB3_308:                              ;   in Loop: Header=BB3_139 Depth=2
                                        ; implicit-def: $vgpr6
.LBB3_309:                              ;   in Loop: Header=BB3_139 Depth=2
	s_waitcnt vmcnt(0)
	v_add_nc_u32_e32 v6, s13, v5
.LBB3_310:                              ;   in Loop: Header=BB3_139 Depth=2
	s_mov_b32 s52, exec_lo
.LBB3_311:                              ;   in Loop: Header=BB3_139 Depth=2
	s_or_b32 exec_lo, exec_lo, s51
	s_delay_alu instid0(SALU_CYCLE_1)
	s_and_b32 s51, s52, exec_lo
.LBB3_312:                              ;   in Loop: Header=BB3_139 Depth=2
	s_or_b32 exec_lo, exec_lo, s50
	s_delay_alu instid0(SALU_CYCLE_1)
	s_and_b32 s50, s51, exec_lo
                                        ; implicit-def: $vgpr5
                                        ; implicit-def: $vgpr39
	s_and_not1_saveexec_b32 s49, s49
	s_cbranch_execnz .LBB3_301
.LBB3_313:                              ;   in Loop: Header=BB3_139 Depth=2
	s_or_b32 exec_lo, exec_lo, s49
	s_and_saveexec_b32 s49, s50
	s_cbranch_execz .LBB3_315
.LBB3_314:                              ;   in Loop: Header=BB3_139 Depth=2
	v_ashrrev_i32_e32 v5, 31, v4
	s_delay_alu instid0(VALU_DEP_1) | instskip(NEXT) | instid1(VALU_DEP_1)
	v_lshlrev_b64 v[4:5], 2, v[4:5]
	v_add_co_u32 v4, vcc_lo, s15, v4
	s_delay_alu instid0(VALU_DEP_2)
	v_add_co_ci_u32_e32 v5, vcc_lo, s30, v5, vcc_lo
	s_waitcnt vmcnt(0)
	global_store_b32 v[4:5], v6, off
.LBB3_315:                              ;   in Loop: Header=BB3_139 Depth=2
	s_or_b32 exec_lo, exec_lo, s49
	v_cmp_gt_i32_e32 vcc_lo, 0, v8
	v_add_nc_u32_e32 v5, s8, v37
	s_mov_b32 s50, 0
	s_mov_b32 s49, exec_lo
                                        ; implicit-def: $vgpr6
	v_cndmask_b32_e64 v4, 0x7fffffff, 0, vcc_lo
	s_delay_alu instid0(VALU_DEP_1) | instskip(SKIP_1) | instid1(VALU_DEP_2)
	v_xor_b32_e32 v7, v4, v8
	v_lshl_add_u32 v4, v5, 2, s20
                                        ; implicit-def: $vgpr5
	v_cmpx_ge_u32_e64 v7, v34
	s_xor_b32 s49, exec_lo, s49
	s_cbranch_execz .LBB3_322
; %bb.316:                              ;   in Loop: Header=BB3_139 Depth=2
	s_mov_b32 s51, 0
	s_mov_b32 s50, exec_lo
                                        ; implicit-def: $vgpr5
                                        ; implicit-def: $vgpr6
	v_cmpx_eq_u32_e64 v7, v34
	s_cbranch_execz .LBB3_334
; %bb.317:                              ;   in Loop: Header=BB3_139 Depth=2
	s_mov_b32 s52, exec_lo
	s_mov_b32 s51, exec_lo
	v_mbcnt_lo_u32_b32 v5, s52, 0
                                        ; implicit-def: $vgpr6
	s_delay_alu instid0(VALU_DEP_1)
	v_cmpx_eq_u32_e32 0, v5
	s_cbranch_execz .LBB3_319
; %bb.318:                              ;   in Loop: Header=BB3_139 Depth=2
	s_bcnt1_i32_b32 s52, s52
	s_waitcnt vmcnt(0)
	v_mov_b32_e32 v6, s52
	global_atomic_add_u32 v6, v27, v6, s[16:17] offset:512 glc
.LBB3_319:                              ;   in Loop: Header=BB3_139 Depth=2
	s_or_b32 exec_lo, exec_lo, s51
	s_waitcnt vmcnt(0)
	v_readfirstlane_b32 s51, v6
	s_mov_b32 s52, 0
                                        ; implicit-def: $vgpr6
	s_delay_alu instid0(VALU_DEP_1) | instskip(SKIP_1) | instid1(VALU_DEP_1)
	v_add_nc_u32_e32 v7, s51, v5
	s_mov_b32 s51, exec_lo
                                        ; implicit-def: $vgpr5
	v_cmpx_lt_i32_e64 v7, v35
	s_xor_b32 s51, exec_lo, s51
	s_cbranch_execz .LBB3_333
; %bb.320:                              ;   in Loop: Header=BB3_139 Depth=2
	v_xad_u32 v6, v7, -1, s39
	s_and_not1_b32 vcc_lo, exec_lo, s9
	s_cbranch_vccnz .LBB3_330
; %bb.321:                              ;   in Loop: Header=BB3_139 Depth=2
	v_ashrrev_i32_e32 v5, 31, v4
	s_delay_alu instid0(VALU_DEP_1) | instskip(NEXT) | instid1(VALU_DEP_1)
	v_lshlrev_b64 v[7:8], 2, v[4:5]
	v_add_co_u32 v7, vcc_lo, s10, v7
	s_delay_alu instid0(VALU_DEP_2)
	v_add_co_ci_u32_e32 v8, vcc_lo, s11, v8, vcc_lo
	global_load_b32 v5, v[7:8], off
	s_and_not1_b32 vcc_lo, exec_lo, s52
	s_cbranch_vccz .LBB3_331
	s_branch .LBB3_332
.LBB3_322:                              ;   in Loop: Header=BB3_139 Depth=2
	s_and_not1_saveexec_b32 s49, s49
	s_cbranch_execz .LBB3_335
.LBB3_323:                              ;   in Loop: Header=BB3_139 Depth=2
	s_mov_b32 s52, exec_lo
	s_mov_b32 s51, exec_lo
	s_waitcnt vmcnt(0)
	v_mbcnt_lo_u32_b32 v5, s52, 0
                                        ; implicit-def: $vgpr6
	s_delay_alu instid0(VALU_DEP_1)
	v_cmpx_eq_u32_e32 0, v5
	s_cbranch_execz .LBB3_325
; %bb.324:                              ;   in Loop: Header=BB3_139 Depth=2
	s_bcnt1_i32_b32 s52, s52
	s_delay_alu instid0(SALU_CYCLE_1)
	v_mov_b32_e32 v6, s52
	global_atomic_add_u32 v6, v27, v6, s[16:17] offset:384 glc
.LBB3_325:                              ;   in Loop: Header=BB3_139 Depth=2
	s_or_b32 exec_lo, exec_lo, s51
	s_waitcnt vmcnt(0)
	v_readfirstlane_b32 s51, v6
	s_and_not1_b32 vcc_lo, exec_lo, s9
	s_delay_alu instid0(VALU_DEP_1)
	v_add_nc_u32_e32 v6, s51, v5
	s_cbranch_vccnz .LBB3_327
; %bb.326:                              ;   in Loop: Header=BB3_139 Depth=2
	v_ashrrev_i32_e32 v5, 31, v4
	s_delay_alu instid0(VALU_DEP_1) | instskip(NEXT) | instid1(VALU_DEP_1)
	v_lshlrev_b64 v[7:8], 2, v[4:5]
	v_add_co_u32 v7, vcc_lo, s10, v7
	s_delay_alu instid0(VALU_DEP_2)
	v_add_co_ci_u32_e32 v8, vcc_lo, s11, v8, vcc_lo
	global_load_b32 v5, v[7:8], off
	s_cbranch_execz .LBB3_328
	s_branch .LBB3_329
.LBB3_327:                              ;   in Loop: Header=BB3_139 Depth=2
                                        ; implicit-def: $vgpr5
.LBB3_328:                              ;   in Loop: Header=BB3_139 Depth=2
	s_waitcnt vmcnt(0)
	v_add_nc_u32_e32 v5, s13, v4
.LBB3_329:                              ;   in Loop: Header=BB3_139 Depth=2
	s_or_b32 s50, s50, exec_lo
	s_or_b32 exec_lo, exec_lo, s49
	s_and_saveexec_b32 s49, s50
	s_cbranch_execnz .LBB3_336
	s_branch .LBB3_337
.LBB3_330:                              ;   in Loop: Header=BB3_139 Depth=2
                                        ; implicit-def: $vgpr5
.LBB3_331:                              ;   in Loop: Header=BB3_139 Depth=2
	s_waitcnt vmcnt(0)
	v_add_nc_u32_e32 v5, s13, v4
.LBB3_332:                              ;   in Loop: Header=BB3_139 Depth=2
	s_mov_b32 s52, exec_lo
.LBB3_333:                              ;   in Loop: Header=BB3_139 Depth=2
	s_or_b32 exec_lo, exec_lo, s51
	s_delay_alu instid0(SALU_CYCLE_1)
	s_and_b32 s51, s52, exec_lo
.LBB3_334:                              ;   in Loop: Header=BB3_139 Depth=2
	s_or_b32 exec_lo, exec_lo, s50
	s_delay_alu instid0(SALU_CYCLE_1)
	s_and_b32 s50, s51, exec_lo
	s_and_not1_saveexec_b32 s49, s49
	s_cbranch_execnz .LBB3_323
.LBB3_335:                              ;   in Loop: Header=BB3_139 Depth=2
	s_or_b32 exec_lo, exec_lo, s49
	s_and_saveexec_b32 s49, s50
	s_cbranch_execz .LBB3_337
.LBB3_336:                              ;   in Loop: Header=BB3_139 Depth=2
	s_waitcnt vmcnt(0)
	v_ashrrev_i32_e32 v7, 31, v6
	s_delay_alu instid0(VALU_DEP_1) | instskip(NEXT) | instid1(VALU_DEP_1)
	v_lshlrev_b64 v[6:7], 2, v[6:7]
	v_add_co_u32 v6, vcc_lo, s15, v6
	s_delay_alu instid0(VALU_DEP_2)
	v_add_co_ci_u32_e32 v7, vcc_lo, s30, v7, vcc_lo
	global_store_b32 v[6:7], v5, off
.LBB3_337:                              ;   in Loop: Header=BB3_139 Depth=2
	s_or_b32 exec_lo, exec_lo, s49
	v_cmp_gt_i32_e32 vcc_lo, 0, v9
	v_add_nc_u32_e32 v7, 1, v4
	s_mov_b32 s50, 0
	s_mov_b32 s49, exec_lo
                                        ; implicit-def: $vgpr6
	s_waitcnt vmcnt(0)
	v_cndmask_b32_e64 v5, 0x7fffffff, 0, vcc_lo
	s_delay_alu instid0(VALU_DEP_1) | instskip(NEXT) | instid1(VALU_DEP_1)
	v_xor_b32_e32 v8, v5, v9
                                        ; implicit-def: $vgpr5
	v_cmpx_ge_u32_e64 v8, v34
	s_xor_b32 s49, exec_lo, s49
	s_cbranch_execz .LBB3_344
; %bb.338:                              ;   in Loop: Header=BB3_139 Depth=2
	s_mov_b32 s51, 0
	s_mov_b32 s50, exec_lo
                                        ; implicit-def: $vgpr5
                                        ; implicit-def: $vgpr6
	v_cmpx_eq_u32_e64 v8, v34
	s_cbranch_execz .LBB3_356
; %bb.339:                              ;   in Loop: Header=BB3_139 Depth=2
	s_mov_b32 s52, exec_lo
	s_mov_b32 s51, exec_lo
	v_mbcnt_lo_u32_b32 v5, s52, 0
                                        ; implicit-def: $vgpr6
	s_delay_alu instid0(VALU_DEP_1)
	v_cmpx_eq_u32_e32 0, v5
	s_cbranch_execz .LBB3_341
; %bb.340:                              ;   in Loop: Header=BB3_139 Depth=2
	s_bcnt1_i32_b32 s52, s52
	s_delay_alu instid0(SALU_CYCLE_1)
	v_mov_b32_e32 v6, s52
	global_atomic_add_u32 v6, v27, v6, s[16:17] offset:512 glc
.LBB3_341:                              ;   in Loop: Header=BB3_139 Depth=2
	s_or_b32 exec_lo, exec_lo, s51
	s_waitcnt vmcnt(0)
	v_readfirstlane_b32 s51, v6
	s_mov_b32 s52, 0
                                        ; implicit-def: $vgpr6
	s_delay_alu instid0(VALU_DEP_1) | instskip(SKIP_1) | instid1(VALU_DEP_1)
	v_add_nc_u32_e32 v8, s51, v5
	s_mov_b32 s51, exec_lo
                                        ; implicit-def: $vgpr5
	v_cmpx_lt_i32_e64 v8, v35
	s_cbranch_execz .LBB3_355
; %bb.342:                              ;   in Loop: Header=BB3_139 Depth=2
	v_xad_u32 v6, v8, -1, s39
	s_and_not1_b32 vcc_lo, exec_lo, s9
	s_cbranch_vccnz .LBB3_352
; %bb.343:                              ;   in Loop: Header=BB3_139 Depth=2
	v_ashrrev_i32_e32 v5, 31, v4
	s_delay_alu instid0(VALU_DEP_1) | instskip(NEXT) | instid1(VALU_DEP_1)
	v_lshlrev_b64 v[8:9], 2, v[4:5]
	v_add_co_u32 v8, vcc_lo, s14, v8
	s_delay_alu instid0(VALU_DEP_2)
	v_add_co_ci_u32_e32 v9, vcc_lo, s21, v9, vcc_lo
	global_load_b32 v5, v[8:9], off
	s_and_not1_b32 vcc_lo, exec_lo, s52
	s_cbranch_vccz .LBB3_353
	s_branch .LBB3_354
.LBB3_344:                              ;   in Loop: Header=BB3_139 Depth=2
	s_and_not1_saveexec_b32 s49, s49
	s_cbranch_execz .LBB3_357
.LBB3_345:                              ;   in Loop: Header=BB3_139 Depth=2
	s_mov_b32 s52, exec_lo
	s_mov_b32 s51, exec_lo
	s_waitcnt vmcnt(0)
	v_mbcnt_lo_u32_b32 v5, s52, 0
                                        ; implicit-def: $vgpr6
	s_delay_alu instid0(VALU_DEP_1)
	v_cmpx_eq_u32_e32 0, v5
	s_cbranch_execz .LBB3_347
; %bb.346:                              ;   in Loop: Header=BB3_139 Depth=2
	s_bcnt1_i32_b32 s52, s52
	s_delay_alu instid0(SALU_CYCLE_1)
	v_mov_b32_e32 v6, s52
	global_atomic_add_u32 v6, v27, v6, s[16:17] offset:384 glc
.LBB3_347:                              ;   in Loop: Header=BB3_139 Depth=2
	s_or_b32 exec_lo, exec_lo, s51
	s_waitcnt vmcnt(0)
	v_readfirstlane_b32 s51, v6
	s_and_not1_b32 vcc_lo, exec_lo, s9
	s_delay_alu instid0(VALU_DEP_1)
	v_add_nc_u32_e32 v6, s51, v5
	s_cbranch_vccnz .LBB3_349
; %bb.348:                              ;   in Loop: Header=BB3_139 Depth=2
	v_ashrrev_i32_e32 v5, 31, v4
	s_delay_alu instid0(VALU_DEP_1) | instskip(NEXT) | instid1(VALU_DEP_1)
	v_lshlrev_b64 v[8:9], 2, v[4:5]
	v_add_co_u32 v8, vcc_lo, s14, v8
	s_delay_alu instid0(VALU_DEP_2)
	v_add_co_ci_u32_e32 v9, vcc_lo, s21, v9, vcc_lo
	global_load_b32 v5, v[8:9], off
	s_cbranch_execz .LBB3_350
	s_branch .LBB3_351
.LBB3_349:                              ;   in Loop: Header=BB3_139 Depth=2
                                        ; implicit-def: $vgpr5
.LBB3_350:                              ;   in Loop: Header=BB3_139 Depth=2
	s_waitcnt vmcnt(0)
	v_add_nc_u32_e32 v5, s13, v7
.LBB3_351:                              ;   in Loop: Header=BB3_139 Depth=2
	s_or_b32 s50, s50, exec_lo
	s_or_b32 exec_lo, exec_lo, s49
	s_and_saveexec_b32 s49, s50
	s_cbranch_execnz .LBB3_358
	s_branch .LBB3_359
.LBB3_352:                              ;   in Loop: Header=BB3_139 Depth=2
                                        ; implicit-def: $vgpr5
.LBB3_353:                              ;   in Loop: Header=BB3_139 Depth=2
	s_waitcnt vmcnt(0)
	v_add_nc_u32_e32 v5, s13, v7
.LBB3_354:                              ;   in Loop: Header=BB3_139 Depth=2
	s_mov_b32 s52, exec_lo
.LBB3_355:                              ;   in Loop: Header=BB3_139 Depth=2
	s_or_b32 exec_lo, exec_lo, s51
	s_delay_alu instid0(SALU_CYCLE_1)
	s_and_b32 s51, s52, exec_lo
.LBB3_356:                              ;   in Loop: Header=BB3_139 Depth=2
	s_or_b32 exec_lo, exec_lo, s50
	s_delay_alu instid0(SALU_CYCLE_1)
	s_and_b32 s50, s51, exec_lo
                                        ; implicit-def: $vgpr7
	s_and_not1_saveexec_b32 s49, s49
	s_cbranch_execnz .LBB3_345
.LBB3_357:                              ;   in Loop: Header=BB3_139 Depth=2
	s_or_b32 exec_lo, exec_lo, s49
	s_and_saveexec_b32 s49, s50
	s_cbranch_execz .LBB3_359
.LBB3_358:                              ;   in Loop: Header=BB3_139 Depth=2
	v_ashrrev_i32_e32 v7, 31, v6
	s_delay_alu instid0(VALU_DEP_1) | instskip(NEXT) | instid1(VALU_DEP_1)
	v_lshlrev_b64 v[6:7], 2, v[6:7]
	v_add_co_u32 v6, vcc_lo, s15, v6
	s_delay_alu instid0(VALU_DEP_2)
	v_add_co_ci_u32_e32 v7, vcc_lo, s30, v7, vcc_lo
	s_waitcnt vmcnt(0)
	global_store_b32 v[6:7], v5, off
.LBB3_359:                              ;   in Loop: Header=BB3_139 Depth=2
	s_or_b32 exec_lo, exec_lo, s49
	v_cmp_gt_i32_e32 vcc_lo, 0, v10
	v_add_nc_u32_e32 v7, 2, v4
	s_mov_b32 s50, 0
	s_mov_b32 s49, exec_lo
                                        ; implicit-def: $vgpr6
	s_waitcnt vmcnt(0)
	v_cndmask_b32_e64 v5, 0x7fffffff, 0, vcc_lo
	s_delay_alu instid0(VALU_DEP_1) | instskip(NEXT) | instid1(VALU_DEP_1)
	v_xor_b32_e32 v8, v5, v10
                                        ; implicit-def: $vgpr5
	v_cmpx_ge_u32_e64 v8, v34
	s_xor_b32 s49, exec_lo, s49
	s_cbranch_execz .LBB3_366
; %bb.360:                              ;   in Loop: Header=BB3_139 Depth=2
	s_mov_b32 s51, 0
	s_mov_b32 s50, exec_lo
                                        ; implicit-def: $vgpr5
                                        ; implicit-def: $vgpr6
	v_cmpx_eq_u32_e64 v8, v34
	s_cbranch_execz .LBB3_378
; %bb.361:                              ;   in Loop: Header=BB3_139 Depth=2
	s_mov_b32 s52, exec_lo
	s_mov_b32 s51, exec_lo
	v_mbcnt_lo_u32_b32 v5, s52, 0
                                        ; implicit-def: $vgpr6
	s_delay_alu instid0(VALU_DEP_1)
	v_cmpx_eq_u32_e32 0, v5
	s_cbranch_execz .LBB3_363
; %bb.362:                              ;   in Loop: Header=BB3_139 Depth=2
	s_bcnt1_i32_b32 s52, s52
	s_delay_alu instid0(SALU_CYCLE_1)
	v_mov_b32_e32 v6, s52
	global_atomic_add_u32 v6, v27, v6, s[16:17] offset:512 glc
.LBB3_363:                              ;   in Loop: Header=BB3_139 Depth=2
	s_or_b32 exec_lo, exec_lo, s51
	s_waitcnt vmcnt(0)
	v_readfirstlane_b32 s51, v6
	s_mov_b32 s52, 0
                                        ; implicit-def: $vgpr6
	s_delay_alu instid0(VALU_DEP_1) | instskip(SKIP_1) | instid1(VALU_DEP_1)
	v_add_nc_u32_e32 v8, s51, v5
	s_mov_b32 s51, exec_lo
                                        ; implicit-def: $vgpr5
	v_cmpx_lt_i32_e64 v8, v35
	s_cbranch_execz .LBB3_377
; %bb.364:                              ;   in Loop: Header=BB3_139 Depth=2
	v_xad_u32 v6, v8, -1, s39
	s_and_not1_b32 vcc_lo, exec_lo, s9
	s_cbranch_vccnz .LBB3_374
; %bb.365:                              ;   in Loop: Header=BB3_139 Depth=2
	v_ashrrev_i32_e32 v5, 31, v4
	s_delay_alu instid0(VALU_DEP_1) | instskip(NEXT) | instid1(VALU_DEP_1)
	v_lshlrev_b64 v[8:9], 2, v[4:5]
	v_add_co_u32 v8, vcc_lo, s33, v8
	s_delay_alu instid0(VALU_DEP_2)
	v_add_co_ci_u32_e32 v9, vcc_lo, s34, v9, vcc_lo
	global_load_b32 v5, v[8:9], off
	s_and_not1_b32 vcc_lo, exec_lo, s52
	s_cbranch_vccz .LBB3_375
	s_branch .LBB3_376
.LBB3_366:                              ;   in Loop: Header=BB3_139 Depth=2
	s_and_not1_saveexec_b32 s49, s49
	s_cbranch_execz .LBB3_379
.LBB3_367:                              ;   in Loop: Header=BB3_139 Depth=2
	s_mov_b32 s52, exec_lo
	s_mov_b32 s51, exec_lo
	s_waitcnt vmcnt(0)
	v_mbcnt_lo_u32_b32 v5, s52, 0
                                        ; implicit-def: $vgpr6
	s_delay_alu instid0(VALU_DEP_1)
	v_cmpx_eq_u32_e32 0, v5
	s_cbranch_execz .LBB3_369
; %bb.368:                              ;   in Loop: Header=BB3_139 Depth=2
	s_bcnt1_i32_b32 s52, s52
	s_delay_alu instid0(SALU_CYCLE_1)
	v_mov_b32_e32 v6, s52
	global_atomic_add_u32 v6, v27, v6, s[16:17] offset:384 glc
.LBB3_369:                              ;   in Loop: Header=BB3_139 Depth=2
	s_or_b32 exec_lo, exec_lo, s51
	s_waitcnt vmcnt(0)
	v_readfirstlane_b32 s51, v6
	s_and_not1_b32 vcc_lo, exec_lo, s9
	s_delay_alu instid0(VALU_DEP_1)
	v_add_nc_u32_e32 v6, s51, v5
	s_cbranch_vccnz .LBB3_371
; %bb.370:                              ;   in Loop: Header=BB3_139 Depth=2
	v_ashrrev_i32_e32 v5, 31, v4
	s_delay_alu instid0(VALU_DEP_1) | instskip(NEXT) | instid1(VALU_DEP_1)
	v_lshlrev_b64 v[8:9], 2, v[4:5]
	v_add_co_u32 v8, vcc_lo, s33, v8
	s_delay_alu instid0(VALU_DEP_2)
	v_add_co_ci_u32_e32 v9, vcc_lo, s34, v9, vcc_lo
	global_load_b32 v5, v[8:9], off
	s_cbranch_execz .LBB3_372
	s_branch .LBB3_373
.LBB3_371:                              ;   in Loop: Header=BB3_139 Depth=2
                                        ; implicit-def: $vgpr5
.LBB3_372:                              ;   in Loop: Header=BB3_139 Depth=2
	s_waitcnt vmcnt(0)
	v_add_nc_u32_e32 v5, s13, v7
.LBB3_373:                              ;   in Loop: Header=BB3_139 Depth=2
	s_or_b32 s50, s50, exec_lo
	s_or_b32 exec_lo, exec_lo, s49
	s_and_saveexec_b32 s49, s50
	s_cbranch_execnz .LBB3_380
	s_branch .LBB3_381
.LBB3_374:                              ;   in Loop: Header=BB3_139 Depth=2
                                        ; implicit-def: $vgpr5
.LBB3_375:                              ;   in Loop: Header=BB3_139 Depth=2
	s_waitcnt vmcnt(0)
	v_add_nc_u32_e32 v5, s13, v7
.LBB3_376:                              ;   in Loop: Header=BB3_139 Depth=2
	s_mov_b32 s52, exec_lo
.LBB3_377:                              ;   in Loop: Header=BB3_139 Depth=2
	s_or_b32 exec_lo, exec_lo, s51
	s_delay_alu instid0(SALU_CYCLE_1)
	s_and_b32 s51, s52, exec_lo
.LBB3_378:                              ;   in Loop: Header=BB3_139 Depth=2
	s_or_b32 exec_lo, exec_lo, s50
	s_delay_alu instid0(SALU_CYCLE_1)
	s_and_b32 s50, s51, exec_lo
                                        ; implicit-def: $vgpr7
	s_and_not1_saveexec_b32 s49, s49
	s_cbranch_execnz .LBB3_367
.LBB3_379:                              ;   in Loop: Header=BB3_139 Depth=2
	s_or_b32 exec_lo, exec_lo, s49
	s_and_saveexec_b32 s49, s50
	s_cbranch_execz .LBB3_381
.LBB3_380:                              ;   in Loop: Header=BB3_139 Depth=2
	v_ashrrev_i32_e32 v7, 31, v6
	s_delay_alu instid0(VALU_DEP_1) | instskip(NEXT) | instid1(VALU_DEP_1)
	v_lshlrev_b64 v[6:7], 2, v[6:7]
	v_add_co_u32 v6, vcc_lo, s15, v6
	s_delay_alu instid0(VALU_DEP_2)
	v_add_co_ci_u32_e32 v7, vcc_lo, s30, v7, vcc_lo
	s_waitcnt vmcnt(0)
	global_store_b32 v[6:7], v5, off
.LBB3_381:                              ;   in Loop: Header=BB3_139 Depth=2
	s_or_b32 exec_lo, exec_lo, s49
	v_cmp_gt_i32_e32 vcc_lo, 0, v11
	v_add_nc_u32_e32 v7, 3, v4
	s_mov_b32 s50, 0
	s_mov_b32 s49, exec_lo
                                        ; implicit-def: $vgpr6
	s_waitcnt vmcnt(0)
	v_cndmask_b32_e64 v5, 0x7fffffff, 0, vcc_lo
	s_delay_alu instid0(VALU_DEP_1) | instskip(NEXT) | instid1(VALU_DEP_1)
	v_xor_b32_e32 v8, v5, v11
                                        ; implicit-def: $vgpr5
	v_cmpx_ge_u32_e64 v8, v34
	s_xor_b32 s49, exec_lo, s49
	s_cbranch_execz .LBB3_388
; %bb.382:                              ;   in Loop: Header=BB3_139 Depth=2
	s_mov_b32 s51, 0
	s_mov_b32 s50, exec_lo
                                        ; implicit-def: $vgpr5
                                        ; implicit-def: $vgpr6
	v_cmpx_eq_u32_e64 v8, v34
	s_cbranch_execz .LBB3_400
; %bb.383:                              ;   in Loop: Header=BB3_139 Depth=2
	s_mov_b32 s52, exec_lo
	s_mov_b32 s51, exec_lo
	v_mbcnt_lo_u32_b32 v5, s52, 0
                                        ; implicit-def: $vgpr6
	s_delay_alu instid0(VALU_DEP_1)
	v_cmpx_eq_u32_e32 0, v5
	s_cbranch_execz .LBB3_385
; %bb.384:                              ;   in Loop: Header=BB3_139 Depth=2
	s_bcnt1_i32_b32 s52, s52
	s_delay_alu instid0(SALU_CYCLE_1)
	v_mov_b32_e32 v6, s52
	global_atomic_add_u32 v6, v27, v6, s[16:17] offset:512 glc
.LBB3_385:                              ;   in Loop: Header=BB3_139 Depth=2
	s_or_b32 exec_lo, exec_lo, s51
	s_waitcnt vmcnt(0)
	v_readfirstlane_b32 s51, v6
	s_mov_b32 s52, 0
                                        ; implicit-def: $vgpr6
	s_delay_alu instid0(VALU_DEP_1) | instskip(SKIP_1) | instid1(VALU_DEP_1)
	v_add_nc_u32_e32 v8, s51, v5
	s_mov_b32 s51, exec_lo
                                        ; implicit-def: $vgpr5
	v_cmpx_lt_i32_e64 v8, v35
	s_cbranch_execz .LBB3_399
; %bb.386:                              ;   in Loop: Header=BB3_139 Depth=2
	v_xad_u32 v6, v8, -1, s39
	s_and_not1_b32 vcc_lo, exec_lo, s9
	s_cbranch_vccnz .LBB3_396
; %bb.387:                              ;   in Loop: Header=BB3_139 Depth=2
	v_ashrrev_i32_e32 v5, 31, v4
	s_delay_alu instid0(VALU_DEP_1) | instskip(NEXT) | instid1(VALU_DEP_1)
	v_lshlrev_b64 v[4:5], 2, v[4:5]
	v_add_co_u32 v4, vcc_lo, s35, v4
	s_delay_alu instid0(VALU_DEP_2)
	v_add_co_ci_u32_e32 v5, vcc_lo, s36, v5, vcc_lo
	global_load_b32 v5, v[4:5], off
	s_and_not1_b32 vcc_lo, exec_lo, s52
	s_cbranch_vccz .LBB3_397
	s_branch .LBB3_398
.LBB3_388:                              ;   in Loop: Header=BB3_139 Depth=2
	s_and_not1_saveexec_b32 s49, s49
	s_cbranch_execz .LBB3_401
.LBB3_389:                              ;   in Loop: Header=BB3_139 Depth=2
	s_mov_b32 s52, exec_lo
	s_mov_b32 s51, exec_lo
	s_waitcnt vmcnt(0)
	v_mbcnt_lo_u32_b32 v5, s52, 0
                                        ; implicit-def: $vgpr6
	s_delay_alu instid0(VALU_DEP_1)
	v_cmpx_eq_u32_e32 0, v5
	s_cbranch_execz .LBB3_391
; %bb.390:                              ;   in Loop: Header=BB3_139 Depth=2
	s_bcnt1_i32_b32 s52, s52
	s_delay_alu instid0(SALU_CYCLE_1)
	v_mov_b32_e32 v6, s52
	global_atomic_add_u32 v6, v27, v6, s[16:17] offset:384 glc
.LBB3_391:                              ;   in Loop: Header=BB3_139 Depth=2
	s_or_b32 exec_lo, exec_lo, s51
	s_waitcnt vmcnt(0)
	v_readfirstlane_b32 s51, v6
	s_and_not1_b32 vcc_lo, exec_lo, s9
	s_delay_alu instid0(VALU_DEP_1)
	v_add_nc_u32_e32 v6, s51, v5
	s_cbranch_vccnz .LBB3_393
; %bb.392:                              ;   in Loop: Header=BB3_139 Depth=2
	v_ashrrev_i32_e32 v5, 31, v4
	s_delay_alu instid0(VALU_DEP_1) | instskip(NEXT) | instid1(VALU_DEP_1)
	v_lshlrev_b64 v[4:5], 2, v[4:5]
	v_add_co_u32 v4, vcc_lo, s35, v4
	s_delay_alu instid0(VALU_DEP_2)
	v_add_co_ci_u32_e32 v5, vcc_lo, s36, v5, vcc_lo
	global_load_b32 v5, v[4:5], off
	s_cbranch_execz .LBB3_394
	s_branch .LBB3_395
.LBB3_393:                              ;   in Loop: Header=BB3_139 Depth=2
                                        ; implicit-def: $vgpr5
.LBB3_394:                              ;   in Loop: Header=BB3_139 Depth=2
	s_waitcnt vmcnt(0)
	v_add_nc_u32_e32 v5, s13, v7
.LBB3_395:                              ;   in Loop: Header=BB3_139 Depth=2
	s_or_b32 s50, s50, exec_lo
	s_or_b32 exec_lo, exec_lo, s49
	s_and_saveexec_b32 s49, s50
	s_cbranch_execnz .LBB3_402
	s_branch .LBB3_403
.LBB3_396:                              ;   in Loop: Header=BB3_139 Depth=2
                                        ; implicit-def: $vgpr5
.LBB3_397:                              ;   in Loop: Header=BB3_139 Depth=2
	s_waitcnt vmcnt(0)
	v_add_nc_u32_e32 v5, s13, v7
.LBB3_398:                              ;   in Loop: Header=BB3_139 Depth=2
	s_mov_b32 s52, exec_lo
.LBB3_399:                              ;   in Loop: Header=BB3_139 Depth=2
	s_or_b32 exec_lo, exec_lo, s51
	s_delay_alu instid0(SALU_CYCLE_1)
	s_and_b32 s51, s52, exec_lo
.LBB3_400:                              ;   in Loop: Header=BB3_139 Depth=2
	s_or_b32 exec_lo, exec_lo, s50
	s_delay_alu instid0(SALU_CYCLE_1)
	s_and_b32 s50, s51, exec_lo
                                        ; implicit-def: $vgpr7
                                        ; implicit-def: $vgpr4
	s_and_not1_saveexec_b32 s49, s49
	s_cbranch_execnz .LBB3_389
.LBB3_401:                              ;   in Loop: Header=BB3_139 Depth=2
	s_or_b32 exec_lo, exec_lo, s49
	s_and_saveexec_b32 s49, s50
	s_cbranch_execz .LBB3_403
.LBB3_402:                              ;   in Loop: Header=BB3_139 Depth=2
	v_ashrrev_i32_e32 v7, 31, v6
	s_delay_alu instid0(VALU_DEP_1) | instskip(NEXT) | instid1(VALU_DEP_1)
	v_lshlrev_b64 v[6:7], 2, v[6:7]
	v_add_co_u32 v6, vcc_lo, s15, v6
	s_delay_alu instid0(VALU_DEP_2)
	v_add_co_ci_u32_e32 v7, vcc_lo, s30, v7, vcc_lo
	s_waitcnt vmcnt(0)
	global_store_b32 v[6:7], v5, off
.LBB3_403:                              ;   in Loop: Header=BB3_139 Depth=2
	s_or_b32 exec_lo, exec_lo, s49
	v_cmp_gt_i32_e32 vcc_lo, 0, v0
	s_mov_b32 s50, 0
	s_mov_b32 s49, exec_lo
                                        ; implicit-def: $vgpr6
	v_cndmask_b32_e64 v4, 0x7fffffff, 0, vcc_lo
	s_waitcnt vmcnt(0)
	s_delay_alu instid0(VALU_DEP_1) | instskip(SKIP_1) | instid1(VALU_DEP_2)
	v_xor_b32_e32 v5, v4, v0
	v_lshl_add_u32 v4, v38, 2, s20
                                        ; implicit-def: $vgpr0
	v_cmpx_ge_u32_e64 v5, v34
	s_xor_b32 s49, exec_lo, s49
	s_cbranch_execz .LBB3_410
; %bb.404:                              ;   in Loop: Header=BB3_139 Depth=2
	s_mov_b32 s51, 0
	s_mov_b32 s50, exec_lo
                                        ; implicit-def: $vgpr0
                                        ; implicit-def: $vgpr6
	v_cmpx_eq_u32_e64 v5, v34
	s_cbranch_execz .LBB3_422
; %bb.405:                              ;   in Loop: Header=BB3_139 Depth=2
	s_mov_b32 s52, exec_lo
	s_mov_b32 s51, exec_lo
	v_mbcnt_lo_u32_b32 v0, s52, 0
                                        ; implicit-def: $vgpr5
	s_delay_alu instid0(VALU_DEP_1)
	v_cmpx_eq_u32_e32 0, v0
	s_cbranch_execz .LBB3_407
; %bb.406:                              ;   in Loop: Header=BB3_139 Depth=2
	s_bcnt1_i32_b32 s52, s52
	s_delay_alu instid0(SALU_CYCLE_1)
	v_mov_b32_e32 v5, s52
	global_atomic_add_u32 v5, v27, v5, s[16:17] offset:512 glc
.LBB3_407:                              ;   in Loop: Header=BB3_139 Depth=2
	s_or_b32 exec_lo, exec_lo, s51
	s_waitcnt vmcnt(0)
	v_readfirstlane_b32 s51, v5
	s_mov_b32 s52, 0
                                        ; implicit-def: $vgpr6
	s_delay_alu instid0(VALU_DEP_1) | instskip(SKIP_1) | instid1(VALU_DEP_1)
	v_add_nc_u32_e32 v5, s51, v0
	s_mov_b32 s51, exec_lo
                                        ; implicit-def: $vgpr0
	v_cmpx_lt_i32_e64 v5, v35
	s_xor_b32 s51, exec_lo, s51
	s_cbranch_execz .LBB3_421
; %bb.408:                              ;   in Loop: Header=BB3_139 Depth=2
	v_xad_u32 v6, v5, -1, s39
	s_and_not1_b32 vcc_lo, exec_lo, s9
	s_cbranch_vccnz .LBB3_418
; %bb.409:                              ;   in Loop: Header=BB3_139 Depth=2
	v_ashrrev_i32_e32 v5, 31, v4
	s_delay_alu instid0(VALU_DEP_1) | instskip(NEXT) | instid1(VALU_DEP_1)
	v_lshlrev_b64 v[7:8], 2, v[4:5]
	v_add_co_u32 v7, vcc_lo, s10, v7
	s_delay_alu instid0(VALU_DEP_2)
	v_add_co_ci_u32_e32 v8, vcc_lo, s11, v8, vcc_lo
	global_load_b32 v0, v[7:8], off
	s_and_not1_b32 vcc_lo, exec_lo, s52
	s_cbranch_vccz .LBB3_419
	s_branch .LBB3_420
.LBB3_410:                              ;   in Loop: Header=BB3_139 Depth=2
	s_and_not1_saveexec_b32 s49, s49
	s_cbranch_execz .LBB3_423
.LBB3_411:                              ;   in Loop: Header=BB3_139 Depth=2
	s_mov_b32 s52, exec_lo
	s_mov_b32 s51, exec_lo
	s_waitcnt vmcnt(0)
	v_mbcnt_lo_u32_b32 v0, s52, 0
                                        ; implicit-def: $vgpr5
	s_delay_alu instid0(VALU_DEP_1)
	v_cmpx_eq_u32_e32 0, v0
	s_cbranch_execz .LBB3_413
; %bb.412:                              ;   in Loop: Header=BB3_139 Depth=2
	s_bcnt1_i32_b32 s52, s52
	s_delay_alu instid0(SALU_CYCLE_1)
	v_mov_b32_e32 v5, s52
	global_atomic_add_u32 v5, v27, v5, s[16:17] offset:384 glc
.LBB3_413:                              ;   in Loop: Header=BB3_139 Depth=2
	s_or_b32 exec_lo, exec_lo, s51
	s_waitcnt vmcnt(0)
	v_readfirstlane_b32 s51, v5
	s_and_not1_b32 vcc_lo, exec_lo, s9
	s_delay_alu instid0(VALU_DEP_1)
	v_add_nc_u32_e32 v6, s51, v0
	s_cbranch_vccnz .LBB3_415
; %bb.414:                              ;   in Loop: Header=BB3_139 Depth=2
	v_ashrrev_i32_e32 v5, 31, v4
	s_delay_alu instid0(VALU_DEP_1) | instskip(NEXT) | instid1(VALU_DEP_1)
	v_lshlrev_b64 v[7:8], 2, v[4:5]
	v_add_co_u32 v7, vcc_lo, s10, v7
	s_delay_alu instid0(VALU_DEP_2)
	v_add_co_ci_u32_e32 v8, vcc_lo, s11, v8, vcc_lo
	global_load_b32 v0, v[7:8], off
	s_cbranch_execz .LBB3_416
	s_branch .LBB3_417
.LBB3_415:                              ;   in Loop: Header=BB3_139 Depth=2
                                        ; implicit-def: $vgpr0
.LBB3_416:                              ;   in Loop: Header=BB3_139 Depth=2
	s_waitcnt vmcnt(0)
	v_add_nc_u32_e32 v0, s13, v4
.LBB3_417:                              ;   in Loop: Header=BB3_139 Depth=2
	s_or_b32 s50, s50, exec_lo
	s_or_b32 exec_lo, exec_lo, s49
	s_and_saveexec_b32 s49, s50
	s_cbranch_execnz .LBB3_424
	s_branch .LBB3_425
.LBB3_418:                              ;   in Loop: Header=BB3_139 Depth=2
                                        ; implicit-def: $vgpr0
.LBB3_419:                              ;   in Loop: Header=BB3_139 Depth=2
	s_waitcnt vmcnt(0)
	v_add_nc_u32_e32 v0, s13, v4
.LBB3_420:                              ;   in Loop: Header=BB3_139 Depth=2
	s_mov_b32 s52, exec_lo
.LBB3_421:                              ;   in Loop: Header=BB3_139 Depth=2
	s_or_b32 exec_lo, exec_lo, s51
	s_delay_alu instid0(SALU_CYCLE_1)
	s_and_b32 s51, s52, exec_lo
.LBB3_422:                              ;   in Loop: Header=BB3_139 Depth=2
	s_or_b32 exec_lo, exec_lo, s50
	s_delay_alu instid0(SALU_CYCLE_1)
	s_and_b32 s50, s51, exec_lo
	s_and_not1_saveexec_b32 s49, s49
	s_cbranch_execnz .LBB3_411
.LBB3_423:                              ;   in Loop: Header=BB3_139 Depth=2
	s_or_b32 exec_lo, exec_lo, s49
	s_and_saveexec_b32 s49, s50
	s_cbranch_execz .LBB3_425
.LBB3_424:                              ;   in Loop: Header=BB3_139 Depth=2
	v_ashrrev_i32_e32 v7, 31, v6
	s_delay_alu instid0(VALU_DEP_1) | instskip(NEXT) | instid1(VALU_DEP_1)
	v_lshlrev_b64 v[5:6], 2, v[6:7]
	v_add_co_u32 v5, vcc_lo, s15, v5
	s_delay_alu instid0(VALU_DEP_2)
	v_add_co_ci_u32_e32 v6, vcc_lo, s30, v6, vcc_lo
	s_waitcnt vmcnt(0)
	global_store_b32 v[5:6], v0, off
.LBB3_425:                              ;   in Loop: Header=BB3_139 Depth=2
	s_or_b32 exec_lo, exec_lo, s49
	v_cmp_gt_i32_e32 vcc_lo, 0, v1
	s_mov_b32 s50, 0
	s_mov_b32 s49, exec_lo
                                        ; implicit-def: $vgpr5
	s_waitcnt vmcnt(0)
	v_cndmask_b32_e64 v0, 0x7fffffff, 0, vcc_lo
	s_delay_alu instid0(VALU_DEP_1) | instskip(SKIP_1) | instid1(VALU_DEP_2)
	v_xor_b32_e32 v6, v0, v1
	v_add_nc_u32_e32 v1, 1, v4
                                        ; implicit-def: $vgpr0
	v_cmpx_ge_u32_e64 v6, v34
	s_xor_b32 s49, exec_lo, s49
	s_cbranch_execz .LBB3_432
; %bb.426:                              ;   in Loop: Header=BB3_139 Depth=2
	s_mov_b32 s51, 0
	s_mov_b32 s50, exec_lo
                                        ; implicit-def: $vgpr5
                                        ; implicit-def: $vgpr0
	v_cmpx_eq_u32_e64 v6, v34
	s_cbranch_execz .LBB3_444
; %bb.427:                              ;   in Loop: Header=BB3_139 Depth=2
	s_mov_b32 s52, exec_lo
	s_mov_b32 s51, exec_lo
	v_mbcnt_lo_u32_b32 v0, s52, 0
                                        ; implicit-def: $vgpr5
	s_delay_alu instid0(VALU_DEP_1)
	v_cmpx_eq_u32_e32 0, v0
	s_cbranch_execz .LBB3_429
; %bb.428:                              ;   in Loop: Header=BB3_139 Depth=2
	s_bcnt1_i32_b32 s52, s52
	s_delay_alu instid0(SALU_CYCLE_1)
	v_mov_b32_e32 v5, s52
	global_atomic_add_u32 v5, v27, v5, s[16:17] offset:512 glc
.LBB3_429:                              ;   in Loop: Header=BB3_139 Depth=2
	s_or_b32 exec_lo, exec_lo, s51
	s_waitcnt vmcnt(0)
	v_readfirstlane_b32 s51, v5
	s_mov_b32 s52, 0
                                        ; implicit-def: $vgpr5
	s_delay_alu instid0(VALU_DEP_1) | instskip(SKIP_1) | instid1(VALU_DEP_1)
	v_add_nc_u32_e32 v6, s51, v0
	s_mov_b32 s51, exec_lo
                                        ; implicit-def: $vgpr0
	v_cmpx_lt_i32_e64 v6, v35
	s_cbranch_execz .LBB3_443
; %bb.430:                              ;   in Loop: Header=BB3_139 Depth=2
	v_xad_u32 v0, v6, -1, s39
	s_and_not1_b32 vcc_lo, exec_lo, s9
	s_cbranch_vccnz .LBB3_440
; %bb.431:                              ;   in Loop: Header=BB3_139 Depth=2
	v_ashrrev_i32_e32 v5, 31, v4
	s_delay_alu instid0(VALU_DEP_1) | instskip(NEXT) | instid1(VALU_DEP_1)
	v_lshlrev_b64 v[5:6], 2, v[4:5]
	v_add_co_u32 v5, vcc_lo, s14, v5
	s_delay_alu instid0(VALU_DEP_2)
	v_add_co_ci_u32_e32 v6, vcc_lo, s21, v6, vcc_lo
	global_load_b32 v5, v[5:6], off
	s_and_not1_b32 vcc_lo, exec_lo, s52
	s_cbranch_vccz .LBB3_441
	s_branch .LBB3_442
.LBB3_432:                              ;   in Loop: Header=BB3_139 Depth=2
	s_and_not1_saveexec_b32 s49, s49
	s_cbranch_execz .LBB3_445
.LBB3_433:                              ;   in Loop: Header=BB3_139 Depth=2
	s_mov_b32 s52, exec_lo
	s_mov_b32 s51, exec_lo
	v_mbcnt_lo_u32_b32 v0, s52, 0
                                        ; implicit-def: $vgpr5
	s_delay_alu instid0(VALU_DEP_1)
	v_cmpx_eq_u32_e32 0, v0
	s_cbranch_execz .LBB3_435
; %bb.434:                              ;   in Loop: Header=BB3_139 Depth=2
	s_bcnt1_i32_b32 s52, s52
	s_waitcnt vmcnt(0)
	v_mov_b32_e32 v5, s52
	global_atomic_add_u32 v5, v27, v5, s[16:17] offset:384 glc
.LBB3_435:                              ;   in Loop: Header=BB3_139 Depth=2
	s_or_b32 exec_lo, exec_lo, s51
	s_waitcnt vmcnt(0)
	v_readfirstlane_b32 s51, v5
	s_and_not1_b32 vcc_lo, exec_lo, s9
	s_delay_alu instid0(VALU_DEP_1)
	v_add_nc_u32_e32 v0, s51, v0
	s_cbranch_vccnz .LBB3_437
; %bb.436:                              ;   in Loop: Header=BB3_139 Depth=2
	v_ashrrev_i32_e32 v5, 31, v4
	s_delay_alu instid0(VALU_DEP_1) | instskip(NEXT) | instid1(VALU_DEP_1)
	v_lshlrev_b64 v[5:6], 2, v[4:5]
	v_add_co_u32 v5, vcc_lo, s14, v5
	s_delay_alu instid0(VALU_DEP_2)
	v_add_co_ci_u32_e32 v6, vcc_lo, s21, v6, vcc_lo
	global_load_b32 v5, v[5:6], off
	s_cbranch_execz .LBB3_438
	s_branch .LBB3_439
.LBB3_437:                              ;   in Loop: Header=BB3_139 Depth=2
                                        ; implicit-def: $vgpr5
.LBB3_438:                              ;   in Loop: Header=BB3_139 Depth=2
	s_waitcnt vmcnt(0)
	v_add_nc_u32_e32 v5, s13, v1
.LBB3_439:                              ;   in Loop: Header=BB3_139 Depth=2
	s_or_b32 s50, s50, exec_lo
	s_or_b32 exec_lo, exec_lo, s49
	s_and_saveexec_b32 s49, s50
	s_cbranch_execnz .LBB3_446
	s_branch .LBB3_447
.LBB3_440:                              ;   in Loop: Header=BB3_139 Depth=2
                                        ; implicit-def: $vgpr5
.LBB3_441:                              ;   in Loop: Header=BB3_139 Depth=2
	s_waitcnt vmcnt(0)
	v_add_nc_u32_e32 v5, s13, v1
.LBB3_442:                              ;   in Loop: Header=BB3_139 Depth=2
	s_mov_b32 s52, exec_lo
.LBB3_443:                              ;   in Loop: Header=BB3_139 Depth=2
	s_or_b32 exec_lo, exec_lo, s51
	s_delay_alu instid0(SALU_CYCLE_1)
	s_and_b32 s51, s52, exec_lo
.LBB3_444:                              ;   in Loop: Header=BB3_139 Depth=2
	s_or_b32 exec_lo, exec_lo, s50
	s_delay_alu instid0(SALU_CYCLE_1)
	s_and_b32 s50, s51, exec_lo
                                        ; implicit-def: $vgpr1
	s_and_not1_saveexec_b32 s49, s49
	s_cbranch_execnz .LBB3_433
.LBB3_445:                              ;   in Loop: Header=BB3_139 Depth=2
	s_or_b32 exec_lo, exec_lo, s49
	s_and_saveexec_b32 s49, s50
	s_cbranch_execz .LBB3_447
.LBB3_446:                              ;   in Loop: Header=BB3_139 Depth=2
	v_ashrrev_i32_e32 v1, 31, v0
	s_delay_alu instid0(VALU_DEP_1) | instskip(NEXT) | instid1(VALU_DEP_1)
	v_lshlrev_b64 v[0:1], 2, v[0:1]
	v_add_co_u32 v0, vcc_lo, s15, v0
	s_delay_alu instid0(VALU_DEP_2)
	v_add_co_ci_u32_e32 v1, vcc_lo, s30, v1, vcc_lo
	s_waitcnt vmcnt(0)
	global_store_b32 v[0:1], v5, off
.LBB3_447:                              ;   in Loop: Header=BB3_139 Depth=2
	s_or_b32 exec_lo, exec_lo, s49
	v_cmp_gt_i32_e32 vcc_lo, 0, v2
	v_add_nc_u32_e32 v1, 2, v4
	s_mov_b32 s50, 0
	s_mov_b32 s49, exec_lo
	v_cndmask_b32_e64 v0, 0x7fffffff, 0, vcc_lo
	s_waitcnt vmcnt(0)
	s_delay_alu instid0(VALU_DEP_1) | instskip(NEXT) | instid1(VALU_DEP_1)
	v_xor_b32_e32 v5, v0, v2
                                        ; implicit-def: $vgpr2
                                        ; implicit-def: $vgpr0
	v_cmpx_ge_u32_e64 v5, v34
	s_xor_b32 s49, exec_lo, s49
	s_cbranch_execz .LBB3_454
; %bb.448:                              ;   in Loop: Header=BB3_139 Depth=2
	s_mov_b32 s51, 0
	s_mov_b32 s50, exec_lo
                                        ; implicit-def: $vgpr2
                                        ; implicit-def: $vgpr0
	v_cmpx_eq_u32_e64 v5, v34
	s_cbranch_execz .LBB3_466
; %bb.449:                              ;   in Loop: Header=BB3_139 Depth=2
	s_mov_b32 s52, exec_lo
	s_mov_b32 s51, exec_lo
	v_mbcnt_lo_u32_b32 v0, s52, 0
                                        ; implicit-def: $vgpr2
	s_delay_alu instid0(VALU_DEP_1)
	v_cmpx_eq_u32_e32 0, v0
	s_cbranch_execz .LBB3_451
; %bb.450:                              ;   in Loop: Header=BB3_139 Depth=2
	s_bcnt1_i32_b32 s52, s52
	s_delay_alu instid0(SALU_CYCLE_1)
	v_mov_b32_e32 v2, s52
	global_atomic_add_u32 v2, v27, v2, s[16:17] offset:512 glc
.LBB3_451:                              ;   in Loop: Header=BB3_139 Depth=2
	s_or_b32 exec_lo, exec_lo, s51
	s_waitcnt vmcnt(0)
	v_readfirstlane_b32 s51, v2
	s_mov_b32 s52, 0
                                        ; implicit-def: $vgpr2
	s_delay_alu instid0(VALU_DEP_1) | instskip(SKIP_1) | instid1(VALU_DEP_1)
	v_add_nc_u32_e32 v5, s51, v0
	s_mov_b32 s51, exec_lo
                                        ; implicit-def: $vgpr0
	v_cmpx_lt_i32_e64 v5, v35
	s_cbranch_execz .LBB3_465
; %bb.452:                              ;   in Loop: Header=BB3_139 Depth=2
	v_xad_u32 v0, v5, -1, s39
	s_and_not1_b32 vcc_lo, exec_lo, s9
	s_cbranch_vccnz .LBB3_462
; %bb.453:                              ;   in Loop: Header=BB3_139 Depth=2
	v_ashrrev_i32_e32 v5, 31, v4
	s_delay_alu instid0(VALU_DEP_1) | instskip(NEXT) | instid1(VALU_DEP_1)
	v_lshlrev_b64 v[5:6], 2, v[4:5]
	v_add_co_u32 v5, vcc_lo, s33, v5
	s_delay_alu instid0(VALU_DEP_2)
	v_add_co_ci_u32_e32 v6, vcc_lo, s34, v6, vcc_lo
	global_load_b32 v2, v[5:6], off
	s_and_not1_b32 vcc_lo, exec_lo, s52
	s_cbranch_vccz .LBB3_463
	s_branch .LBB3_464
.LBB3_454:                              ;   in Loop: Header=BB3_139 Depth=2
	s_and_not1_saveexec_b32 s49, s49
	s_cbranch_execz .LBB3_467
.LBB3_455:                              ;   in Loop: Header=BB3_139 Depth=2
	s_mov_b32 s52, exec_lo
	s_mov_b32 s51, exec_lo
	v_mbcnt_lo_u32_b32 v0, s52, 0
                                        ; implicit-def: $vgpr2
	s_delay_alu instid0(VALU_DEP_1)
	v_cmpx_eq_u32_e32 0, v0
	s_cbranch_execz .LBB3_457
; %bb.456:                              ;   in Loop: Header=BB3_139 Depth=2
	s_bcnt1_i32_b32 s52, s52
	s_waitcnt vmcnt(0)
	v_mov_b32_e32 v2, s52
	global_atomic_add_u32 v2, v27, v2, s[16:17] offset:384 glc
.LBB3_457:                              ;   in Loop: Header=BB3_139 Depth=2
	s_or_b32 exec_lo, exec_lo, s51
	s_waitcnt vmcnt(0)
	v_readfirstlane_b32 s51, v2
	s_and_not1_b32 vcc_lo, exec_lo, s9
	s_delay_alu instid0(VALU_DEP_1)
	v_add_nc_u32_e32 v0, s51, v0
	s_cbranch_vccnz .LBB3_459
; %bb.458:                              ;   in Loop: Header=BB3_139 Depth=2
	v_ashrrev_i32_e32 v5, 31, v4
	s_delay_alu instid0(VALU_DEP_1) | instskip(NEXT) | instid1(VALU_DEP_1)
	v_lshlrev_b64 v[5:6], 2, v[4:5]
	v_add_co_u32 v5, vcc_lo, s33, v5
	s_delay_alu instid0(VALU_DEP_2)
	v_add_co_ci_u32_e32 v6, vcc_lo, s34, v6, vcc_lo
	global_load_b32 v2, v[5:6], off
	s_cbranch_execz .LBB3_460
	s_branch .LBB3_461
.LBB3_459:                              ;   in Loop: Header=BB3_139 Depth=2
                                        ; implicit-def: $vgpr2
.LBB3_460:                              ;   in Loop: Header=BB3_139 Depth=2
	s_waitcnt vmcnt(0)
	v_add_nc_u32_e32 v2, s13, v1
.LBB3_461:                              ;   in Loop: Header=BB3_139 Depth=2
	s_or_b32 s50, s50, exec_lo
	s_or_b32 exec_lo, exec_lo, s49
	s_and_saveexec_b32 s49, s50
	s_cbranch_execnz .LBB3_468
	s_branch .LBB3_469
.LBB3_462:                              ;   in Loop: Header=BB3_139 Depth=2
                                        ; implicit-def: $vgpr2
.LBB3_463:                              ;   in Loop: Header=BB3_139 Depth=2
	s_waitcnt vmcnt(0)
	v_add_nc_u32_e32 v2, s13, v1
.LBB3_464:                              ;   in Loop: Header=BB3_139 Depth=2
	s_mov_b32 s52, exec_lo
.LBB3_465:                              ;   in Loop: Header=BB3_139 Depth=2
	s_or_b32 exec_lo, exec_lo, s51
	s_delay_alu instid0(SALU_CYCLE_1)
	s_and_b32 s51, s52, exec_lo
.LBB3_466:                              ;   in Loop: Header=BB3_139 Depth=2
	s_or_b32 exec_lo, exec_lo, s50
	s_delay_alu instid0(SALU_CYCLE_1)
	s_and_b32 s50, s51, exec_lo
                                        ; implicit-def: $vgpr1
	s_and_not1_saveexec_b32 s49, s49
	s_cbranch_execnz .LBB3_455
.LBB3_467:                              ;   in Loop: Header=BB3_139 Depth=2
	s_or_b32 exec_lo, exec_lo, s49
	s_and_saveexec_b32 s49, s50
	s_cbranch_execz .LBB3_469
.LBB3_468:                              ;   in Loop: Header=BB3_139 Depth=2
	v_ashrrev_i32_e32 v1, 31, v0
	s_delay_alu instid0(VALU_DEP_1) | instskip(NEXT) | instid1(VALU_DEP_1)
	v_lshlrev_b64 v[0:1], 2, v[0:1]
	v_add_co_u32 v0, vcc_lo, s15, v0
	s_delay_alu instid0(VALU_DEP_2)
	v_add_co_ci_u32_e32 v1, vcc_lo, s30, v1, vcc_lo
	s_waitcnt vmcnt(0)
	global_store_b32 v[0:1], v2, off
.LBB3_469:                              ;   in Loop: Header=BB3_139 Depth=2
	s_or_b32 exec_lo, exec_lo, s49
	v_cmp_gt_i32_e32 vcc_lo, 0, v3
	v_add_nc_u32_e32 v1, 3, v4
	s_mov_b32 s50, 0
	s_mov_b32 s49, exec_lo
                                        ; implicit-def: $vgpr2
	v_cndmask_b32_e64 v0, 0x7fffffff, 0, vcc_lo
	s_delay_alu instid0(VALU_DEP_1) | instskip(NEXT) | instid1(VALU_DEP_1)
	v_xor_b32_e32 v3, v0, v3
                                        ; implicit-def: $vgpr0
	v_cmpx_ge_u32_e64 v3, v34
	s_xor_b32 s49, exec_lo, s49
	s_cbranch_execz .LBB3_476
; %bb.470:                              ;   in Loop: Header=BB3_139 Depth=2
	s_mov_b32 s51, 0
	s_mov_b32 s50, exec_lo
                                        ; implicit-def: $vgpr2
                                        ; implicit-def: $vgpr0
	v_cmpx_eq_u32_e64 v3, v34
	s_cbranch_execz .LBB3_488
; %bb.471:                              ;   in Loop: Header=BB3_139 Depth=2
	s_mov_b32 s52, exec_lo
	s_mov_b32 s51, exec_lo
	v_mbcnt_lo_u32_b32 v0, s52, 0
                                        ; implicit-def: $vgpr2
	s_delay_alu instid0(VALU_DEP_1)
	v_cmpx_eq_u32_e32 0, v0
	s_cbranch_execz .LBB3_473
; %bb.472:                              ;   in Loop: Header=BB3_139 Depth=2
	s_bcnt1_i32_b32 s52, s52
	s_waitcnt vmcnt(0)
	v_mov_b32_e32 v2, s52
	global_atomic_add_u32 v2, v27, v2, s[16:17] offset:512 glc
.LBB3_473:                              ;   in Loop: Header=BB3_139 Depth=2
	s_or_b32 exec_lo, exec_lo, s51
	s_waitcnt vmcnt(0)
	v_readfirstlane_b32 s51, v2
	s_mov_b32 s52, 0
                                        ; implicit-def: $vgpr2
	s_delay_alu instid0(VALU_DEP_1) | instskip(SKIP_1) | instid1(VALU_DEP_1)
	v_add_nc_u32_e32 v3, s51, v0
	s_mov_b32 s51, exec_lo
                                        ; implicit-def: $vgpr0
	v_cmpx_lt_i32_e64 v3, v35
	s_cbranch_execz .LBB3_487
; %bb.474:                              ;   in Loop: Header=BB3_139 Depth=2
	v_xad_u32 v0, v3, -1, s39
	s_and_not1_b32 vcc_lo, exec_lo, s9
	s_cbranch_vccnz .LBB3_484
; %bb.475:                              ;   in Loop: Header=BB3_139 Depth=2
	v_ashrrev_i32_e32 v5, 31, v4
	s_delay_alu instid0(VALU_DEP_1) | instskip(NEXT) | instid1(VALU_DEP_1)
	v_lshlrev_b64 v[2:3], 2, v[4:5]
	v_add_co_u32 v2, vcc_lo, s35, v2
	s_delay_alu instid0(VALU_DEP_2)
	v_add_co_ci_u32_e32 v3, vcc_lo, s36, v3, vcc_lo
	global_load_b32 v2, v[2:3], off
	s_and_not1_b32 vcc_lo, exec_lo, s52
	s_cbranch_vccz .LBB3_485
	s_branch .LBB3_486
.LBB3_476:                              ;   in Loop: Header=BB3_139 Depth=2
	s_and_not1_saveexec_b32 s49, s49
	s_cbranch_execz .LBB3_489
.LBB3_477:                              ;   in Loop: Header=BB3_139 Depth=2
	s_mov_b32 s52, exec_lo
	s_mov_b32 s51, exec_lo
	v_mbcnt_lo_u32_b32 v0, s52, 0
                                        ; implicit-def: $vgpr2
	s_delay_alu instid0(VALU_DEP_1)
	v_cmpx_eq_u32_e32 0, v0
	s_cbranch_execz .LBB3_479
; %bb.478:                              ;   in Loop: Header=BB3_139 Depth=2
	s_bcnt1_i32_b32 s52, s52
	s_waitcnt vmcnt(0)
	v_mov_b32_e32 v2, s52
	global_atomic_add_u32 v2, v27, v2, s[16:17] offset:384 glc
.LBB3_479:                              ;   in Loop: Header=BB3_139 Depth=2
	s_or_b32 exec_lo, exec_lo, s51
	s_waitcnt vmcnt(0)
	v_readfirstlane_b32 s51, v2
	s_and_not1_b32 vcc_lo, exec_lo, s9
	s_delay_alu instid0(VALU_DEP_1)
	v_add_nc_u32_e32 v0, s51, v0
	s_cbranch_vccnz .LBB3_481
; %bb.480:                              ;   in Loop: Header=BB3_139 Depth=2
	v_ashrrev_i32_e32 v5, 31, v4
	s_delay_alu instid0(VALU_DEP_1) | instskip(NEXT) | instid1(VALU_DEP_1)
	v_lshlrev_b64 v[2:3], 2, v[4:5]
	v_add_co_u32 v2, vcc_lo, s35, v2
	s_delay_alu instid0(VALU_DEP_2)
	v_add_co_ci_u32_e32 v3, vcc_lo, s36, v3, vcc_lo
	global_load_b32 v2, v[2:3], off
	s_cbranch_execz .LBB3_482
	s_branch .LBB3_483
.LBB3_481:                              ;   in Loop: Header=BB3_139 Depth=2
                                        ; implicit-def: $vgpr2
.LBB3_482:                              ;   in Loop: Header=BB3_139 Depth=2
	s_waitcnt vmcnt(0)
	v_add_nc_u32_e32 v2, s13, v1
.LBB3_483:                              ;   in Loop: Header=BB3_139 Depth=2
	s_or_b32 s50, s50, exec_lo
	s_or_b32 exec_lo, exec_lo, s49
	s_and_saveexec_b32 s49, s50
	s_cbranch_execz .LBB3_138
	s_branch .LBB3_490
.LBB3_484:                              ;   in Loop: Header=BB3_139 Depth=2
                                        ; implicit-def: $vgpr2
.LBB3_485:                              ;   in Loop: Header=BB3_139 Depth=2
	s_waitcnt vmcnt(0)
	v_add_nc_u32_e32 v2, s13, v1
.LBB3_486:                              ;   in Loop: Header=BB3_139 Depth=2
	s_mov_b32 s52, exec_lo
.LBB3_487:                              ;   in Loop: Header=BB3_139 Depth=2
	s_or_b32 exec_lo, exec_lo, s51
	s_delay_alu instid0(SALU_CYCLE_1)
	s_and_b32 s51, s52, exec_lo
.LBB3_488:                              ;   in Loop: Header=BB3_139 Depth=2
	s_or_b32 exec_lo, exec_lo, s50
	s_delay_alu instid0(SALU_CYCLE_1)
	s_and_b32 s50, s51, exec_lo
                                        ; implicit-def: $vgpr1
                                        ; implicit-def: $vgpr4
	s_and_not1_saveexec_b32 s49, s49
	s_cbranch_execnz .LBB3_477
.LBB3_489:                              ;   in Loop: Header=BB3_139 Depth=2
	s_or_b32 exec_lo, exec_lo, s49
	s_and_saveexec_b32 s49, s50
	s_cbranch_execz .LBB3_138
.LBB3_490:                              ;   in Loop: Header=BB3_139 Depth=2
	v_ashrrev_i32_e32 v1, 31, v0
	s_delay_alu instid0(VALU_DEP_1) | instskip(NEXT) | instid1(VALU_DEP_1)
	v_lshlrev_b64 v[0:1], 2, v[0:1]
	v_add_co_u32 v0, vcc_lo, s15, v0
	s_delay_alu instid0(VALU_DEP_2)
	v_add_co_ci_u32_e32 v1, vcc_lo, s30, v1, vcc_lo
	s_waitcnt vmcnt(0)
	global_store_b32 v[0:1], v2, off
	s_branch .LBB3_138
.LBB3_491:                              ;   in Loop: Header=BB3_20 Depth=1
	s_or_b32 exec_lo, exec_lo, s29
.LBB3_492:                              ;   in Loop: Header=BB3_20 Depth=1
	s_delay_alu instid0(SALU_CYCLE_1) | instskip(NEXT) | instid1(SALU_CYCLE_1)
	s_or_b32 exec_lo, exec_lo, s7
	s_mov_b32 s7, exec_lo
	v_cmpx_gt_i32_e64 s18, v36
	s_cbranch_execz .LBB3_583
; %bb.493:                              ;   in Loop: Header=BB3_20 Depth=1
	v_lshl_add_u32 v4, v36, 2, s20
	s_mov_b32 s29, 0
	s_branch .LBB3_495
.LBB3_494:                              ;   in Loop: Header=BB3_495 Depth=2
	s_or_b32 exec_lo, exec_lo, s49
	v_add_nc_u32_e32 v36, s8, v36
	v_add_nc_u32_e32 v4, s31, v4
	s_delay_alu instid0(VALU_DEP_2) | instskip(SKIP_1) | instid1(SALU_CYCLE_1)
	v_cmp_le_i32_e32 vcc_lo, s18, v36
	s_or_b32 s29, vcc_lo, s29
	s_and_not1_b32 exec_lo, exec_lo, s29
	s_cbranch_execz .LBB3_583
.LBB3_495:                              ;   Parent Loop BB3_20 Depth=1
                                        ; =>  This Inner Loop Header: Depth=2
	v_ashrrev_i32_e32 v37, 31, v36
	v_lshl_add_u32 v8, v36, 2, s20
	s_mov_b32 s50, 0
	s_mov_b32 s49, exec_lo
                                        ; implicit-def: $vgpr6
	s_delay_alu instid0(VALU_DEP_2) | instskip(NEXT) | instid1(VALU_DEP_1)
	v_lshlrev_b64 v[0:1], 4, v[36:37]
	v_add_co_u32 v0, vcc_lo, s12, v0
	s_delay_alu instid0(VALU_DEP_2) | instskip(SKIP_4) | instid1(VALU_DEP_1)
	v_add_co_ci_u32_e32 v1, vcc_lo, s26, v1, vcc_lo
	global_load_b128 v[0:3], v[0:1], off
	s_waitcnt vmcnt(0)
	v_cmp_gt_i32_e32 vcc_lo, 0, v0
	v_cndmask_b32_e64 v5, 0x7fffffff, 0, vcc_lo
	v_xor_b32_e32 v5, v5, v0
                                        ; implicit-def: $vgpr0
	s_waitcnt lgkmcnt(0)
	s_delay_alu instid0(VALU_DEP_1)
	v_cmpx_ge_u32_e64 v5, v34
	s_xor_b32 s49, exec_lo, s49
	s_cbranch_execz .LBB3_502
; %bb.496:                              ;   in Loop: Header=BB3_495 Depth=2
	s_mov_b32 s51, 0
	s_mov_b32 s50, exec_lo
                                        ; implicit-def: $vgpr0
                                        ; implicit-def: $vgpr6
	v_cmpx_eq_u32_e64 v5, v34
	s_cbranch_execz .LBB3_514
; %bb.497:                              ;   in Loop: Header=BB3_495 Depth=2
	s_mov_b32 s52, exec_lo
	s_mov_b32 s51, exec_lo
	v_mbcnt_lo_u32_b32 v0, s52, 0
                                        ; implicit-def: $vgpr5
	s_delay_alu instid0(VALU_DEP_1)
	v_cmpx_eq_u32_e32 0, v0
	s_cbranch_execz .LBB3_499
; %bb.498:                              ;   in Loop: Header=BB3_495 Depth=2
	s_bcnt1_i32_b32 s52, s52
	s_delay_alu instid0(SALU_CYCLE_1)
	v_mov_b32_e32 v5, s52
	global_atomic_add_u32 v5, v27, v5, s[16:17] offset:512 glc
.LBB3_499:                              ;   in Loop: Header=BB3_495 Depth=2
	s_or_b32 exec_lo, exec_lo, s51
	s_waitcnt vmcnt(0)
	v_readfirstlane_b32 s51, v5
	s_mov_b32 s52, 0
                                        ; implicit-def: $vgpr6
	s_delay_alu instid0(VALU_DEP_1) | instskip(SKIP_1) | instid1(VALU_DEP_1)
	v_add_nc_u32_e32 v5, s51, v0
	s_mov_b32 s51, exec_lo
                                        ; implicit-def: $vgpr0
	v_cmpx_lt_i32_e64 v5, v35
	s_xor_b32 s51, exec_lo, s51
	s_cbranch_execz .LBB3_513
; %bb.500:                              ;   in Loop: Header=BB3_495 Depth=2
	v_xad_u32 v6, v5, -1, s39
	s_and_not1_b32 vcc_lo, exec_lo, s9
	s_cbranch_vccnz .LBB3_510
; %bb.501:                              ;   in Loop: Header=BB3_495 Depth=2
	v_ashrrev_i32_e32 v5, 31, v4
	s_delay_alu instid0(VALU_DEP_1) | instskip(NEXT) | instid1(VALU_DEP_1)
	v_lshlrev_b64 v[9:10], 2, v[4:5]
	v_add_co_u32 v9, vcc_lo, s10, v9
	s_delay_alu instid0(VALU_DEP_2)
	v_add_co_ci_u32_e32 v10, vcc_lo, s11, v10, vcc_lo
	global_load_b32 v0, v[9:10], off
	s_and_not1_b32 vcc_lo, exec_lo, s52
	s_cbranch_vccz .LBB3_511
	s_branch .LBB3_512
.LBB3_502:                              ;   in Loop: Header=BB3_495 Depth=2
	s_and_not1_saveexec_b32 s49, s49
	s_cbranch_execz .LBB3_515
.LBB3_503:                              ;   in Loop: Header=BB3_495 Depth=2
	s_mov_b32 s52, exec_lo
	s_mov_b32 s51, exec_lo
	s_waitcnt vmcnt(0)
	v_mbcnt_lo_u32_b32 v0, s52, 0
                                        ; implicit-def: $vgpr5
	s_delay_alu instid0(VALU_DEP_1)
	v_cmpx_eq_u32_e32 0, v0
	s_cbranch_execz .LBB3_505
; %bb.504:                              ;   in Loop: Header=BB3_495 Depth=2
	s_bcnt1_i32_b32 s52, s52
	s_delay_alu instid0(SALU_CYCLE_1)
	v_mov_b32_e32 v5, s52
	global_atomic_add_u32 v5, v27, v5, s[16:17] offset:384 glc
.LBB3_505:                              ;   in Loop: Header=BB3_495 Depth=2
	s_or_b32 exec_lo, exec_lo, s51
	s_waitcnt vmcnt(0)
	v_readfirstlane_b32 s51, v5
	s_and_not1_b32 vcc_lo, exec_lo, s9
	s_delay_alu instid0(VALU_DEP_1)
	v_add_nc_u32_e32 v6, s51, v0
	s_cbranch_vccnz .LBB3_507
; %bb.506:                              ;   in Loop: Header=BB3_495 Depth=2
	v_ashrrev_i32_e32 v5, 31, v4
	s_delay_alu instid0(VALU_DEP_1) | instskip(NEXT) | instid1(VALU_DEP_1)
	v_lshlrev_b64 v[9:10], 2, v[4:5]
	v_add_co_u32 v9, vcc_lo, s10, v9
	s_delay_alu instid0(VALU_DEP_2)
	v_add_co_ci_u32_e32 v10, vcc_lo, s11, v10, vcc_lo
	global_load_b32 v0, v[9:10], off
	s_cbranch_execz .LBB3_508
	s_branch .LBB3_509
.LBB3_507:                              ;   in Loop: Header=BB3_495 Depth=2
                                        ; implicit-def: $vgpr0
.LBB3_508:                              ;   in Loop: Header=BB3_495 Depth=2
	s_waitcnt vmcnt(0)
	v_add_nc_u32_e32 v0, s13, v4
.LBB3_509:                              ;   in Loop: Header=BB3_495 Depth=2
	s_or_b32 s50, s50, exec_lo
	s_or_b32 exec_lo, exec_lo, s49
	s_and_saveexec_b32 s49, s50
	s_cbranch_execnz .LBB3_516
	s_branch .LBB3_517
.LBB3_510:                              ;   in Loop: Header=BB3_495 Depth=2
                                        ; implicit-def: $vgpr0
.LBB3_511:                              ;   in Loop: Header=BB3_495 Depth=2
	s_waitcnt vmcnt(0)
	v_add_nc_u32_e32 v0, s13, v8
.LBB3_512:                              ;   in Loop: Header=BB3_495 Depth=2
	s_mov_b32 s52, exec_lo
.LBB3_513:                              ;   in Loop: Header=BB3_495 Depth=2
	s_or_b32 exec_lo, exec_lo, s51
	s_delay_alu instid0(SALU_CYCLE_1)
	s_and_b32 s51, s52, exec_lo
.LBB3_514:                              ;   in Loop: Header=BB3_495 Depth=2
	s_or_b32 exec_lo, exec_lo, s50
	s_delay_alu instid0(SALU_CYCLE_1)
	s_and_b32 s50, s51, exec_lo
	s_and_not1_saveexec_b32 s49, s49
	s_cbranch_execnz .LBB3_503
.LBB3_515:                              ;   in Loop: Header=BB3_495 Depth=2
	s_or_b32 exec_lo, exec_lo, s49
	s_and_saveexec_b32 s49, s50
	s_cbranch_execz .LBB3_517
.LBB3_516:                              ;   in Loop: Header=BB3_495 Depth=2
	v_ashrrev_i32_e32 v7, 31, v6
	s_delay_alu instid0(VALU_DEP_1) | instskip(NEXT) | instid1(VALU_DEP_1)
	v_lshlrev_b64 v[5:6], 2, v[6:7]
	v_add_co_u32 v5, vcc_lo, s15, v5
	s_delay_alu instid0(VALU_DEP_2)
	v_add_co_ci_u32_e32 v6, vcc_lo, s30, v6, vcc_lo
	s_waitcnt vmcnt(0)
	global_store_b32 v[5:6], v0, off
.LBB3_517:                              ;   in Loop: Header=BB3_495 Depth=2
	s_or_b32 exec_lo, exec_lo, s49
	v_cmp_gt_i32_e32 vcc_lo, 0, v1
	s_mov_b32 s50, 0
	s_mov_b32 s49, exec_lo
                                        ; implicit-def: $vgpr5
	s_waitcnt vmcnt(0)
	v_cndmask_b32_e64 v0, 0x7fffffff, 0, vcc_lo
	s_delay_alu instid0(VALU_DEP_1) | instskip(NEXT) | instid1(VALU_DEP_1)
	v_xor_b32_e32 v1, v0, v1
                                        ; implicit-def: $vgpr0
	v_cmpx_ge_u32_e64 v1, v34
	s_xor_b32 s49, exec_lo, s49
	s_cbranch_execz .LBB3_524
; %bb.518:                              ;   in Loop: Header=BB3_495 Depth=2
	s_mov_b32 s51, 0
	s_mov_b32 s50, exec_lo
                                        ; implicit-def: $vgpr5
                                        ; implicit-def: $vgpr0
	v_cmpx_eq_u32_e64 v1, v34
	s_cbranch_execz .LBB3_536
; %bb.519:                              ;   in Loop: Header=BB3_495 Depth=2
	s_mov_b32 s52, exec_lo
	s_mov_b32 s51, exec_lo
	v_mbcnt_lo_u32_b32 v0, s52, 0
                                        ; implicit-def: $vgpr1
	s_delay_alu instid0(VALU_DEP_1)
	v_cmpx_eq_u32_e32 0, v0
	s_cbranch_execz .LBB3_521
; %bb.520:                              ;   in Loop: Header=BB3_495 Depth=2
	s_bcnt1_i32_b32 s52, s52
	s_delay_alu instid0(SALU_CYCLE_1)
	v_mov_b32_e32 v1, s52
	global_atomic_add_u32 v1, v27, v1, s[16:17] offset:512 glc
.LBB3_521:                              ;   in Loop: Header=BB3_495 Depth=2
	s_or_b32 exec_lo, exec_lo, s51
	s_waitcnt vmcnt(0)
	v_readfirstlane_b32 s51, v1
	s_mov_b32 s52, 0
                                        ; implicit-def: $vgpr5
	s_delay_alu instid0(VALU_DEP_1) | instskip(SKIP_1) | instid1(VALU_DEP_1)
	v_add_nc_u32_e32 v1, s51, v0
	s_mov_b32 s51, exec_lo
                                        ; implicit-def: $vgpr0
	v_cmpx_lt_i32_e64 v1, v35
	s_cbranch_execz .LBB3_535
; %bb.522:                              ;   in Loop: Header=BB3_495 Depth=2
	v_xad_u32 v0, v1, -1, s39
	s_and_not1_b32 vcc_lo, exec_lo, s9
	s_cbranch_vccnz .LBB3_532
; %bb.523:                              ;   in Loop: Header=BB3_495 Depth=2
	v_ashrrev_i32_e32 v5, 31, v4
	s_delay_alu instid0(VALU_DEP_1) | instskip(NEXT) | instid1(VALU_DEP_1)
	v_lshlrev_b64 v[5:6], 2, v[4:5]
	v_add_co_u32 v5, vcc_lo, s14, v5
	s_delay_alu instid0(VALU_DEP_2)
	v_add_co_ci_u32_e32 v6, vcc_lo, s21, v6, vcc_lo
	global_load_b32 v5, v[5:6], off
	s_and_not1_b32 vcc_lo, exec_lo, s52
	s_cbranch_vccz .LBB3_533
	s_branch .LBB3_534
.LBB3_524:                              ;   in Loop: Header=BB3_495 Depth=2
	s_and_not1_saveexec_b32 s49, s49
	s_cbranch_execz .LBB3_537
.LBB3_525:                              ;   in Loop: Header=BB3_495 Depth=2
	s_mov_b32 s52, exec_lo
	s_mov_b32 s51, exec_lo
	v_mbcnt_lo_u32_b32 v0, s52, 0
                                        ; implicit-def: $vgpr1
	s_delay_alu instid0(VALU_DEP_1)
	v_cmpx_eq_u32_e32 0, v0
	s_cbranch_execz .LBB3_527
; %bb.526:                              ;   in Loop: Header=BB3_495 Depth=2
	s_bcnt1_i32_b32 s52, s52
	s_delay_alu instid0(SALU_CYCLE_1)
	v_mov_b32_e32 v1, s52
	global_atomic_add_u32 v1, v27, v1, s[16:17] offset:384 glc
.LBB3_527:                              ;   in Loop: Header=BB3_495 Depth=2
	s_or_b32 exec_lo, exec_lo, s51
	s_waitcnt vmcnt(0)
	v_readfirstlane_b32 s51, v1
	s_and_not1_b32 vcc_lo, exec_lo, s9
	s_delay_alu instid0(VALU_DEP_1)
	v_add_nc_u32_e32 v0, s51, v0
	s_cbranch_vccnz .LBB3_529
; %bb.528:                              ;   in Loop: Header=BB3_495 Depth=2
	v_ashrrev_i32_e32 v5, 31, v4
	s_delay_alu instid0(VALU_DEP_1) | instskip(NEXT) | instid1(VALU_DEP_1)
	v_lshlrev_b64 v[5:6], 2, v[4:5]
	v_add_co_u32 v5, vcc_lo, s14, v5
	s_delay_alu instid0(VALU_DEP_2)
	v_add_co_ci_u32_e32 v6, vcc_lo, s21, v6, vcc_lo
	global_load_b32 v5, v[5:6], off
	s_cbranch_execz .LBB3_530
	s_branch .LBB3_531
.LBB3_529:                              ;   in Loop: Header=BB3_495 Depth=2
                                        ; implicit-def: $vgpr5
.LBB3_530:                              ;   in Loop: Header=BB3_495 Depth=2
	s_waitcnt vmcnt(0)
	v_add3_u32 v5, s13, v4, 1
.LBB3_531:                              ;   in Loop: Header=BB3_495 Depth=2
	s_or_b32 s50, s50, exec_lo
	s_or_b32 exec_lo, exec_lo, s49
	s_and_saveexec_b32 s49, s50
	s_cbranch_execnz .LBB3_538
	s_branch .LBB3_539
.LBB3_532:                              ;   in Loop: Header=BB3_495 Depth=2
                                        ; implicit-def: $vgpr5
.LBB3_533:                              ;   in Loop: Header=BB3_495 Depth=2
	s_waitcnt vmcnt(0)
	v_add3_u32 v5, v8, s13, 1
.LBB3_534:                              ;   in Loop: Header=BB3_495 Depth=2
	s_mov_b32 s52, exec_lo
.LBB3_535:                              ;   in Loop: Header=BB3_495 Depth=2
	s_or_b32 exec_lo, exec_lo, s51
	s_delay_alu instid0(SALU_CYCLE_1)
	s_and_b32 s51, s52, exec_lo
.LBB3_536:                              ;   in Loop: Header=BB3_495 Depth=2
	s_or_b32 exec_lo, exec_lo, s50
	s_delay_alu instid0(SALU_CYCLE_1)
	s_and_b32 s50, s51, exec_lo
	s_and_not1_saveexec_b32 s49, s49
	s_cbranch_execnz .LBB3_525
.LBB3_537:                              ;   in Loop: Header=BB3_495 Depth=2
	s_or_b32 exec_lo, exec_lo, s49
	s_and_saveexec_b32 s49, s50
	s_cbranch_execz .LBB3_539
.LBB3_538:                              ;   in Loop: Header=BB3_495 Depth=2
	v_ashrrev_i32_e32 v1, 31, v0
	s_delay_alu instid0(VALU_DEP_1) | instskip(NEXT) | instid1(VALU_DEP_1)
	v_lshlrev_b64 v[0:1], 2, v[0:1]
	v_add_co_u32 v0, vcc_lo, s15, v0
	s_delay_alu instid0(VALU_DEP_2)
	v_add_co_ci_u32_e32 v1, vcc_lo, s30, v1, vcc_lo
	s_waitcnt vmcnt(0)
	global_store_b32 v[0:1], v5, off
.LBB3_539:                              ;   in Loop: Header=BB3_495 Depth=2
	s_or_b32 exec_lo, exec_lo, s49
	v_cmp_gt_i32_e32 vcc_lo, 0, v2
	s_mov_b32 s50, 0
	s_mov_b32 s49, exec_lo
	v_cndmask_b32_e64 v0, 0x7fffffff, 0, vcc_lo
	s_delay_alu instid0(VALU_DEP_1) | instskip(NEXT) | instid1(VALU_DEP_1)
	v_xor_b32_e32 v1, v0, v2
                                        ; implicit-def: $vgpr2
                                        ; implicit-def: $vgpr0
	v_cmpx_ge_u32_e64 v1, v34
	s_xor_b32 s49, exec_lo, s49
	s_cbranch_execz .LBB3_546
; %bb.540:                              ;   in Loop: Header=BB3_495 Depth=2
	s_mov_b32 s51, 0
	s_mov_b32 s50, exec_lo
                                        ; implicit-def: $vgpr2
                                        ; implicit-def: $vgpr0
	v_cmpx_eq_u32_e64 v1, v34
	s_cbranch_execz .LBB3_558
; %bb.541:                              ;   in Loop: Header=BB3_495 Depth=2
	s_mov_b32 s52, exec_lo
	s_mov_b32 s51, exec_lo
	v_mbcnt_lo_u32_b32 v0, s52, 0
                                        ; implicit-def: $vgpr1
	s_delay_alu instid0(VALU_DEP_1)
	v_cmpx_eq_u32_e32 0, v0
	s_cbranch_execz .LBB3_543
; %bb.542:                              ;   in Loop: Header=BB3_495 Depth=2
	s_bcnt1_i32_b32 s52, s52
	s_delay_alu instid0(SALU_CYCLE_1)
	v_mov_b32_e32 v1, s52
	global_atomic_add_u32 v1, v27, v1, s[16:17] offset:512 glc
.LBB3_543:                              ;   in Loop: Header=BB3_495 Depth=2
	s_or_b32 exec_lo, exec_lo, s51
	s_waitcnt vmcnt(0)
	v_readfirstlane_b32 s51, v1
	s_mov_b32 s52, 0
                                        ; implicit-def: $vgpr2
	s_delay_alu instid0(VALU_DEP_1) | instskip(SKIP_1) | instid1(VALU_DEP_1)
	v_add_nc_u32_e32 v1, s51, v0
	s_mov_b32 s51, exec_lo
                                        ; implicit-def: $vgpr0
	v_cmpx_lt_i32_e64 v1, v35
	s_cbranch_execz .LBB3_557
; %bb.544:                              ;   in Loop: Header=BB3_495 Depth=2
	v_xad_u32 v0, v1, -1, s39
	s_and_not1_b32 vcc_lo, exec_lo, s9
	s_cbranch_vccnz .LBB3_554
; %bb.545:                              ;   in Loop: Header=BB3_495 Depth=2
	v_ashrrev_i32_e32 v5, 31, v4
	s_delay_alu instid0(VALU_DEP_1) | instskip(NEXT) | instid1(VALU_DEP_1)
	v_lshlrev_b64 v[1:2], 2, v[4:5]
	v_add_co_u32 v1, vcc_lo, s33, v1
	s_delay_alu instid0(VALU_DEP_2)
	v_add_co_ci_u32_e32 v2, vcc_lo, s34, v2, vcc_lo
	global_load_b32 v2, v[1:2], off
	s_and_not1_b32 vcc_lo, exec_lo, s52
	s_cbranch_vccz .LBB3_555
	s_branch .LBB3_556
.LBB3_546:                              ;   in Loop: Header=BB3_495 Depth=2
	s_and_not1_saveexec_b32 s49, s49
	s_cbranch_execz .LBB3_559
.LBB3_547:                              ;   in Loop: Header=BB3_495 Depth=2
	s_mov_b32 s52, exec_lo
	s_mov_b32 s51, exec_lo
	v_mbcnt_lo_u32_b32 v0, s52, 0
                                        ; implicit-def: $vgpr1
	s_delay_alu instid0(VALU_DEP_1)
	v_cmpx_eq_u32_e32 0, v0
	s_cbranch_execz .LBB3_549
; %bb.548:                              ;   in Loop: Header=BB3_495 Depth=2
	s_bcnt1_i32_b32 s52, s52
	s_delay_alu instid0(SALU_CYCLE_1)
	v_mov_b32_e32 v1, s52
	global_atomic_add_u32 v1, v27, v1, s[16:17] offset:384 glc
.LBB3_549:                              ;   in Loop: Header=BB3_495 Depth=2
	s_or_b32 exec_lo, exec_lo, s51
	s_waitcnt vmcnt(0)
	v_readfirstlane_b32 s51, v1
	s_and_not1_b32 vcc_lo, exec_lo, s9
	s_delay_alu instid0(VALU_DEP_1)
	v_add_nc_u32_e32 v0, s51, v0
	s_cbranch_vccnz .LBB3_551
; %bb.550:                              ;   in Loop: Header=BB3_495 Depth=2
	v_ashrrev_i32_e32 v5, 31, v4
	s_delay_alu instid0(VALU_DEP_1) | instskip(NEXT) | instid1(VALU_DEP_1)
	v_lshlrev_b64 v[1:2], 2, v[4:5]
	v_add_co_u32 v1, vcc_lo, s33, v1
	s_delay_alu instid0(VALU_DEP_2)
	v_add_co_ci_u32_e32 v2, vcc_lo, s34, v2, vcc_lo
	global_load_b32 v2, v[1:2], off
	s_cbranch_execz .LBB3_552
	s_branch .LBB3_553
.LBB3_551:                              ;   in Loop: Header=BB3_495 Depth=2
                                        ; implicit-def: $vgpr2
.LBB3_552:                              ;   in Loop: Header=BB3_495 Depth=2
	s_waitcnt vmcnt(0)
	v_add3_u32 v2, s13, v4, 2
.LBB3_553:                              ;   in Loop: Header=BB3_495 Depth=2
	s_or_b32 s50, s50, exec_lo
	s_or_b32 exec_lo, exec_lo, s49
	s_and_saveexec_b32 s49, s50
	s_cbranch_execnz .LBB3_560
	s_branch .LBB3_561
.LBB3_554:                              ;   in Loop: Header=BB3_495 Depth=2
                                        ; implicit-def: $vgpr2
.LBB3_555:                              ;   in Loop: Header=BB3_495 Depth=2
	s_waitcnt vmcnt(0)
	v_add3_u32 v2, v8, s13, 2
.LBB3_556:                              ;   in Loop: Header=BB3_495 Depth=2
	s_mov_b32 s52, exec_lo
.LBB3_557:                              ;   in Loop: Header=BB3_495 Depth=2
	s_or_b32 exec_lo, exec_lo, s51
	s_delay_alu instid0(SALU_CYCLE_1)
	s_and_b32 s51, s52, exec_lo
.LBB3_558:                              ;   in Loop: Header=BB3_495 Depth=2
	s_or_b32 exec_lo, exec_lo, s50
	s_delay_alu instid0(SALU_CYCLE_1)
	s_and_b32 s50, s51, exec_lo
	s_and_not1_saveexec_b32 s49, s49
	s_cbranch_execnz .LBB3_547
.LBB3_559:                              ;   in Loop: Header=BB3_495 Depth=2
	s_or_b32 exec_lo, exec_lo, s49
	s_and_saveexec_b32 s49, s50
	s_cbranch_execz .LBB3_561
.LBB3_560:                              ;   in Loop: Header=BB3_495 Depth=2
	v_ashrrev_i32_e32 v1, 31, v0
	s_delay_alu instid0(VALU_DEP_1) | instskip(NEXT) | instid1(VALU_DEP_1)
	v_lshlrev_b64 v[0:1], 2, v[0:1]
	v_add_co_u32 v0, vcc_lo, s15, v0
	s_delay_alu instid0(VALU_DEP_2)
	v_add_co_ci_u32_e32 v1, vcc_lo, s30, v1, vcc_lo
	s_waitcnt vmcnt(0)
	global_store_b32 v[0:1], v2, off
.LBB3_561:                              ;   in Loop: Header=BB3_495 Depth=2
	s_or_b32 exec_lo, exec_lo, s49
	v_cmp_gt_i32_e32 vcc_lo, 0, v3
	s_mov_b32 s50, 0
	s_mov_b32 s49, exec_lo
                                        ; implicit-def: $vgpr2
	v_cndmask_b32_e64 v0, 0x7fffffff, 0, vcc_lo
	s_delay_alu instid0(VALU_DEP_1) | instskip(NEXT) | instid1(VALU_DEP_1)
	v_xor_b32_e32 v1, v0, v3
                                        ; implicit-def: $vgpr0
	v_cmpx_ge_u32_e64 v1, v34
	s_xor_b32 s49, exec_lo, s49
	s_cbranch_execz .LBB3_568
; %bb.562:                              ;   in Loop: Header=BB3_495 Depth=2
	s_mov_b32 s51, 0
	s_mov_b32 s50, exec_lo
                                        ; implicit-def: $vgpr2
                                        ; implicit-def: $vgpr0
	v_cmpx_eq_u32_e64 v1, v34
	s_cbranch_execz .LBB3_580
; %bb.563:                              ;   in Loop: Header=BB3_495 Depth=2
	s_mov_b32 s52, exec_lo
	s_mov_b32 s51, exec_lo
	v_mbcnt_lo_u32_b32 v0, s52, 0
                                        ; implicit-def: $vgpr1
	s_delay_alu instid0(VALU_DEP_1)
	v_cmpx_eq_u32_e32 0, v0
	s_cbranch_execz .LBB3_565
; %bb.564:                              ;   in Loop: Header=BB3_495 Depth=2
	s_bcnt1_i32_b32 s52, s52
	s_delay_alu instid0(SALU_CYCLE_1)
	v_mov_b32_e32 v1, s52
	global_atomic_add_u32 v1, v27, v1, s[16:17] offset:512 glc
.LBB3_565:                              ;   in Loop: Header=BB3_495 Depth=2
	s_or_b32 exec_lo, exec_lo, s51
	s_waitcnt vmcnt(0)
	v_readfirstlane_b32 s51, v1
	s_mov_b32 s52, 0
                                        ; implicit-def: $vgpr2
	s_delay_alu instid0(VALU_DEP_1) | instskip(SKIP_1) | instid1(VALU_DEP_1)
	v_add_nc_u32_e32 v1, s51, v0
	s_mov_b32 s51, exec_lo
                                        ; implicit-def: $vgpr0
	v_cmpx_lt_i32_e64 v1, v35
	s_cbranch_execz .LBB3_579
; %bb.566:                              ;   in Loop: Header=BB3_495 Depth=2
	v_xad_u32 v0, v1, -1, s39
	s_and_not1_b32 vcc_lo, exec_lo, s9
	s_cbranch_vccnz .LBB3_576
; %bb.567:                              ;   in Loop: Header=BB3_495 Depth=2
	v_ashrrev_i32_e32 v5, 31, v4
	s_delay_alu instid0(VALU_DEP_1) | instskip(NEXT) | instid1(VALU_DEP_1)
	v_lshlrev_b64 v[1:2], 2, v[4:5]
	v_add_co_u32 v1, vcc_lo, s35, v1
	s_delay_alu instid0(VALU_DEP_2)
	v_add_co_ci_u32_e32 v2, vcc_lo, s36, v2, vcc_lo
	global_load_b32 v2, v[1:2], off
	s_and_not1_b32 vcc_lo, exec_lo, s52
	s_cbranch_vccz .LBB3_577
	s_branch .LBB3_578
.LBB3_568:                              ;   in Loop: Header=BB3_495 Depth=2
	s_and_not1_saveexec_b32 s49, s49
	s_cbranch_execz .LBB3_581
.LBB3_569:                              ;   in Loop: Header=BB3_495 Depth=2
	s_mov_b32 s52, exec_lo
	s_mov_b32 s51, exec_lo
	v_mbcnt_lo_u32_b32 v0, s52, 0
                                        ; implicit-def: $vgpr1
	s_delay_alu instid0(VALU_DEP_1)
	v_cmpx_eq_u32_e32 0, v0
	s_cbranch_execz .LBB3_571
; %bb.570:                              ;   in Loop: Header=BB3_495 Depth=2
	s_bcnt1_i32_b32 s52, s52
	s_delay_alu instid0(SALU_CYCLE_1)
	v_mov_b32_e32 v1, s52
	global_atomic_add_u32 v1, v27, v1, s[16:17] offset:384 glc
.LBB3_571:                              ;   in Loop: Header=BB3_495 Depth=2
	s_or_b32 exec_lo, exec_lo, s51
	s_waitcnt vmcnt(0)
	v_readfirstlane_b32 s51, v1
	s_and_not1_b32 vcc_lo, exec_lo, s9
	s_delay_alu instid0(VALU_DEP_1)
	v_add_nc_u32_e32 v0, s51, v0
	s_cbranch_vccnz .LBB3_573
; %bb.572:                              ;   in Loop: Header=BB3_495 Depth=2
	v_ashrrev_i32_e32 v5, 31, v4
	s_delay_alu instid0(VALU_DEP_1) | instskip(NEXT) | instid1(VALU_DEP_1)
	v_lshlrev_b64 v[1:2], 2, v[4:5]
	v_add_co_u32 v1, vcc_lo, s35, v1
	s_delay_alu instid0(VALU_DEP_2)
	v_add_co_ci_u32_e32 v2, vcc_lo, s36, v2, vcc_lo
	global_load_b32 v2, v[1:2], off
	s_cbranch_execz .LBB3_574
	s_branch .LBB3_575
.LBB3_573:                              ;   in Loop: Header=BB3_495 Depth=2
                                        ; implicit-def: $vgpr2
.LBB3_574:                              ;   in Loop: Header=BB3_495 Depth=2
	s_waitcnt vmcnt(0)
	v_add3_u32 v2, s13, v4, 3
.LBB3_575:                              ;   in Loop: Header=BB3_495 Depth=2
	s_or_b32 s50, s50, exec_lo
	s_or_b32 exec_lo, exec_lo, s49
	s_and_saveexec_b32 s49, s50
	s_cbranch_execz .LBB3_494
	s_branch .LBB3_582
.LBB3_576:                              ;   in Loop: Header=BB3_495 Depth=2
                                        ; implicit-def: $vgpr2
.LBB3_577:                              ;   in Loop: Header=BB3_495 Depth=2
	s_waitcnt vmcnt(0)
	v_add3_u32 v2, v8, s13, 3
.LBB3_578:                              ;   in Loop: Header=BB3_495 Depth=2
	s_mov_b32 s52, exec_lo
.LBB3_579:                              ;   in Loop: Header=BB3_495 Depth=2
	s_or_b32 exec_lo, exec_lo, s51
	s_delay_alu instid0(SALU_CYCLE_1)
	s_and_b32 s51, s52, exec_lo
.LBB3_580:                              ;   in Loop: Header=BB3_495 Depth=2
	s_or_b32 exec_lo, exec_lo, s50
	s_delay_alu instid0(SALU_CYCLE_1)
	s_and_b32 s50, s51, exec_lo
	s_and_not1_saveexec_b32 s49, s49
	s_cbranch_execnz .LBB3_569
.LBB3_581:                              ;   in Loop: Header=BB3_495 Depth=2
	s_or_b32 exec_lo, exec_lo, s49
	s_and_saveexec_b32 s49, s50
	s_cbranch_execz .LBB3_494
.LBB3_582:                              ;   in Loop: Header=BB3_495 Depth=2
	v_ashrrev_i32_e32 v1, 31, v0
	s_delay_alu instid0(VALU_DEP_1) | instskip(NEXT) | instid1(VALU_DEP_1)
	v_lshlrev_b64 v[0:1], 2, v[0:1]
	v_add_co_u32 v0, vcc_lo, s15, v0
	s_delay_alu instid0(VALU_DEP_2)
	v_add_co_ci_u32_e32 v1, vcc_lo, s30, v1, vcc_lo
	s_waitcnt vmcnt(0)
	global_store_b32 v[0:1], v2, off
	s_branch .LBB3_494
.LBB3_583:                              ;   in Loop: Header=BB3_20 Depth=1
	s_or_b32 exec_lo, exec_lo, s7
	s_and_saveexec_b32 s7, s1
	s_cbranch_execz .LBB3_600
; %bb.584:                              ;   in Loop: Header=BB3_20 Depth=1
	global_load_b32 v0, v[16:17], off
	s_mov_b32 s50, 0
	s_mov_b32 s49, 0
	s_mov_b32 s29, exec_lo
                                        ; implicit-def: $vgpr2
	s_waitcnt vmcnt(0)
	v_cmp_gt_i32_e32 vcc_lo, 0, v0
	v_cndmask_b32_e64 v1, 0x7fffffff, 0, vcc_lo
	s_delay_alu instid0(VALU_DEP_1) | instskip(SKIP_1) | instid1(VALU_DEP_1)
	v_xor_b32_e32 v1, v1, v0
                                        ; implicit-def: $vgpr0
	s_waitcnt lgkmcnt(0)
	v_cmpx_ge_u32_e64 v1, v34
	s_xor_b32 s29, exec_lo, s29
	s_cbranch_execz .LBB3_594
; %bb.585:                              ;   in Loop: Header=BB3_20 Depth=1
	s_mov_b32 s51, 0
	s_mov_b32 s49, exec_lo
                                        ; implicit-def: $vgpr0
	v_cmpx_eq_u32_e64 v1, v34
	s_cbranch_execz .LBB3_591
; %bb.586:                              ;   in Loop: Header=BB3_20 Depth=1
	s_mov_b32 s51, exec_lo
	s_mov_b32 s50, exec_lo
	v_mbcnt_lo_u32_b32 v0, s51, 0
                                        ; implicit-def: $vgpr1
	s_delay_alu instid0(VALU_DEP_1)
	v_cmpx_eq_u32_e32 0, v0
	s_cbranch_execz .LBB3_588
; %bb.587:                              ;   in Loop: Header=BB3_20 Depth=1
	s_bcnt1_i32_b32 s51, s51
	s_delay_alu instid0(SALU_CYCLE_1)
	v_mov_b32_e32 v1, s51
	global_atomic_add_u32 v1, v27, v1, s[16:17] offset:512 glc
.LBB3_588:                              ;   in Loop: Header=BB3_20 Depth=1
	s_or_b32 exec_lo, exec_lo, s50
	s_waitcnt vmcnt(0)
	v_readfirstlane_b32 s50, v1
	s_mov_b32 s51, 0
	s_mov_b32 s52, exec_lo
	s_delay_alu instid0(VALU_DEP_1) | instskip(SKIP_1) | instid1(VALU_DEP_1)
	v_add_nc_u32_e32 v1, s50, v0
	s_mov_b32 s50, 0
                                        ; implicit-def: $vgpr0
	v_cmpx_lt_i32_e64 v1, v35
	s_xor_b32 s52, exec_lo, s52
; %bb.589:                              ;   in Loop: Header=BB3_20 Depth=1
	v_xad_u32 v0, v1, -1, s39
	s_and_b32 s51, s47, exec_lo
	s_and_b32 s50, s9, exec_lo
; %bb.590:                              ;   in Loop: Header=BB3_20 Depth=1
	s_or_b32 exec_lo, exec_lo, s52
	s_delay_alu instid0(SALU_CYCLE_1)
	s_and_b32 s51, s51, exec_lo
	s_and_b32 s50, s50, exec_lo
.LBB3_591:                              ;   in Loop: Header=BB3_20 Depth=1
	s_or_b32 exec_lo, exec_lo, s49
	v_mov_b32_e32 v2, v44
	s_and_b32 s49, s51, exec_lo
	s_and_b32 s50, s50, exec_lo
	s_and_not1_saveexec_b32 s29, s29
	s_cbranch_execnz .LBB3_595
.LBB3_592:                              ;   in Loop: Header=BB3_20 Depth=1
	s_or_b32 exec_lo, exec_lo, s29
	s_and_saveexec_b32 s29, s50
	s_cbranch_execz .LBB3_598
.LBB3_593:                              ;   in Loop: Header=BB3_20 Depth=1
	global_load_b32 v2, v[18:19], off
	s_or_b32 s49, s49, exec_lo
	s_or_b32 exec_lo, exec_lo, s29
	s_delay_alu instid0(SALU_CYCLE_1)
	s_and_b32 exec_lo, exec_lo, s49
	s_cbranch_execnz .LBB3_599
	s_branch .LBB3_600
.LBB3_594:                              ;   in Loop: Header=BB3_20 Depth=1
	s_and_not1_saveexec_b32 s29, s29
	s_cbranch_execz .LBB3_592
.LBB3_595:                              ;   in Loop: Header=BB3_20 Depth=1
	s_mov_b32 s52, exec_lo
	s_mov_b32 s51, exec_lo
	v_mbcnt_lo_u32_b32 v0, s52, 0
                                        ; implicit-def: $vgpr1
	s_delay_alu instid0(VALU_DEP_1)
	v_cmpx_eq_u32_e32 0, v0
	s_cbranch_execz .LBB3_597
; %bb.596:                              ;   in Loop: Header=BB3_20 Depth=1
	s_bcnt1_i32_b32 s52, s52
	s_delay_alu instid0(SALU_CYCLE_1)
	v_mov_b32_e32 v1, s52
	global_atomic_add_u32 v1, v27, v1, s[16:17] offset:384 glc
.LBB3_597:                              ;   in Loop: Header=BB3_20 Depth=1
	s_or_b32 exec_lo, exec_lo, s51
	s_waitcnt vmcnt(0)
	v_readfirstlane_b32 s51, v1
	v_mov_b32_e32 v2, v44
	s_and_not1_b32 s49, s49, exec_lo
	s_and_b32 s52, s47, exec_lo
	s_and_not1_b32 s50, s50, exec_lo
	v_add_nc_u32_e32 v0, s51, v0
	s_and_b32 s51, s9, exec_lo
	s_or_b32 s49, s49, s52
	s_or_b32 s50, s50, s51
	s_or_b32 exec_lo, exec_lo, s29
	s_and_saveexec_b32 s29, s50
	s_cbranch_execnz .LBB3_593
.LBB3_598:                              ;   in Loop: Header=BB3_20 Depth=1
	s_or_b32 exec_lo, exec_lo, s29
	s_delay_alu instid0(SALU_CYCLE_1)
	s_and_b32 exec_lo, exec_lo, s49
	s_cbranch_execz .LBB3_600
.LBB3_599:                              ;   in Loop: Header=BB3_20 Depth=1
	v_ashrrev_i32_e32 v1, 31, v0
	s_delay_alu instid0(VALU_DEP_1) | instskip(NEXT) | instid1(VALU_DEP_1)
	v_lshlrev_b64 v[0:1], 2, v[0:1]
	v_add_co_u32 v0, vcc_lo, s15, v0
	s_delay_alu instid0(VALU_DEP_2)
	v_add_co_ci_u32_e32 v1, vcc_lo, s30, v1, vcc_lo
	s_waitcnt vmcnt(0)
	global_store_b32 v[0:1], v2, off
.LBB3_600:                              ;   in Loop: Header=BB3_20 Depth=1
	s_or_b32 exec_lo, exec_lo, s7
	s_and_saveexec_b32 s7, s0
	s_cbranch_execz .LBB3_617
; %bb.601:                              ;   in Loop: Header=BB3_20 Depth=1
	global_load_b32 v0, v[12:13], off
	s_mov_b32 s50, 0
	s_mov_b32 s49, 0
	s_mov_b32 s29, exec_lo
                                        ; implicit-def: $vgpr2
	s_waitcnt vmcnt(0)
	v_cmp_gt_i32_e32 vcc_lo, 0, v0
	v_cndmask_b32_e64 v1, 0x7fffffff, 0, vcc_lo
	s_delay_alu instid0(VALU_DEP_1) | instskip(SKIP_1) | instid1(VALU_DEP_1)
	v_xor_b32_e32 v1, v1, v0
                                        ; implicit-def: $vgpr0
	s_waitcnt lgkmcnt(0)
	v_cmpx_ge_u32_e64 v1, v34
	s_xor_b32 s29, exec_lo, s29
	s_cbranch_execz .LBB3_611
; %bb.602:                              ;   in Loop: Header=BB3_20 Depth=1
	s_mov_b32 s51, 0
	s_mov_b32 s49, exec_lo
                                        ; implicit-def: $vgpr0
	v_cmpx_eq_u32_e64 v1, v34
	s_cbranch_execz .LBB3_608
; %bb.603:                              ;   in Loop: Header=BB3_20 Depth=1
	s_mov_b32 s51, exec_lo
	s_mov_b32 s50, exec_lo
	v_mbcnt_lo_u32_b32 v0, s51, 0
                                        ; implicit-def: $vgpr1
	s_delay_alu instid0(VALU_DEP_1)
	v_cmpx_eq_u32_e32 0, v0
	s_cbranch_execz .LBB3_605
; %bb.604:                              ;   in Loop: Header=BB3_20 Depth=1
	s_bcnt1_i32_b32 s51, s51
	s_delay_alu instid0(SALU_CYCLE_1)
	v_mov_b32_e32 v1, s51
	global_atomic_add_u32 v1, v27, v1, s[16:17] offset:512 glc
.LBB3_605:                              ;   in Loop: Header=BB3_20 Depth=1
	s_or_b32 exec_lo, exec_lo, s50
	s_waitcnt vmcnt(0)
	v_readfirstlane_b32 s50, v1
	s_mov_b32 s51, 0
	s_mov_b32 s52, exec_lo
	s_delay_alu instid0(VALU_DEP_1) | instskip(SKIP_1) | instid1(VALU_DEP_1)
	v_add_nc_u32_e32 v1, s50, v0
	s_mov_b32 s50, 0
                                        ; implicit-def: $vgpr0
	v_cmpx_lt_i32_e64 v1, v35
	s_xor_b32 s52, exec_lo, s52
; %bb.606:                              ;   in Loop: Header=BB3_20 Depth=1
	v_xad_u32 v0, v1, -1, s39
	s_and_b32 s51, s47, exec_lo
	s_and_b32 s50, s9, exec_lo
; %bb.607:                              ;   in Loop: Header=BB3_20 Depth=1
	s_or_b32 exec_lo, exec_lo, s52
	s_delay_alu instid0(SALU_CYCLE_1)
	s_and_b32 s51, s51, exec_lo
	s_and_b32 s50, s50, exec_lo
.LBB3_608:                              ;   in Loop: Header=BB3_20 Depth=1
	s_or_b32 exec_lo, exec_lo, s49
	v_mov_b32_e32 v2, v43
	s_and_b32 s49, s51, exec_lo
	s_and_b32 s50, s50, exec_lo
	s_and_not1_saveexec_b32 s29, s29
	s_cbranch_execnz .LBB3_612
.LBB3_609:                              ;   in Loop: Header=BB3_20 Depth=1
	s_or_b32 exec_lo, exec_lo, s29
	s_and_saveexec_b32 s29, s50
	s_cbranch_execz .LBB3_615
.LBB3_610:                              ;   in Loop: Header=BB3_20 Depth=1
	global_load_b32 v2, v[14:15], off
	s_or_b32 s49, s49, exec_lo
	s_or_b32 exec_lo, exec_lo, s29
	s_delay_alu instid0(SALU_CYCLE_1)
	s_and_b32 exec_lo, exec_lo, s49
	s_cbranch_execnz .LBB3_616
	s_branch .LBB3_617
.LBB3_611:                              ;   in Loop: Header=BB3_20 Depth=1
	s_and_not1_saveexec_b32 s29, s29
	s_cbranch_execz .LBB3_609
.LBB3_612:                              ;   in Loop: Header=BB3_20 Depth=1
	s_mov_b32 s52, exec_lo
	s_mov_b32 s51, exec_lo
	v_mbcnt_lo_u32_b32 v0, s52, 0
                                        ; implicit-def: $vgpr1
	s_delay_alu instid0(VALU_DEP_1)
	v_cmpx_eq_u32_e32 0, v0
	s_cbranch_execz .LBB3_614
; %bb.613:                              ;   in Loop: Header=BB3_20 Depth=1
	s_bcnt1_i32_b32 s52, s52
	s_delay_alu instid0(SALU_CYCLE_1)
	v_mov_b32_e32 v1, s52
	global_atomic_add_u32 v1, v27, v1, s[16:17] offset:384 glc
.LBB3_614:                              ;   in Loop: Header=BB3_20 Depth=1
	s_or_b32 exec_lo, exec_lo, s51
	s_waitcnt vmcnt(0)
	v_readfirstlane_b32 s51, v1
	v_mov_b32_e32 v2, v43
	s_and_not1_b32 s49, s49, exec_lo
	s_and_b32 s52, s47, exec_lo
	s_and_not1_b32 s50, s50, exec_lo
	v_add_nc_u32_e32 v0, s51, v0
	s_and_b32 s51, s9, exec_lo
	s_or_b32 s49, s49, s52
	s_or_b32 s50, s50, s51
	s_or_b32 exec_lo, exec_lo, s29
	s_and_saveexec_b32 s29, s50
	s_cbranch_execnz .LBB3_610
.LBB3_615:                              ;   in Loop: Header=BB3_20 Depth=1
	s_or_b32 exec_lo, exec_lo, s29
	s_delay_alu instid0(SALU_CYCLE_1)
	s_and_b32 exec_lo, exec_lo, s49
	s_cbranch_execz .LBB3_617
.LBB3_616:                              ;   in Loop: Header=BB3_20 Depth=1
	v_ashrrev_i32_e32 v1, 31, v0
	s_delay_alu instid0(VALU_DEP_1) | instskip(NEXT) | instid1(VALU_DEP_1)
	v_lshlrev_b64 v[0:1], 2, v[0:1]
	v_add_co_u32 v0, vcc_lo, s15, v0
	s_delay_alu instid0(VALU_DEP_2)
	v_add_co_ci_u32_e32 v1, vcc_lo, s30, v1, vcc_lo
	s_waitcnt vmcnt(0)
	global_store_b32 v[0:1], v2, off
.LBB3_617:                              ;   in Loop: Header=BB3_20 Depth=1
	s_or_b32 exec_lo, exec_lo, s7
.LBB3_618:                              ;   in Loop: Header=BB3_20 Depth=1
	s_add_i32 s27, s27, 1
	v_add_co_u32 v32, vcc_lo, 0x2000, v32
	s_cmp_eq_u32 s27, 3
	v_add_co_ci_u32_e32 v33, vcc_lo, 0, v33, vcc_lo
	s_mov_b32 s7, -1
	s_cselect_b32 s29, -1, 0
	s_branch .LBB3_19
.LBB3_619:
	s_and_not1_b32 vcc_lo, exec_lo, s7
	s_cbranch_vccz .LBB3_801
; %bb.620:
	v_mov_b32_e32 v25, 0
	s_add_i32 s2, s28, 32
	ds_load_b32 v26, v25 offset:16896
	s_and_saveexec_b32 s3, s4
	s_cbranch_execz .LBB3_752
; %bb.621:
	s_lshl_b32 s5, -1, s2
	s_mov_b32 s4, 0
	s_branch .LBB3_625
.LBB3_622:                              ;   in Loop: Header=BB3_625 Depth=1
	s_waitcnt vmcnt(0)
	v_add3_u32 v1, v4, s13, 3
.LBB3_623:                              ;   in Loop: Header=BB3_625 Depth=1
	v_add_nc_u32_e32 v2, s7, v0
	s_delay_alu instid0(VALU_DEP_1) | instskip(NEXT) | instid1(VALU_DEP_1)
	v_ashrrev_i32_e32 v3, 31, v2
	v_lshlrev_b64 v[2:3], 2, v[2:3]
	s_delay_alu instid0(VALU_DEP_1) | instskip(NEXT) | instid1(VALU_DEP_2)
	v_add_co_u32 v2, vcc_lo, s15, v2
	v_add_co_ci_u32_e32 v3, vcc_lo, s30, v3, vcc_lo
	s_waitcnt vmcnt(0)
	global_store_b32 v[2:3], v1, off
.LBB3_624:                              ;   in Loop: Header=BB3_625 Depth=1
	s_or_b32 exec_lo, exec_lo, s6
	v_add_nc_u32_e32 v20, s31, v20
	s_delay_alu instid0(VALU_DEP_1) | instskip(SKIP_1) | instid1(VALU_DEP_2)
	v_ashrrev_i32_e32 v21, 31, v20
	v_add_co_u32 v22, vcc_lo, s38, v20
	v_add_co_ci_u32_e32 v23, vcc_lo, s37, v21, vcc_lo
	s_delay_alu instid0(VALU_DEP_1) | instskip(SKIP_1) | instid1(SALU_CYCLE_1)
	v_cmp_le_u64_e32 vcc_lo, s[18:19], v[22:23]
	s_or_b32 s4, vcc_lo, s4
	s_and_not1_b32 exec_lo, exec_lo, s4
	s_cbranch_execz .LBB3_751
.LBB3_625:                              ; =>This Inner Loop Header: Depth=1
	v_lshlrev_b64 v[0:1], 4, v[20:21]
	s_mov_b32 s6, exec_lo
	s_delay_alu instid0(VALU_DEP_1) | instskip(SKIP_1) | instid1(VALU_DEP_2)
	v_add_co_u32 v4, vcc_lo, s12, v0
	s_waitcnt vmcnt(0)
	v_add_co_ci_u32_e32 v5, vcc_lo, s26, v1, vcc_lo
	s_delay_alu instid0(VALU_DEP_2)
	v_add_co_u32 v8, vcc_lo, v4, s22
	global_load_b128 v[0:3], v[4:5], off
	v_add_co_ci_u32_e32 v9, vcc_lo, s23, v5, vcc_lo
	global_load_b128 v[4:7], v[8:9], off
	s_waitcnt vmcnt(1)
	v_cmp_gt_i32_e32 vcc_lo, 0, v0
	v_cndmask_b32_e64 v10, 0x7fffffff, 0, vcc_lo
	s_delay_alu instid0(VALU_DEP_1) | instskip(SKIP_1) | instid1(VALU_DEP_2)
	v_xor_b32_e32 v0, v10, v0
	v_lshl_add_u32 v10, v20, 2, s20
	v_and_b32_e32 v0, s5, v0
	s_waitcnt lgkmcnt(0)
	s_delay_alu instid0(VALU_DEP_1)
	v_cmpx_le_u32_e64 v0, v26
	s_cbranch_execz .LBB3_633
; %bb.626:                              ;   in Loop: Header=BB3_625 Depth=1
	s_mov_b32 s24, exec_lo
	s_mov_b32 s7, exec_lo
	v_mbcnt_lo_u32_b32 v0, s24, 0
                                        ; implicit-def: $vgpr11
	s_delay_alu instid0(VALU_DEP_1)
	v_cmpx_eq_u32_e32 0, v0
	s_cbranch_execz .LBB3_628
; %bb.627:                              ;   in Loop: Header=BB3_625 Depth=1
	s_bcnt1_i32_b32 s24, s24
	s_delay_alu instid0(SALU_CYCLE_1)
	v_mov_b32_e32 v11, s24
	global_atomic_add_u32 v11, v25, v11, s[16:17] offset:384 glc
.LBB3_628:                              ;   in Loop: Header=BB3_625 Depth=1
	s_or_b32 exec_lo, exec_lo, s7
	s_waitcnt vmcnt(0)
	v_readfirstlane_b32 s7, v11
	s_and_not1_b32 vcc_lo, exec_lo, s9
	s_cbranch_vccnz .LBB3_630
; %bb.629:                              ;   in Loop: Header=BB3_625 Depth=1
	v_ashrrev_i32_e32 v11, 31, v10
	s_delay_alu instid0(VALU_DEP_1) | instskip(NEXT) | instid1(VALU_DEP_1)
	v_lshlrev_b64 v[27:28], 2, v[10:11]
	v_add_co_u32 v27, vcc_lo, s10, v27
	s_delay_alu instid0(VALU_DEP_2)
	v_add_co_ci_u32_e32 v28, vcc_lo, s11, v28, vcc_lo
	global_load_b32 v11, v[27:28], off
	s_cbranch_execz .LBB3_631
	s_branch .LBB3_632
.LBB3_630:                              ;   in Loop: Header=BB3_625 Depth=1
                                        ; implicit-def: $vgpr11
.LBB3_631:                              ;   in Loop: Header=BB3_625 Depth=1
	s_waitcnt vmcnt(0)
	v_add_nc_u32_e32 v11, s13, v10
.LBB3_632:                              ;   in Loop: Header=BB3_625 Depth=1
	v_add_nc_u32_e32 v27, s7, v0
	s_delay_alu instid0(VALU_DEP_1) | instskip(NEXT) | instid1(VALU_DEP_1)
	v_ashrrev_i32_e32 v28, 31, v27
	v_lshlrev_b64 v[27:28], 2, v[27:28]
	s_delay_alu instid0(VALU_DEP_1) | instskip(NEXT) | instid1(VALU_DEP_2)
	v_add_co_u32 v27, vcc_lo, s15, v27
	v_add_co_ci_u32_e32 v28, vcc_lo, s30, v28, vcc_lo
	s_waitcnt vmcnt(0)
	global_store_b32 v[27:28], v11, off
.LBB3_633:                              ;   in Loop: Header=BB3_625 Depth=1
	s_or_b32 exec_lo, exec_lo, s6
	v_cmp_gt_i32_e32 vcc_lo, 0, v1
	s_mov_b32 s6, exec_lo
	v_cndmask_b32_e64 v0, 0x7fffffff, 0, vcc_lo
	s_delay_alu instid0(VALU_DEP_1) | instskip(NEXT) | instid1(VALU_DEP_1)
	v_xor_b32_e32 v0, v0, v1
	v_and_b32_e32 v0, s5, v0
	s_delay_alu instid0(VALU_DEP_1)
	v_cmpx_le_u32_e64 v0, v26
	s_cbranch_execz .LBB3_641
; %bb.634:                              ;   in Loop: Header=BB3_625 Depth=1
	s_mov_b32 s24, exec_lo
	s_mov_b32 s7, exec_lo
	v_mbcnt_lo_u32_b32 v0, s24, 0
                                        ; implicit-def: $vgpr1
	s_delay_alu instid0(VALU_DEP_1)
	v_cmpx_eq_u32_e32 0, v0
	s_cbranch_execz .LBB3_636
; %bb.635:                              ;   in Loop: Header=BB3_625 Depth=1
	s_bcnt1_i32_b32 s24, s24
	s_delay_alu instid0(SALU_CYCLE_1)
	v_mov_b32_e32 v1, s24
	global_atomic_add_u32 v1, v25, v1, s[16:17] offset:384 glc
.LBB3_636:                              ;   in Loop: Header=BB3_625 Depth=1
	s_or_b32 exec_lo, exec_lo, s7
	s_waitcnt vmcnt(0)
	v_readfirstlane_b32 s7, v1
	s_and_not1_b32 vcc_lo, exec_lo, s9
	s_cbranch_vccnz .LBB3_638
; %bb.637:                              ;   in Loop: Header=BB3_625 Depth=1
	v_ashrrev_i32_e32 v11, 31, v10
	s_delay_alu instid0(VALU_DEP_1) | instskip(NEXT) | instid1(VALU_DEP_1)
	v_lshlrev_b64 v[27:28], 2, v[10:11]
	v_add_co_u32 v27, vcc_lo, s14, v27
	s_delay_alu instid0(VALU_DEP_2)
	v_add_co_ci_u32_e32 v28, vcc_lo, s21, v28, vcc_lo
	global_load_b32 v1, v[27:28], off
	s_cbranch_execz .LBB3_639
	s_branch .LBB3_640
.LBB3_638:                              ;   in Loop: Header=BB3_625 Depth=1
                                        ; implicit-def: $vgpr1
.LBB3_639:                              ;   in Loop: Header=BB3_625 Depth=1
	s_waitcnt vmcnt(0)
	v_add3_u32 v1, v10, s13, 1
.LBB3_640:                              ;   in Loop: Header=BB3_625 Depth=1
	v_add_nc_u32_e32 v27, s7, v0
	s_delay_alu instid0(VALU_DEP_1) | instskip(NEXT) | instid1(VALU_DEP_1)
	v_ashrrev_i32_e32 v28, 31, v27
	v_lshlrev_b64 v[27:28], 2, v[27:28]
	s_delay_alu instid0(VALU_DEP_1) | instskip(NEXT) | instid1(VALU_DEP_2)
	v_add_co_u32 v27, vcc_lo, s15, v27
	v_add_co_ci_u32_e32 v28, vcc_lo, s30, v28, vcc_lo
	s_waitcnt vmcnt(0)
	global_store_b32 v[27:28], v1, off
.LBB3_641:                              ;   in Loop: Header=BB3_625 Depth=1
	s_or_b32 exec_lo, exec_lo, s6
	v_cmp_gt_i32_e32 vcc_lo, 0, v2
	s_mov_b32 s6, exec_lo
	v_cndmask_b32_e64 v0, 0x7fffffff, 0, vcc_lo
	s_delay_alu instid0(VALU_DEP_1) | instskip(NEXT) | instid1(VALU_DEP_1)
	v_xor_b32_e32 v0, v0, v2
	v_and_b32_e32 v0, s5, v0
	s_delay_alu instid0(VALU_DEP_1)
	v_cmpx_le_u32_e64 v0, v26
	s_cbranch_execz .LBB3_649
; %bb.642:                              ;   in Loop: Header=BB3_625 Depth=1
	s_mov_b32 s24, exec_lo
	s_mov_b32 s7, exec_lo
	v_mbcnt_lo_u32_b32 v0, s24, 0
                                        ; implicit-def: $vgpr1
	s_delay_alu instid0(VALU_DEP_1)
	v_cmpx_eq_u32_e32 0, v0
	s_cbranch_execz .LBB3_644
; %bb.643:                              ;   in Loop: Header=BB3_625 Depth=1
	s_bcnt1_i32_b32 s24, s24
	s_delay_alu instid0(SALU_CYCLE_1)
	v_mov_b32_e32 v1, s24
	global_atomic_add_u32 v1, v25, v1, s[16:17] offset:384 glc
.LBB3_644:                              ;   in Loop: Header=BB3_625 Depth=1
	s_or_b32 exec_lo, exec_lo, s7
	s_waitcnt vmcnt(0)
	v_readfirstlane_b32 s7, v1
	s_and_not1_b32 vcc_lo, exec_lo, s9
	s_cbranch_vccnz .LBB3_646
; %bb.645:                              ;   in Loop: Header=BB3_625 Depth=1
	v_ashrrev_i32_e32 v11, 31, v10
	s_delay_alu instid0(VALU_DEP_1) | instskip(NEXT) | instid1(VALU_DEP_1)
	v_lshlrev_b64 v[1:2], 2, v[10:11]
	v_add_co_u32 v1, vcc_lo, s33, v1
	s_delay_alu instid0(VALU_DEP_2)
	v_add_co_ci_u32_e32 v2, vcc_lo, s34, v2, vcc_lo
	global_load_b32 v1, v[1:2], off
	s_cbranch_execz .LBB3_647
	s_branch .LBB3_648
.LBB3_646:                              ;   in Loop: Header=BB3_625 Depth=1
                                        ; implicit-def: $vgpr1
.LBB3_647:                              ;   in Loop: Header=BB3_625 Depth=1
	s_waitcnt vmcnt(0)
	v_add3_u32 v1, v10, s13, 2
.LBB3_648:                              ;   in Loop: Header=BB3_625 Depth=1
	v_add_nc_u32_e32 v27, s7, v0
	s_delay_alu instid0(VALU_DEP_1) | instskip(NEXT) | instid1(VALU_DEP_1)
	v_ashrrev_i32_e32 v28, 31, v27
	v_lshlrev_b64 v[27:28], 2, v[27:28]
	s_delay_alu instid0(VALU_DEP_1) | instskip(NEXT) | instid1(VALU_DEP_2)
	v_add_co_u32 v27, vcc_lo, s15, v27
	v_add_co_ci_u32_e32 v28, vcc_lo, s30, v28, vcc_lo
	s_waitcnt vmcnt(0)
	global_store_b32 v[27:28], v1, off
.LBB3_649:                              ;   in Loop: Header=BB3_625 Depth=1
	;; [unrolled: 55-line block ×3, first 2 shown]
	s_or_b32 exec_lo, exec_lo, s6
	v_lshlrev_b64 v[0:1], 4, v[22:23]
	v_add_co_u32 v2, vcc_lo, v8, s22
	v_add_co_ci_u32_e32 v3, vcc_lo, s23, v9, vcc_lo
	s_mov_b32 s6, exec_lo
	s_delay_alu instid0(VALU_DEP_3) | instskip(NEXT) | instid1(VALU_DEP_4)
	v_add_co_u32 v0, vcc_lo, s12, v0
	v_add_co_ci_u32_e32 v1, vcc_lo, s26, v1, vcc_lo
	s_waitcnt vmcnt(0)
	v_cmp_gt_i32_e32 vcc_lo, 0, v4
	s_clause 0x1
	global_load_b128 v[8:11], v[2:3], off
	global_load_b128 v[0:3], v[0:1], off
	v_cndmask_b32_e64 v21, 0x7fffffff, 0, vcc_lo
	s_delay_alu instid0(VALU_DEP_1) | instskip(SKIP_1) | instid1(VALU_DEP_2)
	v_xor_b32_e32 v21, v21, v4
	v_add_co_u32 v4, null, v20, s8
	v_and_b32_e32 v21, s5, v21
	s_delay_alu instid0(VALU_DEP_2) | instskip(NEXT) | instid1(VALU_DEP_2)
	v_lshl_add_u32 v23, v4, 2, s20
	v_cmpx_le_u32_e64 v21, v26
	s_cbranch_execz .LBB3_665
; %bb.658:                              ;   in Loop: Header=BB3_625 Depth=1
	s_mov_b32 s24, exec_lo
	s_mov_b32 s7, exec_lo
	v_mbcnt_lo_u32_b32 v21, s24, 0
                                        ; implicit-def: $vgpr24
	s_delay_alu instid0(VALU_DEP_1)
	v_cmpx_eq_u32_e32 0, v21
	s_cbranch_execz .LBB3_660
; %bb.659:                              ;   in Loop: Header=BB3_625 Depth=1
	s_bcnt1_i32_b32 s24, s24
	s_delay_alu instid0(SALU_CYCLE_1)
	v_mov_b32_e32 v24, s24
	global_atomic_add_u32 v24, v25, v24, s[16:17] offset:384 glc
.LBB3_660:                              ;   in Loop: Header=BB3_625 Depth=1
	s_or_b32 exec_lo, exec_lo, s7
	s_waitcnt vmcnt(0)
	v_readfirstlane_b32 s7, v24
	s_and_not1_b32 vcc_lo, exec_lo, s9
	s_cbranch_vccnz .LBB3_662
; %bb.661:                              ;   in Loop: Header=BB3_625 Depth=1
	v_ashrrev_i32_e32 v24, 31, v23
	s_delay_alu instid0(VALU_DEP_1) | instskip(NEXT) | instid1(VALU_DEP_1)
	v_lshlrev_b64 v[27:28], 2, v[23:24]
	v_add_co_u32 v27, vcc_lo, s10, v27
	s_delay_alu instid0(VALU_DEP_2)
	v_add_co_ci_u32_e32 v28, vcc_lo, s11, v28, vcc_lo
	global_load_b32 v24, v[27:28], off
	s_cbranch_execz .LBB3_663
	s_branch .LBB3_664
.LBB3_662:                              ;   in Loop: Header=BB3_625 Depth=1
                                        ; implicit-def: $vgpr24
.LBB3_663:                              ;   in Loop: Header=BB3_625 Depth=1
	s_waitcnt vmcnt(0)
	v_add_nc_u32_e32 v24, s13, v23
.LBB3_664:                              ;   in Loop: Header=BB3_625 Depth=1
	v_add_nc_u32_e32 v27, s7, v21
	s_delay_alu instid0(VALU_DEP_1) | instskip(NEXT) | instid1(VALU_DEP_1)
	v_ashrrev_i32_e32 v28, 31, v27
	v_lshlrev_b64 v[27:28], 2, v[27:28]
	s_delay_alu instid0(VALU_DEP_1) | instskip(NEXT) | instid1(VALU_DEP_2)
	v_add_co_u32 v27, vcc_lo, s15, v27
	v_add_co_ci_u32_e32 v28, vcc_lo, s30, v28, vcc_lo
	s_waitcnt vmcnt(0)
	global_store_b32 v[27:28], v24, off
.LBB3_665:                              ;   in Loop: Header=BB3_625 Depth=1
	s_or_b32 exec_lo, exec_lo, s6
	v_cmp_gt_i32_e32 vcc_lo, 0, v5
	s_mov_b32 s6, exec_lo
	v_cndmask_b32_e64 v21, 0x7fffffff, 0, vcc_lo
	s_delay_alu instid0(VALU_DEP_1) | instskip(NEXT) | instid1(VALU_DEP_1)
	v_xor_b32_e32 v5, v21, v5
	v_and_b32_e32 v5, s5, v5
	s_delay_alu instid0(VALU_DEP_1)
	v_cmpx_le_u32_e64 v5, v26
	s_cbranch_execz .LBB3_673
; %bb.666:                              ;   in Loop: Header=BB3_625 Depth=1
	s_mov_b32 s24, exec_lo
	s_mov_b32 s7, exec_lo
	v_mbcnt_lo_u32_b32 v5, s24, 0
                                        ; implicit-def: $vgpr21
	s_delay_alu instid0(VALU_DEP_1)
	v_cmpx_eq_u32_e32 0, v5
	s_cbranch_execz .LBB3_668
; %bb.667:                              ;   in Loop: Header=BB3_625 Depth=1
	s_bcnt1_i32_b32 s24, s24
	s_delay_alu instid0(SALU_CYCLE_1)
	v_mov_b32_e32 v21, s24
	global_atomic_add_u32 v21, v25, v21, s[16:17] offset:384 glc
.LBB3_668:                              ;   in Loop: Header=BB3_625 Depth=1
	s_or_b32 exec_lo, exec_lo, s7
	s_waitcnt vmcnt(0)
	v_readfirstlane_b32 s7, v21
	s_and_not1_b32 vcc_lo, exec_lo, s9
	s_cbranch_vccnz .LBB3_670
; %bb.669:                              ;   in Loop: Header=BB3_625 Depth=1
	v_ashrrev_i32_e32 v24, 31, v23
	s_delay_alu instid0(VALU_DEP_1) | instskip(NEXT) | instid1(VALU_DEP_1)
	v_lshlrev_b64 v[27:28], 2, v[23:24]
	v_add_co_u32 v27, vcc_lo, s14, v27
	s_delay_alu instid0(VALU_DEP_2)
	v_add_co_ci_u32_e32 v28, vcc_lo, s21, v28, vcc_lo
	global_load_b32 v21, v[27:28], off
	s_cbranch_execz .LBB3_671
	s_branch .LBB3_672
.LBB3_670:                              ;   in Loop: Header=BB3_625 Depth=1
                                        ; implicit-def: $vgpr21
.LBB3_671:                              ;   in Loop: Header=BB3_625 Depth=1
	s_waitcnt vmcnt(0)
	v_add3_u32 v21, v23, s13, 1
.LBB3_672:                              ;   in Loop: Header=BB3_625 Depth=1
	v_add_nc_u32_e32 v27, s7, v5
	s_delay_alu instid0(VALU_DEP_1) | instskip(NEXT) | instid1(VALU_DEP_1)
	v_ashrrev_i32_e32 v28, 31, v27
	v_lshlrev_b64 v[27:28], 2, v[27:28]
	s_delay_alu instid0(VALU_DEP_1) | instskip(NEXT) | instid1(VALU_DEP_2)
	v_add_co_u32 v27, vcc_lo, s15, v27
	v_add_co_ci_u32_e32 v28, vcc_lo, s30, v28, vcc_lo
	s_waitcnt vmcnt(0)
	global_store_b32 v[27:28], v21, off
.LBB3_673:                              ;   in Loop: Header=BB3_625 Depth=1
	s_or_b32 exec_lo, exec_lo, s6
	v_cmp_gt_i32_e32 vcc_lo, 0, v6
	s_mov_b32 s6, exec_lo
	v_cndmask_b32_e64 v5, 0x7fffffff, 0, vcc_lo
	s_delay_alu instid0(VALU_DEP_1) | instskip(NEXT) | instid1(VALU_DEP_1)
	v_xor_b32_e32 v5, v5, v6
	v_and_b32_e32 v5, s5, v5
	s_delay_alu instid0(VALU_DEP_1)
	v_cmpx_le_u32_e64 v5, v26
	s_cbranch_execz .LBB3_681
; %bb.674:                              ;   in Loop: Header=BB3_625 Depth=1
	s_mov_b32 s24, exec_lo
	s_mov_b32 s7, exec_lo
	v_mbcnt_lo_u32_b32 v5, s24, 0
                                        ; implicit-def: $vgpr6
	s_delay_alu instid0(VALU_DEP_1)
	v_cmpx_eq_u32_e32 0, v5
	s_cbranch_execz .LBB3_676
; %bb.675:                              ;   in Loop: Header=BB3_625 Depth=1
	s_bcnt1_i32_b32 s24, s24
	s_delay_alu instid0(SALU_CYCLE_1)
	v_mov_b32_e32 v6, s24
	global_atomic_add_u32 v6, v25, v6, s[16:17] offset:384 glc
.LBB3_676:                              ;   in Loop: Header=BB3_625 Depth=1
	s_or_b32 exec_lo, exec_lo, s7
	s_waitcnt vmcnt(0)
	v_readfirstlane_b32 s7, v6
	s_and_not1_b32 vcc_lo, exec_lo, s9
	s_cbranch_vccnz .LBB3_678
; %bb.677:                              ;   in Loop: Header=BB3_625 Depth=1
	v_ashrrev_i32_e32 v24, 31, v23
	s_delay_alu instid0(VALU_DEP_1) | instskip(NEXT) | instid1(VALU_DEP_1)
	v_lshlrev_b64 v[27:28], 2, v[23:24]
	v_add_co_u32 v27, vcc_lo, s33, v27
	s_delay_alu instid0(VALU_DEP_2)
	v_add_co_ci_u32_e32 v28, vcc_lo, s34, v28, vcc_lo
	global_load_b32 v6, v[27:28], off
	s_cbranch_execz .LBB3_679
	s_branch .LBB3_680
.LBB3_678:                              ;   in Loop: Header=BB3_625 Depth=1
                                        ; implicit-def: $vgpr6
.LBB3_679:                              ;   in Loop: Header=BB3_625 Depth=1
	s_waitcnt vmcnt(0)
	v_add3_u32 v6, v23, s13, 2
.LBB3_680:                              ;   in Loop: Header=BB3_625 Depth=1
	v_add_nc_u32_e32 v27, s7, v5
	s_delay_alu instid0(VALU_DEP_1) | instskip(NEXT) | instid1(VALU_DEP_1)
	v_ashrrev_i32_e32 v28, 31, v27
	v_lshlrev_b64 v[27:28], 2, v[27:28]
	s_delay_alu instid0(VALU_DEP_1) | instskip(NEXT) | instid1(VALU_DEP_2)
	v_add_co_u32 v27, vcc_lo, s15, v27
	v_add_co_ci_u32_e32 v28, vcc_lo, s30, v28, vcc_lo
	s_waitcnt vmcnt(0)
	global_store_b32 v[27:28], v6, off
.LBB3_681:                              ;   in Loop: Header=BB3_625 Depth=1
	s_or_b32 exec_lo, exec_lo, s6
	v_cmp_gt_i32_e32 vcc_lo, 0, v7
	s_mov_b32 s6, exec_lo
	v_cndmask_b32_e64 v5, 0x7fffffff, 0, vcc_lo
	s_delay_alu instid0(VALU_DEP_1) | instskip(NEXT) | instid1(VALU_DEP_1)
	v_xor_b32_e32 v5, v5, v7
	v_and_b32_e32 v5, s5, v5
	s_delay_alu instid0(VALU_DEP_1)
	v_cmpx_le_u32_e64 v5, v26
	s_cbranch_execz .LBB3_689
; %bb.682:                              ;   in Loop: Header=BB3_625 Depth=1
	s_mov_b32 s24, exec_lo
	s_mov_b32 s7, exec_lo
	v_mbcnt_lo_u32_b32 v5, s24, 0
                                        ; implicit-def: $vgpr6
	s_delay_alu instid0(VALU_DEP_1)
	v_cmpx_eq_u32_e32 0, v5
	s_cbranch_execz .LBB3_684
; %bb.683:                              ;   in Loop: Header=BB3_625 Depth=1
	s_bcnt1_i32_b32 s24, s24
	s_delay_alu instid0(SALU_CYCLE_1)
	v_mov_b32_e32 v6, s24
	global_atomic_add_u32 v6, v25, v6, s[16:17] offset:384 glc
.LBB3_684:                              ;   in Loop: Header=BB3_625 Depth=1
	s_or_b32 exec_lo, exec_lo, s7
	s_waitcnt vmcnt(0)
	v_readfirstlane_b32 s7, v6
	s_and_not1_b32 vcc_lo, exec_lo, s9
	s_cbranch_vccnz .LBB3_686
; %bb.685:                              ;   in Loop: Header=BB3_625 Depth=1
	v_ashrrev_i32_e32 v24, 31, v23
	s_delay_alu instid0(VALU_DEP_1) | instskip(NEXT) | instid1(VALU_DEP_1)
	v_lshlrev_b64 v[6:7], 2, v[23:24]
	v_add_co_u32 v6, vcc_lo, s35, v6
	s_delay_alu instid0(VALU_DEP_2)
	v_add_co_ci_u32_e32 v7, vcc_lo, s36, v7, vcc_lo
	global_load_b32 v6, v[6:7], off
	s_cbranch_execz .LBB3_687
	s_branch .LBB3_688
.LBB3_686:                              ;   in Loop: Header=BB3_625 Depth=1
                                        ; implicit-def: $vgpr6
.LBB3_687:                              ;   in Loop: Header=BB3_625 Depth=1
	s_waitcnt vmcnt(0)
	v_add3_u32 v6, v23, s13, 3
.LBB3_688:                              ;   in Loop: Header=BB3_625 Depth=1
	v_add_nc_u32_e32 v23, s7, v5
	s_delay_alu instid0(VALU_DEP_1) | instskip(NEXT) | instid1(VALU_DEP_1)
	v_ashrrev_i32_e32 v24, 31, v23
	v_lshlrev_b64 v[23:24], 2, v[23:24]
	s_delay_alu instid0(VALU_DEP_1) | instskip(NEXT) | instid1(VALU_DEP_2)
	v_add_co_u32 v23, vcc_lo, s15, v23
	v_add_co_ci_u32_e32 v24, vcc_lo, s30, v24, vcc_lo
	s_waitcnt vmcnt(0)
	global_store_b32 v[23:24], v6, off
.LBB3_689:                              ;   in Loop: Header=BB3_625 Depth=1
	s_or_b32 exec_lo, exec_lo, s6
	s_waitcnt vmcnt(1)
	v_cmp_gt_i32_e32 vcc_lo, 0, v8
	v_add_nc_u32_e32 v4, s8, v4
	s_mov_b32 s6, exec_lo
	v_cndmask_b32_e64 v5, 0x7fffffff, 0, vcc_lo
	s_delay_alu instid0(VALU_DEP_2) | instskip(NEXT) | instid1(VALU_DEP_2)
	v_lshl_add_u32 v4, v4, 2, s20
	v_xor_b32_e32 v5, v5, v8
	s_delay_alu instid0(VALU_DEP_1) | instskip(NEXT) | instid1(VALU_DEP_1)
	v_and_b32_e32 v5, s5, v5
	v_cmpx_le_u32_e64 v5, v26
	s_cbranch_execz .LBB3_697
; %bb.690:                              ;   in Loop: Header=BB3_625 Depth=1
	s_mov_b32 s24, exec_lo
	s_mov_b32 s7, exec_lo
	v_mbcnt_lo_u32_b32 v6, s24, 0
                                        ; implicit-def: $vgpr5
	s_delay_alu instid0(VALU_DEP_1)
	v_cmpx_eq_u32_e32 0, v6
	s_cbranch_execz .LBB3_692
; %bb.691:                              ;   in Loop: Header=BB3_625 Depth=1
	s_bcnt1_i32_b32 s24, s24
	s_delay_alu instid0(SALU_CYCLE_1)
	v_mov_b32_e32 v5, s24
	global_atomic_add_u32 v5, v25, v5, s[16:17] offset:384 glc
.LBB3_692:                              ;   in Loop: Header=BB3_625 Depth=1
	s_or_b32 exec_lo, exec_lo, s7
	s_waitcnt vmcnt(0)
	v_readfirstlane_b32 s7, v5
	s_and_not1_b32 vcc_lo, exec_lo, s9
	s_cbranch_vccnz .LBB3_694
; %bb.693:                              ;   in Loop: Header=BB3_625 Depth=1
	v_ashrrev_i32_e32 v5, 31, v4
	s_delay_alu instid0(VALU_DEP_1) | instskip(NEXT) | instid1(VALU_DEP_1)
	v_lshlrev_b64 v[7:8], 2, v[4:5]
	v_add_co_u32 v7, vcc_lo, s10, v7
	s_delay_alu instid0(VALU_DEP_2)
	v_add_co_ci_u32_e32 v8, vcc_lo, s11, v8, vcc_lo
	global_load_b32 v5, v[7:8], off
	s_cbranch_execz .LBB3_695
	s_branch .LBB3_696
.LBB3_694:                              ;   in Loop: Header=BB3_625 Depth=1
                                        ; implicit-def: $vgpr5
.LBB3_695:                              ;   in Loop: Header=BB3_625 Depth=1
	s_waitcnt vmcnt(0)
	v_add_nc_u32_e32 v5, s13, v4
.LBB3_696:                              ;   in Loop: Header=BB3_625 Depth=1
	v_add_nc_u32_e32 v6, s7, v6
	s_delay_alu instid0(VALU_DEP_1) | instskip(NEXT) | instid1(VALU_DEP_1)
	v_ashrrev_i32_e32 v7, 31, v6
	v_lshlrev_b64 v[6:7], 2, v[6:7]
	s_delay_alu instid0(VALU_DEP_1) | instskip(NEXT) | instid1(VALU_DEP_2)
	v_add_co_u32 v6, vcc_lo, s15, v6
	v_add_co_ci_u32_e32 v7, vcc_lo, s30, v7, vcc_lo
	s_waitcnt vmcnt(0)
	global_store_b32 v[6:7], v5, off
.LBB3_697:                              ;   in Loop: Header=BB3_625 Depth=1
	s_or_b32 exec_lo, exec_lo, s6
	v_cmp_gt_i32_e32 vcc_lo, 0, v9
	s_mov_b32 s6, exec_lo
	v_cndmask_b32_e64 v5, 0x7fffffff, 0, vcc_lo
	s_delay_alu instid0(VALU_DEP_1) | instskip(NEXT) | instid1(VALU_DEP_1)
	v_xor_b32_e32 v5, v5, v9
	v_and_b32_e32 v5, s5, v5
	s_delay_alu instid0(VALU_DEP_1)
	v_cmpx_le_u32_e64 v5, v26
	s_cbranch_execz .LBB3_705
; %bb.698:                              ;   in Loop: Header=BB3_625 Depth=1
	s_mov_b32 s24, exec_lo
	s_mov_b32 s7, exec_lo
	v_mbcnt_lo_u32_b32 v6, s24, 0
                                        ; implicit-def: $vgpr5
	s_delay_alu instid0(VALU_DEP_1)
	v_cmpx_eq_u32_e32 0, v6
	s_cbranch_execz .LBB3_700
; %bb.699:                              ;   in Loop: Header=BB3_625 Depth=1
	s_bcnt1_i32_b32 s24, s24
	s_delay_alu instid0(SALU_CYCLE_1)
	v_mov_b32_e32 v5, s24
	global_atomic_add_u32 v5, v25, v5, s[16:17] offset:384 glc
.LBB3_700:                              ;   in Loop: Header=BB3_625 Depth=1
	s_or_b32 exec_lo, exec_lo, s7
	s_waitcnt vmcnt(0)
	v_readfirstlane_b32 s7, v5
	s_and_not1_b32 vcc_lo, exec_lo, s9
	s_cbranch_vccnz .LBB3_702
; %bb.701:                              ;   in Loop: Header=BB3_625 Depth=1
	v_ashrrev_i32_e32 v5, 31, v4
	s_delay_alu instid0(VALU_DEP_1) | instskip(NEXT) | instid1(VALU_DEP_1)
	v_lshlrev_b64 v[7:8], 2, v[4:5]
	v_add_co_u32 v7, vcc_lo, s14, v7
	s_delay_alu instid0(VALU_DEP_2)
	v_add_co_ci_u32_e32 v8, vcc_lo, s21, v8, vcc_lo
	global_load_b32 v5, v[7:8], off
	s_cbranch_execz .LBB3_703
	s_branch .LBB3_704
.LBB3_702:                              ;   in Loop: Header=BB3_625 Depth=1
                                        ; implicit-def: $vgpr5
.LBB3_703:                              ;   in Loop: Header=BB3_625 Depth=1
	s_waitcnt vmcnt(0)
	v_add3_u32 v5, v4, s13, 1
.LBB3_704:                              ;   in Loop: Header=BB3_625 Depth=1
	v_add_nc_u32_e32 v6, s7, v6
	s_delay_alu instid0(VALU_DEP_1) | instskip(NEXT) | instid1(VALU_DEP_1)
	v_ashrrev_i32_e32 v7, 31, v6
	v_lshlrev_b64 v[6:7], 2, v[6:7]
	s_delay_alu instid0(VALU_DEP_1) | instskip(NEXT) | instid1(VALU_DEP_2)
	v_add_co_u32 v6, vcc_lo, s15, v6
	v_add_co_ci_u32_e32 v7, vcc_lo, s30, v7, vcc_lo
	s_waitcnt vmcnt(0)
	global_store_b32 v[6:7], v5, off
.LBB3_705:                              ;   in Loop: Header=BB3_625 Depth=1
	s_or_b32 exec_lo, exec_lo, s6
	v_cmp_gt_i32_e32 vcc_lo, 0, v10
	s_mov_b32 s6, exec_lo
	v_cndmask_b32_e64 v5, 0x7fffffff, 0, vcc_lo
	s_delay_alu instid0(VALU_DEP_1) | instskip(NEXT) | instid1(VALU_DEP_1)
	v_xor_b32_e32 v5, v5, v10
	v_and_b32_e32 v5, s5, v5
	s_delay_alu instid0(VALU_DEP_1)
	v_cmpx_le_u32_e64 v5, v26
	s_cbranch_execz .LBB3_713
; %bb.706:                              ;   in Loop: Header=BB3_625 Depth=1
	s_mov_b32 s24, exec_lo
	s_mov_b32 s7, exec_lo
	v_mbcnt_lo_u32_b32 v6, s24, 0
                                        ; implicit-def: $vgpr5
	s_delay_alu instid0(VALU_DEP_1)
	v_cmpx_eq_u32_e32 0, v6
	s_cbranch_execz .LBB3_708
; %bb.707:                              ;   in Loop: Header=BB3_625 Depth=1
	s_bcnt1_i32_b32 s24, s24
	s_delay_alu instid0(SALU_CYCLE_1)
	v_mov_b32_e32 v5, s24
	global_atomic_add_u32 v5, v25, v5, s[16:17] offset:384 glc
.LBB3_708:                              ;   in Loop: Header=BB3_625 Depth=1
	s_or_b32 exec_lo, exec_lo, s7
	s_waitcnt vmcnt(0)
	v_readfirstlane_b32 s7, v5
	s_and_not1_b32 vcc_lo, exec_lo, s9
	s_cbranch_vccnz .LBB3_710
; %bb.709:                              ;   in Loop: Header=BB3_625 Depth=1
	v_ashrrev_i32_e32 v5, 31, v4
	s_delay_alu instid0(VALU_DEP_1) | instskip(NEXT) | instid1(VALU_DEP_1)
	v_lshlrev_b64 v[7:8], 2, v[4:5]
	v_add_co_u32 v7, vcc_lo, s33, v7
	s_delay_alu instid0(VALU_DEP_2)
	v_add_co_ci_u32_e32 v8, vcc_lo, s34, v8, vcc_lo
	global_load_b32 v5, v[7:8], off
	s_cbranch_execz .LBB3_711
	s_branch .LBB3_712
.LBB3_710:                              ;   in Loop: Header=BB3_625 Depth=1
                                        ; implicit-def: $vgpr5
.LBB3_711:                              ;   in Loop: Header=BB3_625 Depth=1
	s_waitcnt vmcnt(0)
	v_add3_u32 v5, v4, s13, 2
.LBB3_712:                              ;   in Loop: Header=BB3_625 Depth=1
	v_add_nc_u32_e32 v6, s7, v6
	s_delay_alu instid0(VALU_DEP_1) | instskip(NEXT) | instid1(VALU_DEP_1)
	v_ashrrev_i32_e32 v7, 31, v6
	v_lshlrev_b64 v[6:7], 2, v[6:7]
	s_delay_alu instid0(VALU_DEP_1) | instskip(NEXT) | instid1(VALU_DEP_2)
	v_add_co_u32 v6, vcc_lo, s15, v6
	v_add_co_ci_u32_e32 v7, vcc_lo, s30, v7, vcc_lo
	s_waitcnt vmcnt(0)
	global_store_b32 v[6:7], v5, off
.LBB3_713:                              ;   in Loop: Header=BB3_625 Depth=1
	;; [unrolled: 55-line block ×3, first 2 shown]
	s_or_b32 exec_lo, exec_lo, s6
	s_waitcnt vmcnt(0)
	v_cmp_gt_i32_e32 vcc_lo, 0, v0
	s_mov_b32 s6, exec_lo
	v_cndmask_b32_e64 v4, 0x7fffffff, 0, vcc_lo
	s_delay_alu instid0(VALU_DEP_1) | instskip(SKIP_1) | instid1(VALU_DEP_2)
	v_xor_b32_e32 v0, v4, v0
	v_lshl_add_u32 v4, v22, 2, s20
	v_and_b32_e32 v0, s5, v0
	s_delay_alu instid0(VALU_DEP_1)
	v_cmpx_le_u32_e64 v0, v26
	s_cbranch_execz .LBB3_729
; %bb.722:                              ;   in Loop: Header=BB3_625 Depth=1
	s_mov_b32 s24, exec_lo
	s_mov_b32 s7, exec_lo
	v_mbcnt_lo_u32_b32 v0, s24, 0
                                        ; implicit-def: $vgpr5
	s_delay_alu instid0(VALU_DEP_1)
	v_cmpx_eq_u32_e32 0, v0
	s_cbranch_execz .LBB3_724
; %bb.723:                              ;   in Loop: Header=BB3_625 Depth=1
	s_bcnt1_i32_b32 s24, s24
	s_delay_alu instid0(SALU_CYCLE_1)
	v_mov_b32_e32 v5, s24
	global_atomic_add_u32 v5, v25, v5, s[16:17] offset:384 glc
.LBB3_724:                              ;   in Loop: Header=BB3_625 Depth=1
	s_or_b32 exec_lo, exec_lo, s7
	s_waitcnt vmcnt(0)
	v_readfirstlane_b32 s7, v5
	s_and_not1_b32 vcc_lo, exec_lo, s9
	s_cbranch_vccnz .LBB3_726
; %bb.725:                              ;   in Loop: Header=BB3_625 Depth=1
	v_ashrrev_i32_e32 v5, 31, v4
	s_delay_alu instid0(VALU_DEP_1) | instskip(NEXT) | instid1(VALU_DEP_1)
	v_lshlrev_b64 v[5:6], 2, v[4:5]
	v_add_co_u32 v5, vcc_lo, s10, v5
	s_delay_alu instid0(VALU_DEP_2)
	v_add_co_ci_u32_e32 v6, vcc_lo, s11, v6, vcc_lo
	global_load_b32 v5, v[5:6], off
	s_cbranch_execz .LBB3_727
	s_branch .LBB3_728
.LBB3_726:                              ;   in Loop: Header=BB3_625 Depth=1
                                        ; implicit-def: $vgpr5
.LBB3_727:                              ;   in Loop: Header=BB3_625 Depth=1
	s_waitcnt vmcnt(0)
	v_add_nc_u32_e32 v5, s13, v4
.LBB3_728:                              ;   in Loop: Header=BB3_625 Depth=1
	v_add_nc_u32_e32 v6, s7, v0
	s_delay_alu instid0(VALU_DEP_1) | instskip(NEXT) | instid1(VALU_DEP_1)
	v_ashrrev_i32_e32 v7, 31, v6
	v_lshlrev_b64 v[6:7], 2, v[6:7]
	s_delay_alu instid0(VALU_DEP_1) | instskip(NEXT) | instid1(VALU_DEP_2)
	v_add_co_u32 v6, vcc_lo, s15, v6
	v_add_co_ci_u32_e32 v7, vcc_lo, s30, v7, vcc_lo
	s_waitcnt vmcnt(0)
	global_store_b32 v[6:7], v5, off
.LBB3_729:                              ;   in Loop: Header=BB3_625 Depth=1
	s_or_b32 exec_lo, exec_lo, s6
	v_cmp_gt_i32_e32 vcc_lo, 0, v1
	s_mov_b32 s6, exec_lo
	v_cndmask_b32_e64 v0, 0x7fffffff, 0, vcc_lo
	s_delay_alu instid0(VALU_DEP_1) | instskip(NEXT) | instid1(VALU_DEP_1)
	v_xor_b32_e32 v0, v0, v1
	v_and_b32_e32 v0, s5, v0
	s_delay_alu instid0(VALU_DEP_1)
	v_cmpx_le_u32_e64 v0, v26
	s_cbranch_execz .LBB3_737
; %bb.730:                              ;   in Loop: Header=BB3_625 Depth=1
	s_mov_b32 s24, exec_lo
	s_mov_b32 s7, exec_lo
	v_mbcnt_lo_u32_b32 v0, s24, 0
                                        ; implicit-def: $vgpr1
	s_delay_alu instid0(VALU_DEP_1)
	v_cmpx_eq_u32_e32 0, v0
	s_cbranch_execz .LBB3_732
; %bb.731:                              ;   in Loop: Header=BB3_625 Depth=1
	s_bcnt1_i32_b32 s24, s24
	s_delay_alu instid0(SALU_CYCLE_1)
	v_mov_b32_e32 v1, s24
	global_atomic_add_u32 v1, v25, v1, s[16:17] offset:384 glc
.LBB3_732:                              ;   in Loop: Header=BB3_625 Depth=1
	s_or_b32 exec_lo, exec_lo, s7
	s_waitcnt vmcnt(0)
	v_readfirstlane_b32 s7, v1
	s_and_not1_b32 vcc_lo, exec_lo, s9
	s_cbranch_vccnz .LBB3_734
; %bb.733:                              ;   in Loop: Header=BB3_625 Depth=1
	v_ashrrev_i32_e32 v5, 31, v4
	s_delay_alu instid0(VALU_DEP_1) | instskip(NEXT) | instid1(VALU_DEP_1)
	v_lshlrev_b64 v[5:6], 2, v[4:5]
	v_add_co_u32 v5, vcc_lo, s14, v5
	s_delay_alu instid0(VALU_DEP_2)
	v_add_co_ci_u32_e32 v6, vcc_lo, s21, v6, vcc_lo
	global_load_b32 v1, v[5:6], off
	s_cbranch_execz .LBB3_735
	s_branch .LBB3_736
.LBB3_734:                              ;   in Loop: Header=BB3_625 Depth=1
                                        ; implicit-def: $vgpr1
.LBB3_735:                              ;   in Loop: Header=BB3_625 Depth=1
	s_waitcnt vmcnt(0)
	v_add3_u32 v1, v4, s13, 1
.LBB3_736:                              ;   in Loop: Header=BB3_625 Depth=1
	v_add_nc_u32_e32 v5, s7, v0
	s_delay_alu instid0(VALU_DEP_1) | instskip(NEXT) | instid1(VALU_DEP_1)
	v_ashrrev_i32_e32 v6, 31, v5
	v_lshlrev_b64 v[5:6], 2, v[5:6]
	s_delay_alu instid0(VALU_DEP_1) | instskip(NEXT) | instid1(VALU_DEP_2)
	v_add_co_u32 v5, vcc_lo, s15, v5
	v_add_co_ci_u32_e32 v6, vcc_lo, s30, v6, vcc_lo
	s_waitcnt vmcnt(0)
	global_store_b32 v[5:6], v1, off
.LBB3_737:                              ;   in Loop: Header=BB3_625 Depth=1
	s_or_b32 exec_lo, exec_lo, s6
	v_cmp_gt_i32_e32 vcc_lo, 0, v2
	s_mov_b32 s6, exec_lo
	v_cndmask_b32_e64 v0, 0x7fffffff, 0, vcc_lo
	s_delay_alu instid0(VALU_DEP_1) | instskip(NEXT) | instid1(VALU_DEP_1)
	v_xor_b32_e32 v0, v0, v2
	v_and_b32_e32 v0, s5, v0
	s_delay_alu instid0(VALU_DEP_1)
	v_cmpx_le_u32_e64 v0, v26
	s_cbranch_execz .LBB3_745
; %bb.738:                              ;   in Loop: Header=BB3_625 Depth=1
	s_mov_b32 s24, exec_lo
	s_mov_b32 s7, exec_lo
	v_mbcnt_lo_u32_b32 v0, s24, 0
                                        ; implicit-def: $vgpr1
	s_delay_alu instid0(VALU_DEP_1)
	v_cmpx_eq_u32_e32 0, v0
	s_cbranch_execz .LBB3_740
; %bb.739:                              ;   in Loop: Header=BB3_625 Depth=1
	s_bcnt1_i32_b32 s24, s24
	s_delay_alu instid0(SALU_CYCLE_1)
	v_mov_b32_e32 v1, s24
	global_atomic_add_u32 v1, v25, v1, s[16:17] offset:384 glc
.LBB3_740:                              ;   in Loop: Header=BB3_625 Depth=1
	s_or_b32 exec_lo, exec_lo, s7
	s_waitcnt vmcnt(0)
	v_readfirstlane_b32 s7, v1
	s_and_not1_b32 vcc_lo, exec_lo, s9
	s_cbranch_vccnz .LBB3_742
; %bb.741:                              ;   in Loop: Header=BB3_625 Depth=1
	v_ashrrev_i32_e32 v5, 31, v4
	s_delay_alu instid0(VALU_DEP_1) | instskip(NEXT) | instid1(VALU_DEP_1)
	v_lshlrev_b64 v[1:2], 2, v[4:5]
	v_add_co_u32 v1, vcc_lo, s33, v1
	s_delay_alu instid0(VALU_DEP_2)
	v_add_co_ci_u32_e32 v2, vcc_lo, s34, v2, vcc_lo
	global_load_b32 v1, v[1:2], off
	s_cbranch_execz .LBB3_743
	s_branch .LBB3_744
.LBB3_742:                              ;   in Loop: Header=BB3_625 Depth=1
                                        ; implicit-def: $vgpr1
.LBB3_743:                              ;   in Loop: Header=BB3_625 Depth=1
	s_waitcnt vmcnt(0)
	v_add3_u32 v1, v4, s13, 2
.LBB3_744:                              ;   in Loop: Header=BB3_625 Depth=1
	v_add_nc_u32_e32 v5, s7, v0
	s_delay_alu instid0(VALU_DEP_1) | instskip(NEXT) | instid1(VALU_DEP_1)
	v_ashrrev_i32_e32 v6, 31, v5
	v_lshlrev_b64 v[5:6], 2, v[5:6]
	s_delay_alu instid0(VALU_DEP_1) | instskip(NEXT) | instid1(VALU_DEP_2)
	v_add_co_u32 v5, vcc_lo, s15, v5
	v_add_co_ci_u32_e32 v6, vcc_lo, s30, v6, vcc_lo
	s_waitcnt vmcnt(0)
	global_store_b32 v[5:6], v1, off
.LBB3_745:                              ;   in Loop: Header=BB3_625 Depth=1
	s_or_b32 exec_lo, exec_lo, s6
	v_cmp_gt_i32_e32 vcc_lo, 0, v3
	s_mov_b32 s6, exec_lo
	v_cndmask_b32_e64 v0, 0x7fffffff, 0, vcc_lo
	s_delay_alu instid0(VALU_DEP_1) | instskip(NEXT) | instid1(VALU_DEP_1)
	v_xor_b32_e32 v0, v0, v3
	v_and_b32_e32 v0, s5, v0
	s_delay_alu instid0(VALU_DEP_1)
	v_cmpx_le_u32_e64 v0, v26
	s_cbranch_execz .LBB3_624
; %bb.746:                              ;   in Loop: Header=BB3_625 Depth=1
	s_mov_b32 s24, exec_lo
	s_mov_b32 s7, exec_lo
	v_mbcnt_lo_u32_b32 v0, s24, 0
                                        ; implicit-def: $vgpr1
	s_delay_alu instid0(VALU_DEP_1)
	v_cmpx_eq_u32_e32 0, v0
	s_cbranch_execz .LBB3_748
; %bb.747:                              ;   in Loop: Header=BB3_625 Depth=1
	s_bcnt1_i32_b32 s24, s24
	s_delay_alu instid0(SALU_CYCLE_1)
	v_mov_b32_e32 v1, s24
	global_atomic_add_u32 v1, v25, v1, s[16:17] offset:384 glc
.LBB3_748:                              ;   in Loop: Header=BB3_625 Depth=1
	s_or_b32 exec_lo, exec_lo, s7
	s_waitcnt vmcnt(0)
	v_readfirstlane_b32 s7, v1
	s_and_not1_b32 vcc_lo, exec_lo, s9
	s_cbranch_vccnz .LBB3_750
; %bb.749:                              ;   in Loop: Header=BB3_625 Depth=1
	v_ashrrev_i32_e32 v5, 31, v4
	s_delay_alu instid0(VALU_DEP_1) | instskip(NEXT) | instid1(VALU_DEP_1)
	v_lshlrev_b64 v[1:2], 2, v[4:5]
	v_add_co_u32 v1, vcc_lo, s35, v1
	s_delay_alu instid0(VALU_DEP_2)
	v_add_co_ci_u32_e32 v2, vcc_lo, s36, v2, vcc_lo
	global_load_b32 v1, v[1:2], off
	s_cbranch_execnz .LBB3_623
	s_branch .LBB3_622
.LBB3_750:                              ;   in Loop: Header=BB3_625 Depth=1
                                        ; implicit-def: $vgpr1
	s_branch .LBB3_622
.LBB3_751:
	s_or_b32 exec_lo, exec_lo, s4
	v_mov_b32_e32 v24, v20
.LBB3_752:
	s_or_b32 exec_lo, exec_lo, s3
	s_delay_alu instid0(SALU_CYCLE_1) | instskip(NEXT) | instid1(VALU_DEP_1)
	s_mov_b32 s3, exec_lo
	v_cmpx_gt_i32_e64 s18, v24
	s_cbranch_execz .LBB3_787
; %bb.753:
	v_lshl_add_u32 v4, v24, 2, s20
	v_mov_b32_e32 v6, 0
	s_lshl_b32 s4, -1, s2
	s_mov_b32 s5, 0
	s_branch .LBB3_757
.LBB3_754:                              ;   in Loop: Header=BB3_757 Depth=1
	s_waitcnt vmcnt(0)
	v_add3_u32 v1, s13, v4, 3
.LBB3_755:                              ;   in Loop: Header=BB3_757 Depth=1
	v_add_nc_u32_e32 v2, s7, v0
	s_delay_alu instid0(VALU_DEP_1) | instskip(NEXT) | instid1(VALU_DEP_1)
	v_ashrrev_i32_e32 v3, 31, v2
	v_lshlrev_b64 v[2:3], 2, v[2:3]
	s_delay_alu instid0(VALU_DEP_1) | instskip(NEXT) | instid1(VALU_DEP_2)
	v_add_co_u32 v2, vcc_lo, s15, v2
	v_add_co_ci_u32_e32 v3, vcc_lo, s30, v3, vcc_lo
	s_waitcnt vmcnt(0)
	global_store_b32 v[2:3], v1, off
.LBB3_756:                              ;   in Loop: Header=BB3_757 Depth=1
	s_or_b32 exec_lo, exec_lo, s6
	v_add_nc_u32_e32 v24, s8, v24
	v_add_nc_u32_e32 v4, s31, v4
	s_delay_alu instid0(VALU_DEP_2) | instskip(SKIP_1) | instid1(SALU_CYCLE_1)
	v_cmp_le_i32_e32 vcc_lo, s18, v24
	s_or_b32 s5, vcc_lo, s5
	s_and_not1_b32 exec_lo, exec_lo, s5
	s_cbranch_execz .LBB3_787
.LBB3_757:                              ; =>This Inner Loop Header: Depth=1
	v_ashrrev_i32_e32 v25, 31, v24
	s_mov_b32 s6, exec_lo
	s_delay_alu instid0(VALU_DEP_1) | instskip(NEXT) | instid1(VALU_DEP_1)
	v_lshlrev_b64 v[0:1], 4, v[24:25]
	v_add_co_u32 v0, vcc_lo, s12, v0
	s_delay_alu instid0(VALU_DEP_2) | instskip(SKIP_4) | instid1(VALU_DEP_1)
	v_add_co_ci_u32_e32 v1, vcc_lo, s26, v1, vcc_lo
	global_load_b128 v[0:3], v[0:1], off
	s_waitcnt vmcnt(0)
	v_cmp_gt_i32_e32 vcc_lo, 0, v0
	v_cndmask_b32_e64 v5, 0x7fffffff, 0, vcc_lo
	v_xor_b32_e32 v0, v5, v0
	s_delay_alu instid0(VALU_DEP_1) | instskip(SKIP_1) | instid1(VALU_DEP_1)
	v_and_b32_e32 v0, s4, v0
	s_waitcnt lgkmcnt(0)
	v_cmpx_le_u32_e64 v0, v26
	s_cbranch_execz .LBB3_765
; %bb.758:                              ;   in Loop: Header=BB3_757 Depth=1
	s_mov_b32 s19, exec_lo
	s_mov_b32 s7, exec_lo
	v_mbcnt_lo_u32_b32 v0, s19, 0
                                        ; implicit-def: $vgpr5
	s_delay_alu instid0(VALU_DEP_1)
	v_cmpx_eq_u32_e32 0, v0
	s_cbranch_execz .LBB3_760
; %bb.759:                              ;   in Loop: Header=BB3_757 Depth=1
	s_bcnt1_i32_b32 s19, s19
	s_delay_alu instid0(SALU_CYCLE_1)
	v_mov_b32_e32 v5, s19
	global_atomic_add_u32 v5, v6, v5, s[16:17] offset:384 glc
.LBB3_760:                              ;   in Loop: Header=BB3_757 Depth=1
	s_or_b32 exec_lo, exec_lo, s7
	s_waitcnt vmcnt(0)
	v_readfirstlane_b32 s7, v5
	s_and_not1_b32 vcc_lo, exec_lo, s9
	s_cbranch_vccnz .LBB3_762
; %bb.761:                              ;   in Loop: Header=BB3_757 Depth=1
	v_ashrrev_i32_e32 v5, 31, v4
	s_delay_alu instid0(VALU_DEP_1) | instskip(NEXT) | instid1(VALU_DEP_1)
	v_lshlrev_b64 v[7:8], 2, v[4:5]
	v_add_co_u32 v7, vcc_lo, s10, v7
	s_delay_alu instid0(VALU_DEP_2)
	v_add_co_ci_u32_e32 v8, vcc_lo, s11, v8, vcc_lo
	global_load_b32 v5, v[7:8], off
	s_cbranch_execz .LBB3_763
	s_branch .LBB3_764
.LBB3_762:                              ;   in Loop: Header=BB3_757 Depth=1
                                        ; implicit-def: $vgpr5
.LBB3_763:                              ;   in Loop: Header=BB3_757 Depth=1
	s_waitcnt vmcnt(0)
	v_add_nc_u32_e32 v5, s13, v4
.LBB3_764:                              ;   in Loop: Header=BB3_757 Depth=1
	v_add_nc_u32_e32 v7, s7, v0
	s_delay_alu instid0(VALU_DEP_1) | instskip(NEXT) | instid1(VALU_DEP_1)
	v_ashrrev_i32_e32 v8, 31, v7
	v_lshlrev_b64 v[7:8], 2, v[7:8]
	s_delay_alu instid0(VALU_DEP_1) | instskip(NEXT) | instid1(VALU_DEP_2)
	v_add_co_u32 v7, vcc_lo, s15, v7
	v_add_co_ci_u32_e32 v8, vcc_lo, s30, v8, vcc_lo
	s_waitcnt vmcnt(0)
	global_store_b32 v[7:8], v5, off
.LBB3_765:                              ;   in Loop: Header=BB3_757 Depth=1
	s_or_b32 exec_lo, exec_lo, s6
	v_cmp_gt_i32_e32 vcc_lo, 0, v1
	s_mov_b32 s6, exec_lo
	v_cndmask_b32_e64 v0, 0x7fffffff, 0, vcc_lo
	s_delay_alu instid0(VALU_DEP_1) | instskip(NEXT) | instid1(VALU_DEP_1)
	v_xor_b32_e32 v0, v0, v1
	v_and_b32_e32 v0, s4, v0
	s_delay_alu instid0(VALU_DEP_1)
	v_cmpx_le_u32_e64 v0, v26
	s_cbranch_execz .LBB3_773
; %bb.766:                              ;   in Loop: Header=BB3_757 Depth=1
	s_mov_b32 s19, exec_lo
	s_mov_b32 s7, exec_lo
	v_mbcnt_lo_u32_b32 v0, s19, 0
                                        ; implicit-def: $vgpr1
	s_delay_alu instid0(VALU_DEP_1)
	v_cmpx_eq_u32_e32 0, v0
	s_cbranch_execz .LBB3_768
; %bb.767:                              ;   in Loop: Header=BB3_757 Depth=1
	s_bcnt1_i32_b32 s19, s19
	s_delay_alu instid0(SALU_CYCLE_1)
	v_mov_b32_e32 v1, s19
	global_atomic_add_u32 v1, v6, v1, s[16:17] offset:384 glc
.LBB3_768:                              ;   in Loop: Header=BB3_757 Depth=1
	s_or_b32 exec_lo, exec_lo, s7
	s_waitcnt vmcnt(0)
	v_readfirstlane_b32 s7, v1
	s_and_not1_b32 vcc_lo, exec_lo, s9
	s_cbranch_vccnz .LBB3_770
; %bb.769:                              ;   in Loop: Header=BB3_757 Depth=1
	v_ashrrev_i32_e32 v5, 31, v4
	s_delay_alu instid0(VALU_DEP_1) | instskip(NEXT) | instid1(VALU_DEP_1)
	v_lshlrev_b64 v[7:8], 2, v[4:5]
	v_add_co_u32 v7, vcc_lo, s14, v7
	s_delay_alu instid0(VALU_DEP_2)
	v_add_co_ci_u32_e32 v8, vcc_lo, s21, v8, vcc_lo
	global_load_b32 v1, v[7:8], off
	s_cbranch_execz .LBB3_771
	s_branch .LBB3_772
.LBB3_770:                              ;   in Loop: Header=BB3_757 Depth=1
                                        ; implicit-def: $vgpr1
.LBB3_771:                              ;   in Loop: Header=BB3_757 Depth=1
	s_waitcnt vmcnt(0)
	v_add3_u32 v1, s13, v4, 1
.LBB3_772:                              ;   in Loop: Header=BB3_757 Depth=1
	v_add_nc_u32_e32 v7, s7, v0
	s_delay_alu instid0(VALU_DEP_1) | instskip(NEXT) | instid1(VALU_DEP_1)
	v_ashrrev_i32_e32 v8, 31, v7
	v_lshlrev_b64 v[7:8], 2, v[7:8]
	s_delay_alu instid0(VALU_DEP_1) | instskip(NEXT) | instid1(VALU_DEP_2)
	v_add_co_u32 v7, vcc_lo, s15, v7
	v_add_co_ci_u32_e32 v8, vcc_lo, s30, v8, vcc_lo
	s_waitcnt vmcnt(0)
	global_store_b32 v[7:8], v1, off
.LBB3_773:                              ;   in Loop: Header=BB3_757 Depth=1
	s_or_b32 exec_lo, exec_lo, s6
	v_cmp_gt_i32_e32 vcc_lo, 0, v2
	s_mov_b32 s6, exec_lo
	v_cndmask_b32_e64 v0, 0x7fffffff, 0, vcc_lo
	s_delay_alu instid0(VALU_DEP_1) | instskip(NEXT) | instid1(VALU_DEP_1)
	v_xor_b32_e32 v0, v0, v2
	v_and_b32_e32 v0, s4, v0
	s_delay_alu instid0(VALU_DEP_1)
	v_cmpx_le_u32_e64 v0, v26
	s_cbranch_execz .LBB3_781
; %bb.774:                              ;   in Loop: Header=BB3_757 Depth=1
	s_mov_b32 s19, exec_lo
	s_mov_b32 s7, exec_lo
	v_mbcnt_lo_u32_b32 v0, s19, 0
                                        ; implicit-def: $vgpr1
	s_delay_alu instid0(VALU_DEP_1)
	v_cmpx_eq_u32_e32 0, v0
	s_cbranch_execz .LBB3_776
; %bb.775:                              ;   in Loop: Header=BB3_757 Depth=1
	s_bcnt1_i32_b32 s19, s19
	s_delay_alu instid0(SALU_CYCLE_1)
	v_mov_b32_e32 v1, s19
	global_atomic_add_u32 v1, v6, v1, s[16:17] offset:384 glc
.LBB3_776:                              ;   in Loop: Header=BB3_757 Depth=1
	s_or_b32 exec_lo, exec_lo, s7
	s_waitcnt vmcnt(0)
	v_readfirstlane_b32 s7, v1
	s_and_not1_b32 vcc_lo, exec_lo, s9
	s_cbranch_vccnz .LBB3_778
; %bb.777:                              ;   in Loop: Header=BB3_757 Depth=1
	v_ashrrev_i32_e32 v5, 31, v4
	s_delay_alu instid0(VALU_DEP_1) | instskip(NEXT) | instid1(VALU_DEP_1)
	v_lshlrev_b64 v[1:2], 2, v[4:5]
	v_add_co_u32 v1, vcc_lo, s33, v1
	s_delay_alu instid0(VALU_DEP_2)
	v_add_co_ci_u32_e32 v2, vcc_lo, s34, v2, vcc_lo
	global_load_b32 v1, v[1:2], off
	s_cbranch_execz .LBB3_779
	s_branch .LBB3_780
.LBB3_778:                              ;   in Loop: Header=BB3_757 Depth=1
                                        ; implicit-def: $vgpr1
.LBB3_779:                              ;   in Loop: Header=BB3_757 Depth=1
	s_waitcnt vmcnt(0)
	v_add3_u32 v1, s13, v4, 2
.LBB3_780:                              ;   in Loop: Header=BB3_757 Depth=1
	v_add_nc_u32_e32 v7, s7, v0
	s_delay_alu instid0(VALU_DEP_1) | instskip(NEXT) | instid1(VALU_DEP_1)
	v_ashrrev_i32_e32 v8, 31, v7
	v_lshlrev_b64 v[7:8], 2, v[7:8]
	s_delay_alu instid0(VALU_DEP_1) | instskip(NEXT) | instid1(VALU_DEP_2)
	v_add_co_u32 v7, vcc_lo, s15, v7
	v_add_co_ci_u32_e32 v8, vcc_lo, s30, v8, vcc_lo
	s_waitcnt vmcnt(0)
	global_store_b32 v[7:8], v1, off
.LBB3_781:                              ;   in Loop: Header=BB3_757 Depth=1
	s_or_b32 exec_lo, exec_lo, s6
	v_cmp_gt_i32_e32 vcc_lo, 0, v3
	s_mov_b32 s6, exec_lo
	v_cndmask_b32_e64 v0, 0x7fffffff, 0, vcc_lo
	s_delay_alu instid0(VALU_DEP_1) | instskip(NEXT) | instid1(VALU_DEP_1)
	v_xor_b32_e32 v0, v0, v3
	v_and_b32_e32 v0, s4, v0
	s_delay_alu instid0(VALU_DEP_1)
	v_cmpx_le_u32_e64 v0, v26
	s_cbranch_execz .LBB3_756
; %bb.782:                              ;   in Loop: Header=BB3_757 Depth=1
	s_mov_b32 s19, exec_lo
	s_mov_b32 s7, exec_lo
	v_mbcnt_lo_u32_b32 v0, s19, 0
                                        ; implicit-def: $vgpr1
	s_delay_alu instid0(VALU_DEP_1)
	v_cmpx_eq_u32_e32 0, v0
	s_cbranch_execz .LBB3_784
; %bb.783:                              ;   in Loop: Header=BB3_757 Depth=1
	s_bcnt1_i32_b32 s19, s19
	s_delay_alu instid0(SALU_CYCLE_1)
	v_mov_b32_e32 v1, s19
	global_atomic_add_u32 v1, v6, v1, s[16:17] offset:384 glc
.LBB3_784:                              ;   in Loop: Header=BB3_757 Depth=1
	s_or_b32 exec_lo, exec_lo, s7
	s_waitcnt vmcnt(0)
	v_readfirstlane_b32 s7, v1
	s_and_not1_b32 vcc_lo, exec_lo, s9
	s_cbranch_vccnz .LBB3_786
; %bb.785:                              ;   in Loop: Header=BB3_757 Depth=1
	v_ashrrev_i32_e32 v5, 31, v4
	s_delay_alu instid0(VALU_DEP_1) | instskip(NEXT) | instid1(VALU_DEP_1)
	v_lshlrev_b64 v[1:2], 2, v[4:5]
	v_add_co_u32 v1, vcc_lo, s35, v1
	s_delay_alu instid0(VALU_DEP_2)
	v_add_co_ci_u32_e32 v2, vcc_lo, s36, v2, vcc_lo
	global_load_b32 v1, v[1:2], off
	s_cbranch_execnz .LBB3_755
	s_branch .LBB3_754
.LBB3_786:                              ;   in Loop: Header=BB3_757 Depth=1
                                        ; implicit-def: $vgpr1
	s_branch .LBB3_754
.LBB3_787:
	s_or_b32 exec_lo, exec_lo, s3
	s_and_saveexec_b32 s3, s1
	s_cbranch_execz .LBB3_794
; %bb.788:
	global_load_b32 v0, v[16:17], off
	s_lshl_b32 s1, -1, s2
	s_waitcnt vmcnt(0)
	v_cmp_gt_i32_e32 vcc_lo, 0, v0
	v_cndmask_b32_e64 v1, 0x7fffffff, 0, vcc_lo
	s_delay_alu instid0(VALU_DEP_1) | instskip(NEXT) | instid1(VALU_DEP_1)
	v_xor_b32_e32 v0, v1, v0
	v_and_b32_e32 v0, s1, v0
	s_waitcnt lgkmcnt(0)
	s_delay_alu instid0(VALU_DEP_1)
	v_cmp_le_u32_e32 vcc_lo, v0, v26
	s_and_b32 exec_lo, exec_lo, vcc_lo
	s_cbranch_execz .LBB3_794
; %bb.789:
	s_mov_b32 s4, exec_lo
	s_mov_b32 s1, exec_lo
	v_mbcnt_lo_u32_b32 v0, s4, 0
                                        ; implicit-def: $vgpr1
	s_delay_alu instid0(VALU_DEP_1)
	v_cmpx_eq_u32_e32 0, v0
	s_cbranch_execz .LBB3_791
; %bb.790:
	s_bcnt1_i32_b32 s4, s4
	s_delay_alu instid0(SALU_CYCLE_1)
	v_dual_mov_b32 v1, 0 :: v_dual_mov_b32 v2, s4
	global_atomic_add_u32 v1, v1, v2, s[16:17] offset:384 glc
.LBB3_791:
	s_or_b32 exec_lo, exec_lo, s1
	s_waitcnt vmcnt(0)
	v_readfirstlane_b32 s1, v1
	s_and_not1_b32 vcc_lo, exec_lo, s9
	s_cbranch_vccnz .LBB3_793
; %bb.792:
	global_load_b32 v44, v[18:19], off
.LBB3_793:
	s_delay_alu instid0(VALU_DEP_1) | instskip(NEXT) | instid1(VALU_DEP_1)
	v_add_nc_u32_e32 v0, s1, v0
	v_ashrrev_i32_e32 v1, 31, v0
	s_delay_alu instid0(VALU_DEP_1) | instskip(NEXT) | instid1(VALU_DEP_1)
	v_lshlrev_b64 v[0:1], 2, v[0:1]
	v_add_co_u32 v0, vcc_lo, s15, v0
	s_delay_alu instid0(VALU_DEP_2)
	v_add_co_ci_u32_e32 v1, vcc_lo, s30, v1, vcc_lo
	s_waitcnt vmcnt(0)
	global_store_b32 v[0:1], v44, off
.LBB3_794:
	s_or_b32 exec_lo, exec_lo, s3
	s_and_saveexec_b32 s1, s0
	s_cbranch_execz .LBB3_801
; %bb.795:
	global_load_b32 v0, v[12:13], off
	s_lshl_b32 s0, -1, s2
	s_waitcnt vmcnt(0)
	v_cmp_gt_i32_e32 vcc_lo, 0, v0
	v_cndmask_b32_e64 v1, 0x7fffffff, 0, vcc_lo
	s_delay_alu instid0(VALU_DEP_1) | instskip(NEXT) | instid1(VALU_DEP_1)
	v_xor_b32_e32 v0, v1, v0
	v_and_b32_e32 v0, s0, v0
	s_waitcnt lgkmcnt(0)
	s_delay_alu instid0(VALU_DEP_1)
	v_cmp_le_u32_e32 vcc_lo, v0, v26
	s_and_b32 exec_lo, exec_lo, vcc_lo
	s_cbranch_execz .LBB3_801
; %bb.796:
	s_mov_b32 s1, exec_lo
	s_mov_b32 s0, exec_lo
	v_mbcnt_lo_u32_b32 v0, s1, 0
                                        ; implicit-def: $vgpr1
	s_delay_alu instid0(VALU_DEP_1)
	v_cmpx_eq_u32_e32 0, v0
	s_cbranch_execz .LBB3_798
; %bb.797:
	s_bcnt1_i32_b32 s1, s1
	s_delay_alu instid0(SALU_CYCLE_1)
	v_dual_mov_b32 v1, 0 :: v_dual_mov_b32 v2, s1
	global_atomic_add_u32 v1, v1, v2, s[16:17] offset:384 glc
.LBB3_798:
	s_or_b32 exec_lo, exec_lo, s0
	s_waitcnt vmcnt(0)
	v_readfirstlane_b32 s0, v1
	s_and_not1_b32 vcc_lo, exec_lo, s9
	s_cbranch_vccnz .LBB3_800
; %bb.799:
	global_load_b32 v43, v[14:15], off
.LBB3_800:
	s_delay_alu instid0(VALU_DEP_1) | instskip(NEXT) | instid1(VALU_DEP_1)
	v_add_nc_u32_e32 v0, s0, v0
	v_ashrrev_i32_e32 v1, 31, v0
	s_delay_alu instid0(VALU_DEP_1) | instskip(NEXT) | instid1(VALU_DEP_1)
	v_lshlrev_b64 v[0:1], 2, v[0:1]
	v_add_co_u32 v0, vcc_lo, s15, v0
	s_delay_alu instid0(VALU_DEP_2)
	v_add_co_ci_u32_e32 v1, vcc_lo, s30, v1, vcc_lo
	s_waitcnt vmcnt(0)
	global_store_b32 v[0:1], v43, off
.LBB3_801:
	s_nop 0
	s_sendmsg sendmsg(MSG_DEALLOC_VGPRS)
	s_endpgm
	.section	.rodata,"a",@progbits
	.p2align	6, 0x0
	.amdhsa_kernel _ZN5aiter2mb23radix_kernel_persistentIfiLi11ELi1024ELb0ELb0ELNS0_5PhaseE0EEEvPKT_PKT0_PS3_PS6_PNS0_7CounterIS3_S6_EESA_S6_S8_S8_S6_S6_b
		.amdhsa_group_segment_fixed_size 16912
		.amdhsa_private_segment_fixed_size 0
		.amdhsa_kernarg_size 344
		.amdhsa_user_sgpr_count 14
		.amdhsa_user_sgpr_dispatch_ptr 0
		.amdhsa_user_sgpr_queue_ptr 0
		.amdhsa_user_sgpr_kernarg_segment_ptr 1
		.amdhsa_user_sgpr_dispatch_id 0
		.amdhsa_user_sgpr_private_segment_size 0
		.amdhsa_wavefront_size32 1
		.amdhsa_uses_dynamic_stack 0
		.amdhsa_enable_private_segment 0
		.amdhsa_system_sgpr_workgroup_id_x 1
		.amdhsa_system_sgpr_workgroup_id_y 1
		.amdhsa_system_sgpr_workgroup_id_z 0
		.amdhsa_system_sgpr_workgroup_info 0
		.amdhsa_system_vgpr_workitem_id 2
		.amdhsa_next_free_vgpr 74
		.amdhsa_next_free_sgpr 53
		.amdhsa_reserve_vcc 1
		.amdhsa_float_round_mode_32 0
		.amdhsa_float_round_mode_16_64 0
		.amdhsa_float_denorm_mode_32 3
		.amdhsa_float_denorm_mode_16_64 3
		.amdhsa_dx10_clamp 1
		.amdhsa_ieee_mode 1
		.amdhsa_fp16_overflow 0
		.amdhsa_workgroup_processor_mode 1
		.amdhsa_memory_ordered 1
		.amdhsa_forward_progress 0
		.amdhsa_shared_vgpr_count 0
		.amdhsa_exception_fp_ieee_invalid_op 0
		.amdhsa_exception_fp_denorm_src 0
		.amdhsa_exception_fp_ieee_div_zero 0
		.amdhsa_exception_fp_ieee_overflow 0
		.amdhsa_exception_fp_ieee_underflow 0
		.amdhsa_exception_fp_ieee_inexact 0
		.amdhsa_exception_int_div_zero 0
	.end_amdhsa_kernel
	.section	.text._ZN5aiter2mb23radix_kernel_persistentIfiLi11ELi1024ELb0ELb0ELNS0_5PhaseE0EEEvPKT_PKT0_PS3_PS6_PNS0_7CounterIS3_S6_EESA_S6_S8_S8_S6_S6_b,"axG",@progbits,_ZN5aiter2mb23radix_kernel_persistentIfiLi11ELi1024ELb0ELb0ELNS0_5PhaseE0EEEvPKT_PKT0_PS3_PS6_PNS0_7CounterIS3_S6_EESA_S6_S8_S8_S6_S6_b,comdat
.Lfunc_end3:
	.size	_ZN5aiter2mb23radix_kernel_persistentIfiLi11ELi1024ELb0ELb0ELNS0_5PhaseE0EEEvPKT_PKT0_PS3_PS6_PNS0_7CounterIS3_S6_EESA_S6_S8_S8_S6_S6_b, .Lfunc_end3-_ZN5aiter2mb23radix_kernel_persistentIfiLi11ELi1024ELb0ELb0ELNS0_5PhaseE0EEEvPKT_PKT0_PS3_PS6_PNS0_7CounterIS3_S6_EESA_S6_S8_S8_S6_S6_b
                                        ; -- End function
	.section	.AMDGPU.csdata,"",@progbits
; Kernel info:
; codeLenInByte = 23832
; NumSgprs: 55
; NumVgprs: 74
; ScratchSize: 0
; MemoryBound: 0
; FloatMode: 240
; IeeeMode: 1
; LDSByteSize: 16912 bytes/workgroup (compile time only)
; SGPRBlocks: 6
; VGPRBlocks: 9
; NumSGPRsForWavesPerEU: 55
; NumVGPRsForWavesPerEU: 74
; Occupancy: 16
; WaveLimiterHint : 0
; COMPUTE_PGM_RSRC2:SCRATCH_EN: 0
; COMPUTE_PGM_RSRC2:USER_SGPR: 14
; COMPUTE_PGM_RSRC2:TRAP_HANDLER: 0
; COMPUTE_PGM_RSRC2:TGID_X_EN: 1
; COMPUTE_PGM_RSRC2:TGID_Y_EN: 1
; COMPUTE_PGM_RSRC2:TGID_Z_EN: 0
; COMPUTE_PGM_RSRC2:TIDIG_COMP_CNT: 2
	.section	.text._ZN5aiter2mb23radix_kernel_persistentIfiLi10ELi1024ELb0ELb0ELNS0_5PhaseE0EEEvPKT_PKT0_PS3_PS6_PNS0_7CounterIS3_S6_EESA_S6_S8_S8_S6_S6_b,"axG",@progbits,_ZN5aiter2mb23radix_kernel_persistentIfiLi10ELi1024ELb0ELb0ELNS0_5PhaseE0EEEvPKT_PKT0_PS3_PS6_PNS0_7CounterIS3_S6_EESA_S6_S8_S8_S6_S6_b,comdat
	.protected	_ZN5aiter2mb23radix_kernel_persistentIfiLi10ELi1024ELb0ELb0ELNS0_5PhaseE0EEEvPKT_PKT0_PS3_PS6_PNS0_7CounterIS3_S6_EESA_S6_S8_S8_S6_S6_b ; -- Begin function _ZN5aiter2mb23radix_kernel_persistentIfiLi10ELi1024ELb0ELb0ELNS0_5PhaseE0EEEvPKT_PKT0_PS3_PS6_PNS0_7CounterIS3_S6_EESA_S6_S8_S8_S6_S6_b
	.globl	_ZN5aiter2mb23radix_kernel_persistentIfiLi10ELi1024ELb0ELb0ELNS0_5PhaseE0EEEvPKT_PKT0_PS3_PS6_PNS0_7CounterIS3_S6_EESA_S6_S8_S8_S6_S6_b
	.p2align	8
	.type	_ZN5aiter2mb23radix_kernel_persistentIfiLi10ELi1024ELb0ELb0ELNS0_5PhaseE0EEEvPKT_PKT0_PS3_PS6_PNS0_7CounterIS3_S6_EESA_S6_S8_S8_S6_S6_b,@function
_ZN5aiter2mb23radix_kernel_persistentIfiLi10ELi1024ELb0ELb0ELNS0_5PhaseE0EEEvPKT_PKT0_PS3_PS6_PNS0_7CounterIS3_S6_EESA_S6_S8_S8_S6_S6_b: ; @_ZN5aiter2mb23radix_kernel_persistentIfiLi10ELi1024ELb0ELb0ELNS0_5PhaseE0EEEvPKT_PKT0_PS3_PS6_PNS0_7CounterIS3_S6_EESA_S6_S8_S8_S6_S6_b
; %bb.0:
	s_clause 0x1
	s_load_b128 s[4:7], s[0:1], 0x38
	s_load_b32 s3, s[0:1], 0x30
	s_mov_b32 s12, 0
	s_mov_b32 s18, s15
	;; [unrolled: 1-line block ×3, first 2 shown]
	s_waitcnt lgkmcnt(0)
	s_cmp_lg_u64 s[4:5], 0
	s_mov_b32 s34, s3
	s_cselect_b32 s2, -1, 0
	s_cmp_eq_u64 s[4:5], 0
	s_cselect_b32 s8, -1, 0
	s_cmp_eq_u64 s[6:7], 0
	s_cselect_b32 s9, -1, 0
	s_delay_alu instid0(SALU_CYCLE_1) | instskip(NEXT) | instid1(SALU_CYCLE_1)
	s_or_b32 s8, s8, s9
	s_and_b32 vcc_lo, exec_lo, s8
	s_cbranch_vccnz .LBB4_2
; %bb.1:
	s_lshl_b64 s[8:9], s[18:19], 2
	s_delay_alu instid0(SALU_CYCLE_1)
	s_add_u32 s10, s4, s8
	s_addc_u32 s11, s5, s9
	s_add_u32 s6, s6, s8
	s_addc_u32 s7, s7, s9
	s_load_b32 s6, s[6:7], 0x0
	s_load_b32 s7, s[10:11], 0x0
	s_waitcnt lgkmcnt(0)
	s_sub_i32 s34, s6, s7
.LBB4_2:
	s_and_not1_b32 vcc_lo, exec_lo, s2
	s_cbranch_vccnz .LBB4_4
; %bb.3:
	s_lshl_b64 s[6:7], s[18:19], 2
	s_delay_alu instid0(SALU_CYCLE_1)
	s_add_u32 s4, s4, s6
	s_addc_u32 s5, s5, s7
	s_load_b32 s12, s[4:5], 0x0
.LBB4_4:
	s_clause 0x1
	s_load_b32 s40, s[0:1], 0x48
	s_load_b32 s26, s[0:1], 0x64
	v_and_b32_e32 v26, 0x3ff, v0
	s_add_u32 s24, s0, 0x58
	s_addc_u32 s25, s1, 0
	s_delay_alu instid0(VALU_DEP_1) | instskip(NEXT) | instid1(VALU_DEP_1)
	v_cmp_eq_u32_e64 s2, 0, v26
	s_and_saveexec_b32 s4, s2
	s_cbranch_execz .LBB4_6
; %bb.5:
	s_waitcnt lgkmcnt(0)
	v_dual_mov_b32 v1, 0 :: v_dual_mov_b32 v2, s40
	v_mov_b32_e32 v3, s34
	ds_store_b96 v1, v[1:3] offset:8576
.LBB4_6:
	s_or_b32 exec_lo, exec_lo, s4
	s_load_b128 s[4:7], s[0:1], 0x0
	s_ashr_i32 s8, s3, 31
	s_mul_hi_u32 s9, s3, s18
	s_mul_i32 s8, s8, s18
	s_mul_i32 s16, s3, s18
	s_add_i32 s17, s9, s8
	s_load_b128 s[8:11], s[0:1], 0x18
	s_lshl_b64 s[20:21], s[16:17], 2
	s_waitcnt lgkmcnt(0)
	s_ashr_i32 s13, s12, 31
	s_load_b32 s46, s[0:1], 0x58
	s_waitcnt lgkmcnt(0)
	s_barrier
	buffer_gl0_inv
	s_add_u32 s3, s6, s20
	s_addc_u32 s15, s7, s21
	s_lshl_b64 s[22:23], s[12:13], 2
	s_delay_alu instid0(SALU_CYCLE_1)
	s_add_u32 s3, s3, s22
	s_addc_u32 s13, s15, s23
	s_cmp_lg_u64 s[6:7], 0
	s_mul_hi_u32 s7, s40, s18
	s_cselect_b32 s17, s13, 0
	s_cselect_b32 s16, s3, 0
	s_ashr_i32 s3, s40, 31
	s_mul_i32 s6, s40, s18
	s_mul_i32 s3, s3, s18
	s_delay_alu instid0(SALU_CYCLE_1) | instskip(NEXT) | instid1(SALU_CYCLE_1)
	s_add_i32 s7, s7, s3
	s_lshl_b64 s[6:7], s[6:7], 2
	s_delay_alu instid0(SALU_CYCLE_1)
	s_add_u32 s13, s8, s6
	s_addc_u32 s15, s9, s7
	s_and_b32 s41, 0xffff, s26
	s_cmp_le_i32 s34, s40
	s_mov_b32 s6, -1
	s_cbranch_scc0 .LBB4_16
; %bb.7:
	v_cmp_gt_i32_e32 vcc_lo, s40, v26
	s_cmp_eq_u32 s14, 0
	s_mov_b32 s6, 0
	s_cselect_b32 s3, -1, 0
	s_delay_alu instid0(SALU_CYCLE_1) | instskip(NEXT) | instid1(SALU_CYCLE_1)
	s_and_b32 s3, s3, vcc_lo
	s_and_saveexec_b32 s7, s3
	s_cbranch_execz .LBB4_15
; %bb.8:
	v_mov_b32_e32 v1, v26
	s_cmp_lg_u64 s[16:17], 0
	s_mov_b32 s9, 0
	s_cselect_b32 s8, -1, 0
	s_set_inst_prefetch_distance 0x1
	s_branch .LBB4_11
	.p2align	6
.LBB4_9:                                ;   in Loop: Header=BB4_11 Depth=1
	s_waitcnt vmcnt(0)
	v_add_nc_u32_e32 v3, s12, v1
.LBB4_10:                               ;   in Loop: Header=BB4_11 Depth=1
	s_or_b32 exec_lo, exec_lo, s3
	v_ashrrev_i32_e32 v2, 31, v1
	s_delay_alu instid0(VALU_DEP_1) | instskip(SKIP_1) | instid1(VALU_DEP_1)
	v_lshlrev_b64 v[4:5], 2, v[1:2]
	v_add_nc_u32_e32 v1, s41, v1
	v_cmp_le_i32_e32 vcc_lo, s40, v1
	s_delay_alu instid0(VALU_DEP_3) | instskip(NEXT) | instid1(VALU_DEP_1)
	v_add_co_u32 v4, s3, s13, v4
	v_add_co_ci_u32_e64 v5, s3, s15, v5, s3
	s_or_b32 s9, vcc_lo, s9
	s_waitcnt vmcnt(0)
	global_store_b32 v[4:5], v3, off
	s_and_not1_b32 exec_lo, exec_lo, s9
	s_cbranch_execz .LBB4_15
.LBB4_11:                               ; =>This Inner Loop Header: Depth=1
	v_mov_b32_e32 v3, -1
	s_mov_b32 s3, exec_lo
	v_cmpx_gt_i32_e64 s34, v1
	s_cbranch_execz .LBB4_10
; %bb.12:                               ;   in Loop: Header=BB4_11 Depth=1
	s_and_not1_b32 vcc_lo, exec_lo, s8
	s_cbranch_vccnz .LBB4_14
; %bb.13:                               ;   in Loop: Header=BB4_11 Depth=1
	v_ashrrev_i32_e32 v2, 31, v1
	s_delay_alu instid0(VALU_DEP_1) | instskip(NEXT) | instid1(VALU_DEP_1)
	v_lshlrev_b64 v[2:3], 2, v[1:2]
	v_add_co_u32 v2, vcc_lo, s16, v2
	s_delay_alu instid0(VALU_DEP_2)
	v_add_co_ci_u32_e32 v3, vcc_lo, s17, v3, vcc_lo
	global_load_b32 v3, v[2:3], off
	s_cbranch_execnz .LBB4_10
	s_branch .LBB4_9
.LBB4_14:                               ;   in Loop: Header=BB4_11 Depth=1
                                        ; implicit-def: $vgpr3
	s_branch .LBB4_9
.LBB4_15:
	s_set_inst_prefetch_distance 0x2
	s_or_b32 exec_lo, exec_lo, s7
.LBB4_16:
	s_delay_alu instid0(SALU_CYCLE_1)
	s_and_not1_b32 vcc_lo, exec_lo, s6
	s_cbranch_vccnz .LBB4_799
; %bb.17:
	s_mul_i32 s3, s18, 0x300
	s_mul_hi_u32 s6, s18, 0x300
	s_add_u32 s8, s10, s3
	s_addc_u32 s9, s11, s6
	s_lshl_b64 s[26:27], s[18:19], 14
	s_add_u32 s3, s4, s20
	s_addc_u32 s4, s5, s21
	s_add_u32 s5, s3, s22
	s_addc_u32 s4, s4, s23
	s_and_b32 s6, s5, 15
	s_mov_b32 s7, 0
	s_sub_i32 s3, 16, s6
	s_load_b64 s[28:29], s[0:1], 0x28
	s_lshr_b32 s3, s3, 2
	s_cmp_lg_u64 s[6:7], 0
	v_mov_b32_e32 v27, 0
	s_cselect_b32 s3, s3, 0
	s_mul_hi_u32 s11, s41, s46
	s_min_i32 s20, s3, s34
	s_mul_i32 s10, s41, s46
	s_ashr_i32 s21, s20, 31
	s_mul_i32 s3, s11, 3
	s_lshl_b64 s[0:1], s[20:21], 2
	s_mul_hi_u32 s6, s10, 3
	s_add_u32 s30, s5, s0
	s_addc_u32 s31, s4, s1
	s_sub_i32 s0, s34, s20
	v_mad_u64_u32 v[24:25], null, s41, s14, v[26:27]
	s_ashr_i32 s1, s0, 31
	s_lshl_b64 s[22:23], s[10:11], 4
	s_lshr_b32 s1, s1, 30
	s_lshl_b32 s33, s10, 2
	s_add_i32 s0, s0, s1
	s_add_i32 s38, s6, s3
	s_delay_alu instid0(VALU_DEP_1)
	v_mov_b32_e32 v20, v24
	s_ashr_i32 s18, s0, 2
	v_ashrrev_i32_e32 v21, 31, v24
	s_ashr_i32 s19, s18, 31
	s_add_u32 s42, s30, s22
	s_addc_u32 s43, s31, s23
	s_add_u32 s44, s42, s22
	s_addc_u32 s45, s43, s23
	s_and_b32 s0, s0, -4
	v_lshlrev_b64 v[5:6], 2, v[24:25]
	v_add3_u32 v1, s0, s20, v24
	s_mul_i32 s39, s10, 3
	v_dual_mov_b32 v3, v27 :: v_dual_mov_b32 v4, v24
	v_add_co_u32 v22, vcc_lo, v20, s39
	s_delay_alu instid0(VALU_DEP_3) | instskip(SKIP_2) | instid1(VALU_DEP_3)
	v_ashrrev_i32_e32 v2, 31, v1
	v_add_co_ci_u32_e32 v23, vcc_lo, s38, v21, vcc_lo
	v_add_co_u32 v16, vcc_lo, s5, v5
	v_lshlrev_b64 v[7:8], 2, v[1:2]
	v_lshrrev_b32_e32 v2, 3, v26
	v_add_co_ci_u32_e32 v17, vcc_lo, s4, v6, vcc_lo
	v_cmp_gt_u64_e64 s1, s[20:21], v[24:25]
	v_dual_mov_b32 v48, 1 :: v_dual_lshlrev_b32 v25, 2, v26
	v_add_co_u32 v12, vcc_lo, s5, v7
	v_add_co_ci_u32_e32 v13, vcc_lo, s4, v8, vcc_lo
	s_mov_b64 s[4:5], src_shared_base
	s_delay_alu instid0(SALU_CYCLE_1) | instskip(SKIP_3) | instid1(VALU_DEP_1)
	v_dual_mov_b32 v29, s5 :: v_dual_and_b32 v2, 0x7c, v2
	s_add_i32 s46, s46, -1
	s_lshl_b32 s47, s41, 8
	s_cmp_eq_u64 s[16:17], 0
	v_add_nc_u32_e32 v45, v25, v2
	s_cselect_b32 s48, -1, 0
	s_cmp_lg_u64 s[16:17], 0
	v_ashrrev_i64 v[2:3], 30, v[3:4]
	v_or_b32_e32 v5, s14, v26
	s_cselect_b32 s11, -1, 0
	s_add_u32 s14, s16, 4
	s_addc_u32 s21, s17, 0
	v_cmp_gt_i32_e64 s0, s34, v1
	s_add_u32 s34, s16, 8
	s_addc_u32 s35, s17, 0
	s_add_u32 s36, s16, 12
	v_bfe_u32 v43, v0, 20, 10
	v_bfe_u32 v44, v0, 10, 10
	v_dual_mov_b32 v47, 0x2184 :: v_dual_lshlrev_b32 v0, 7, v26
	v_add_co_u32 v18, vcc_lo, s16, v2
	s_addc_u32 s37, s17, 0
	s_lshl_b32 s49, s41, 2
	s_waitcnt lgkmcnt(0)
	s_add_u32 s6, s28, s26
	v_add_co_ci_u32_e32 v19, vcc_lo, s17, v3, vcc_lo
	v_add_co_u32 v14, vcc_lo, s16, v7
	s_addc_u32 s26, s29, s27
	v_add_co_u32 v30, s6, s6, v25
	v_cmp_gt_u64_e64 s3, s[18:19], v[22:23]
	v_add_nc_u32_e32 v28, 0x1080, v25
	v_cmp_gt_u32_e64 s4, 32, v26
	v_cmp_eq_u32_e64 s5, 0, v5
	v_add_nc_u32_e32 v42, s12, v24
	v_add_co_ci_u32_e32 v15, vcc_lo, s17, v8, vcc_lo
	v_add_nc_u32_e32 v41, s12, v1
	v_add_co_ci_u32_e64 v31, null, s26, 0, s6
	v_add_nc_u32_e32 v46, 0x107c, v25
	v_add_nc_u32_e32 v49, v25, v0
	v_mbcnt_lo_u32_b32 v50, -1, 0
	s_branch .LBB4_20
.LBB4_18:                               ;   in Loop: Header=BB4_20 Depth=1
	s_mov_b32 s6, -1
	s_mov_b32 s27, -1
                                        ; implicit-def: $sgpr7
                                        ; implicit-def: $vgpr30_vgpr31
                                        ; implicit-def: $sgpr26
.LBB4_19:                               ;   in Loop: Header=BB4_20 Depth=1
	s_delay_alu instid0(SALU_CYCLE_1)
	s_and_b32 vcc_lo, exec_lo, s27
	s_cbranch_vccnz .LBB4_617
.LBB4_20:                               ; =>This Loop Header: Depth=1
                                        ;     Child Loop BB4_22 Depth 2
                                        ;     Child Loop BB4_28 Depth 2
                                        ;     Child Loop BB4_66 Depth 2
                                        ;     Child Loop BB4_84 Depth 2
                                        ;     Child Loop BB4_88 Depth 2
                                        ;     Child Loop BB4_98 Depth 2
                                        ;     Child Loop BB4_107 Depth 2
                                        ;     Child Loop BB4_119 Depth 2
                                        ;     Child Loop BB4_122 Depth 2
                                        ;     Child Loop BB4_127 Depth 2
                                        ;     Child Loop BB4_137 Depth 2
                                        ;     Child Loop BB4_493 Depth 2
	s_waitcnt lgkmcnt(0)
	ds_load_2addr_b32 v[32:33], v47 offset1:1
	s_waitcnt lgkmcnt(0)
	v_cmp_eq_u32_e32 vcc_lo, 0, v33
	s_cbranch_vccnz .LBB4_18
; %bb.21:                               ;   in Loop: Header=BB4_20 Depth=1
	v_dual_mov_b32 v0, v28 :: v_dual_mov_b32 v1, v26
	s_mov_b32 s6, 0
.LBB4_22:                               ;   Parent Loop BB4_20 Depth=1
                                        ; =>  This Inner Loop Header: Depth=2
	s_delay_alu instid0(VALU_DEP_1) | instskip(SKIP_4) | instid1(SALU_CYCLE_1)
	v_add_nc_u32_e32 v1, s41, v1
	ds_store_b32 v0, v27
	v_add_nc_u32_e32 v0, s49, v0
	v_cmp_lt_u32_e32 vcc_lo, 0x3ff, v1
	s_or_b32 s6, vcc_lo, s6
	s_and_not1_b32 exec_lo, exec_lo, s6
	s_cbranch_execnz .LBB4_22
; %bb.23:                               ;   in Loop: Header=BB4_20 Depth=1
	s_or_b32 exec_lo, exec_lo, s6
	v_cmp_ne_u32_e32 vcc_lo, v33, v32
	s_mul_i32 s26, s7, -10
	s_waitcnt vmcnt(0) lgkmcnt(0)
	s_waitcnt_vscnt null, 0x0
	s_barrier
	buffer_gl0_inv
	s_cbranch_vccz .LBB4_60
; %bb.24:                               ;   in Loop: Header=BB4_20 Depth=1
	s_max_i32 s27, s26, 0xffffffea
	s_delay_alu instid0(SALU_CYCLE_1)
	s_add_i32 s27, s27, 22
	s_cmp_lg_u32 s7, 0
	s_cbranch_scc0 .LBB4_61
; %bb.25:                               ;   in Loop: Header=BB4_20 Depth=1
	ds_load_b32 v35, v27 offset:8576
	v_mov_b32_e32 v33, v24
	s_add_i32 s6, s26, 32
	s_and_saveexec_b32 s28, s3
	s_cbranch_execz .LBB4_63
; %bb.26:                               ;   in Loop: Header=BB4_20 Depth=1
	v_dual_mov_b32 v8, v22 :: v_dual_mov_b32 v9, v23
	v_dual_mov_b32 v34, v21 :: v_dual_mov_b32 v33, v20
	s_lshl_b32 s50, -1, s6
	s_mov_b32 s29, 0
	s_branch .LBB4_28
.LBB4_27:                               ;   in Loop: Header=BB4_28 Depth=2
	s_or_b32 exec_lo, exec_lo, s51
	v_add_nc_u32_e32 v33, s33, v33
	s_delay_alu instid0(VALU_DEP_1) | instskip(SKIP_1) | instid1(VALU_DEP_2)
	v_ashrrev_i32_e32 v34, 31, v33
	v_add_co_u32 v8, vcc_lo, s39, v33
	v_add_co_ci_u32_e32 v9, vcc_lo, s38, v34, vcc_lo
	s_delay_alu instid0(VALU_DEP_1) | instskip(SKIP_1) | instid1(SALU_CYCLE_1)
	v_cmp_le_u64_e32 vcc_lo, s[18:19], v[8:9]
	s_or_b32 s29, vcc_lo, s29
	s_and_not1_b32 exec_lo, exec_lo, s29
	s_cbranch_execz .LBB4_62
.LBB4_28:                               ;   Parent Loop BB4_20 Depth=1
                                        ; =>  This Inner Loop Header: Depth=2
	s_delay_alu instid0(VALU_DEP_1) | instskip(SKIP_1) | instid1(VALU_DEP_1)
	v_lshlrev_b64 v[10:11], 4, v[33:34]
	s_mov_b32 s51, exec_lo
	v_add_co_u32 v0, vcc_lo, s30, v10
	s_delay_alu instid0(VALU_DEP_2)
	v_add_co_ci_u32_e32 v1, vcc_lo, s31, v11, vcc_lo
	v_add_co_u32 v4, vcc_lo, s42, v10
	v_add_co_ci_u32_e32 v5, vcc_lo, s43, v11, vcc_lo
	s_clause 0x1
	global_load_b128 v[0:3], v[0:1], off
	global_load_b128 v[4:7], v[4:5], off
	s_waitcnt vmcnt(1)
	v_cmp_gt_i32_e32 vcc_lo, 0, v0
	v_cndmask_b32_e64 v34, 0x7fffffff, 0, vcc_lo
	s_delay_alu instid0(VALU_DEP_1) | instskip(NEXT) | instid1(VALU_DEP_1)
	v_xor_b32_e32 v0, v34, v0
	v_and_b32_e32 v34, s50, v0
	s_waitcnt lgkmcnt(0)
	s_delay_alu instid0(VALU_DEP_1)
	v_cmpx_eq_u32_e64 v34, v35
	s_cbranch_execz .LBB4_30
; %bb.29:                               ;   in Loop: Header=BB4_28 Depth=2
	v_bfe_u32 v0, v0, s27, 10
	s_delay_alu instid0(VALU_DEP_1)
	v_lshlrev_b32_e32 v0, 2, v0
	ds_add_u32 v0, v48 offset:4224
.LBB4_30:                               ;   in Loop: Header=BB4_28 Depth=2
	s_or_b32 exec_lo, exec_lo, s51
	v_cmp_gt_i32_e32 vcc_lo, 0, v1
	s_mov_b32 s51, exec_lo
	v_cndmask_b32_e64 v0, 0x7fffffff, 0, vcc_lo
	s_delay_alu instid0(VALU_DEP_1) | instskip(NEXT) | instid1(VALU_DEP_1)
	v_xor_b32_e32 v0, v0, v1
	v_and_b32_e32 v1, s50, v0
	s_delay_alu instid0(VALU_DEP_1)
	v_cmpx_eq_u32_e64 v1, v35
	s_cbranch_execz .LBB4_32
; %bb.31:                               ;   in Loop: Header=BB4_28 Depth=2
	v_bfe_u32 v0, v0, s27, 10
	s_delay_alu instid0(VALU_DEP_1)
	v_lshlrev_b32_e32 v0, 2, v0
	ds_add_u32 v0, v48 offset:4224
.LBB4_32:                               ;   in Loop: Header=BB4_28 Depth=2
	s_or_b32 exec_lo, exec_lo, s51
	v_cmp_gt_i32_e32 vcc_lo, 0, v2
	s_mov_b32 s51, exec_lo
	v_cndmask_b32_e64 v0, 0x7fffffff, 0, vcc_lo
	s_delay_alu instid0(VALU_DEP_1) | instskip(NEXT) | instid1(VALU_DEP_1)
	v_xor_b32_e32 v0, v0, v2
	v_and_b32_e32 v1, s50, v0
	;; [unrolled: 16-line block ×3, first 2 shown]
	s_delay_alu instid0(VALU_DEP_1)
	v_cmpx_eq_u32_e64 v1, v35
	s_cbranch_execz .LBB4_36
; %bb.35:                               ;   in Loop: Header=BB4_28 Depth=2
	v_bfe_u32 v0, v0, s27, 10
	s_delay_alu instid0(VALU_DEP_1)
	v_lshlrev_b32_e32 v0, 2, v0
	ds_add_u32 v0, v48 offset:4224
.LBB4_36:                               ;   in Loop: Header=BB4_28 Depth=2
	s_or_b32 exec_lo, exec_lo, s51
	v_lshlrev_b64 v[0:1], 4, v[8:9]
	v_add_co_u32 v2, vcc_lo, s44, v10
	v_add_co_ci_u32_e32 v3, vcc_lo, s45, v11, vcc_lo
	s_mov_b32 s51, exec_lo
	s_delay_alu instid0(VALU_DEP_3) | instskip(NEXT) | instid1(VALU_DEP_4)
	v_add_co_u32 v0, vcc_lo, s30, v0
	v_add_co_ci_u32_e32 v1, vcc_lo, s31, v1, vcc_lo
	s_waitcnt vmcnt(0)
	v_cmp_gt_i32_e32 vcc_lo, 0, v4
	s_clause 0x1
	global_load_b128 v[8:11], v[2:3], off
	global_load_b128 v[0:3], v[0:1], off
	v_cndmask_b32_e64 v34, 0x7fffffff, 0, vcc_lo
	s_delay_alu instid0(VALU_DEP_1) | instskip(NEXT) | instid1(VALU_DEP_1)
	v_xor_b32_e32 v4, v34, v4
	v_and_b32_e32 v34, s50, v4
	s_delay_alu instid0(VALU_DEP_1)
	v_cmpx_eq_u32_e64 v34, v35
	s_cbranch_execz .LBB4_38
; %bb.37:                               ;   in Loop: Header=BB4_28 Depth=2
	v_bfe_u32 v4, v4, s27, 10
	s_delay_alu instid0(VALU_DEP_1)
	v_lshlrev_b32_e32 v4, 2, v4
	ds_add_u32 v4, v48 offset:4224
.LBB4_38:                               ;   in Loop: Header=BB4_28 Depth=2
	s_or_b32 exec_lo, exec_lo, s51
	v_cmp_gt_i32_e32 vcc_lo, 0, v5
	s_mov_b32 s51, exec_lo
	v_cndmask_b32_e64 v4, 0x7fffffff, 0, vcc_lo
	s_delay_alu instid0(VALU_DEP_1) | instskip(NEXT) | instid1(VALU_DEP_1)
	v_xor_b32_e32 v4, v4, v5
	v_and_b32_e32 v5, s50, v4
	s_delay_alu instid0(VALU_DEP_1)
	v_cmpx_eq_u32_e64 v5, v35
	s_cbranch_execz .LBB4_40
; %bb.39:                               ;   in Loop: Header=BB4_28 Depth=2
	v_bfe_u32 v4, v4, s27, 10
	s_delay_alu instid0(VALU_DEP_1)
	v_lshlrev_b32_e32 v4, 2, v4
	ds_add_u32 v4, v48 offset:4224
.LBB4_40:                               ;   in Loop: Header=BB4_28 Depth=2
	s_or_b32 exec_lo, exec_lo, s51
	v_cmp_gt_i32_e32 vcc_lo, 0, v6
	s_mov_b32 s51, exec_lo
	;; [unrolled: 16-line block ×3, first 2 shown]
	v_cndmask_b32_e64 v4, 0x7fffffff, 0, vcc_lo
	s_delay_alu instid0(VALU_DEP_1) | instskip(NEXT) | instid1(VALU_DEP_1)
	v_xor_b32_e32 v4, v4, v7
	v_and_b32_e32 v5, s50, v4
	s_delay_alu instid0(VALU_DEP_1)
	v_cmpx_eq_u32_e64 v5, v35
	s_cbranch_execz .LBB4_44
; %bb.43:                               ;   in Loop: Header=BB4_28 Depth=2
	v_bfe_u32 v4, v4, s27, 10
	s_delay_alu instid0(VALU_DEP_1)
	v_lshlrev_b32_e32 v4, 2, v4
	ds_add_u32 v4, v48 offset:4224
.LBB4_44:                               ;   in Loop: Header=BB4_28 Depth=2
	s_or_b32 exec_lo, exec_lo, s51
	s_waitcnt vmcnt(1)
	v_cmp_gt_i32_e32 vcc_lo, 0, v8
	s_mov_b32 s51, exec_lo
	v_cndmask_b32_e64 v4, 0x7fffffff, 0, vcc_lo
	s_delay_alu instid0(VALU_DEP_1) | instskip(NEXT) | instid1(VALU_DEP_1)
	v_xor_b32_e32 v4, v4, v8
	v_and_b32_e32 v5, s50, v4
	s_delay_alu instid0(VALU_DEP_1)
	v_cmpx_eq_u32_e64 v5, v35
	s_cbranch_execz .LBB4_46
; %bb.45:                               ;   in Loop: Header=BB4_28 Depth=2
	v_bfe_u32 v4, v4, s27, 10
	s_delay_alu instid0(VALU_DEP_1)
	v_lshlrev_b32_e32 v4, 2, v4
	ds_add_u32 v4, v48 offset:4224
.LBB4_46:                               ;   in Loop: Header=BB4_28 Depth=2
	s_or_b32 exec_lo, exec_lo, s51
	v_cmp_gt_i32_e32 vcc_lo, 0, v9
	s_mov_b32 s51, exec_lo
	v_cndmask_b32_e64 v4, 0x7fffffff, 0, vcc_lo
	s_delay_alu instid0(VALU_DEP_1) | instskip(NEXT) | instid1(VALU_DEP_1)
	v_xor_b32_e32 v4, v4, v9
	v_and_b32_e32 v5, s50, v4
	s_delay_alu instid0(VALU_DEP_1)
	v_cmpx_eq_u32_e64 v5, v35
	s_cbranch_execz .LBB4_48
; %bb.47:                               ;   in Loop: Header=BB4_28 Depth=2
	v_bfe_u32 v4, v4, s27, 10
	s_delay_alu instid0(VALU_DEP_1)
	v_lshlrev_b32_e32 v4, 2, v4
	ds_add_u32 v4, v48 offset:4224
.LBB4_48:                               ;   in Loop: Header=BB4_28 Depth=2
	s_or_b32 exec_lo, exec_lo, s51
	;; [unrolled: 16-line block ×4, first 2 shown]
	s_waitcnt vmcnt(0)
	v_cmp_gt_i32_e32 vcc_lo, 0, v0
	s_mov_b32 s51, exec_lo
	v_cndmask_b32_e64 v4, 0x7fffffff, 0, vcc_lo
	s_delay_alu instid0(VALU_DEP_1) | instskip(NEXT) | instid1(VALU_DEP_1)
	v_xor_b32_e32 v0, v4, v0
	v_and_b32_e32 v4, s50, v0
	s_delay_alu instid0(VALU_DEP_1)
	v_cmpx_eq_u32_e64 v4, v35
	s_cbranch_execz .LBB4_54
; %bb.53:                               ;   in Loop: Header=BB4_28 Depth=2
	v_bfe_u32 v0, v0, s27, 10
	s_delay_alu instid0(VALU_DEP_1)
	v_lshlrev_b32_e32 v0, 2, v0
	ds_add_u32 v0, v48 offset:4224
.LBB4_54:                               ;   in Loop: Header=BB4_28 Depth=2
	s_or_b32 exec_lo, exec_lo, s51
	v_cmp_gt_i32_e32 vcc_lo, 0, v1
	s_mov_b32 s51, exec_lo
	v_cndmask_b32_e64 v0, 0x7fffffff, 0, vcc_lo
	s_delay_alu instid0(VALU_DEP_1) | instskip(NEXT) | instid1(VALU_DEP_1)
	v_xor_b32_e32 v0, v0, v1
	v_and_b32_e32 v1, s50, v0
	s_delay_alu instid0(VALU_DEP_1)
	v_cmpx_eq_u32_e64 v1, v35
	s_cbranch_execz .LBB4_56
; %bb.55:                               ;   in Loop: Header=BB4_28 Depth=2
	v_bfe_u32 v0, v0, s27, 10
	s_delay_alu instid0(VALU_DEP_1)
	v_lshlrev_b32_e32 v0, 2, v0
	ds_add_u32 v0, v48 offset:4224
.LBB4_56:                               ;   in Loop: Header=BB4_28 Depth=2
	s_or_b32 exec_lo, exec_lo, s51
	;; [unrolled: 16-line block ×3, first 2 shown]
	v_cmp_gt_i32_e32 vcc_lo, 0, v3
	s_mov_b32 s51, exec_lo
	v_cndmask_b32_e64 v0, 0x7fffffff, 0, vcc_lo
	s_delay_alu instid0(VALU_DEP_1) | instskip(NEXT) | instid1(VALU_DEP_1)
	v_xor_b32_e32 v0, v0, v3
	v_and_b32_e32 v1, s50, v0
	s_delay_alu instid0(VALU_DEP_1)
	v_cmpx_eq_u32_e64 v1, v35
	s_cbranch_execz .LBB4_27
; %bb.59:                               ;   in Loop: Header=BB4_28 Depth=2
	v_bfe_u32 v0, v0, s27, 10
	s_delay_alu instid0(VALU_DEP_1)
	v_lshlrev_b32_e32 v0, 2, v0
	ds_add_u32 v0, v48 offset:4224
	s_branch .LBB4_27
.LBB4_60:                               ;   in Loop: Header=BB4_20 Depth=1
	s_mov_b32 s27, -1
	s_mov_b32 s6, 0
                                        ; implicit-def: $sgpr7
                                        ; implicit-def: $vgpr30_vgpr31
	s_branch .LBB4_19
.LBB4_61:                               ;   in Loop: Header=BB4_20 Depth=1
	s_mov_b32 s28, 0
                                        ; implicit-def: $vgpr0
	s_cbranch_execnz .LBB4_82
	s_branch .LBB4_94
.LBB4_62:                               ;   in Loop: Header=BB4_20 Depth=1
	s_or_b32 exec_lo, exec_lo, s29
.LBB4_63:                               ;   in Loop: Header=BB4_20 Depth=1
	s_delay_alu instid0(SALU_CYCLE_1) | instskip(NEXT) | instid1(SALU_CYCLE_1)
	s_or_b32 exec_lo, exec_lo, s28
	s_mov_b32 s28, exec_lo
	v_cmpx_gt_i32_e64 s18, v33
	s_cbranch_execz .LBB4_74
; %bb.64:                               ;   in Loop: Header=BB4_20 Depth=1
	s_lshl_b32 s29, -1, s6
	s_mov_b32 s50, 0
	s_branch .LBB4_66
.LBB4_65:                               ;   in Loop: Header=BB4_66 Depth=2
	s_or_b32 exec_lo, exec_lo, s51
	v_add_nc_u32_e32 v33, s10, v33
	s_delay_alu instid0(VALU_DEP_1) | instskip(SKIP_1) | instid1(SALU_CYCLE_1)
	v_cmp_le_i32_e32 vcc_lo, s18, v33
	s_or_b32 s50, vcc_lo, s50
	s_and_not1_b32 exec_lo, exec_lo, s50
	s_cbranch_execz .LBB4_74
.LBB4_66:                               ;   Parent Loop BB4_20 Depth=1
                                        ; =>  This Inner Loop Header: Depth=2
	v_ashrrev_i32_e32 v34, 31, v33
	s_mov_b32 s51, exec_lo
	s_delay_alu instid0(VALU_DEP_1) | instskip(NEXT) | instid1(VALU_DEP_1)
	v_lshlrev_b64 v[0:1], 4, v[33:34]
	v_add_co_u32 v0, vcc_lo, s30, v0
	s_delay_alu instid0(VALU_DEP_2) | instskip(SKIP_4) | instid1(VALU_DEP_1)
	v_add_co_ci_u32_e32 v1, vcc_lo, s31, v1, vcc_lo
	global_load_b128 v[0:3], v[0:1], off
	s_waitcnt vmcnt(0)
	v_cmp_gt_i32_e32 vcc_lo, 0, v0
	v_cndmask_b32_e64 v4, 0x7fffffff, 0, vcc_lo
	v_xor_b32_e32 v0, v4, v0
	s_delay_alu instid0(VALU_DEP_1) | instskip(SKIP_1) | instid1(VALU_DEP_1)
	v_and_b32_e32 v4, s29, v0
	s_waitcnt lgkmcnt(0)
	v_cmpx_eq_u32_e64 v4, v35
	s_cbranch_execz .LBB4_68
; %bb.67:                               ;   in Loop: Header=BB4_66 Depth=2
	v_bfe_u32 v0, v0, s27, 10
	s_delay_alu instid0(VALU_DEP_1)
	v_lshlrev_b32_e32 v0, 2, v0
	ds_add_u32 v0, v48 offset:4224
.LBB4_68:                               ;   in Loop: Header=BB4_66 Depth=2
	s_or_b32 exec_lo, exec_lo, s51
	v_cmp_gt_i32_e32 vcc_lo, 0, v1
	s_mov_b32 s51, exec_lo
	v_cndmask_b32_e64 v0, 0x7fffffff, 0, vcc_lo
	s_delay_alu instid0(VALU_DEP_1) | instskip(NEXT) | instid1(VALU_DEP_1)
	v_xor_b32_e32 v0, v0, v1
	v_and_b32_e32 v1, s29, v0
	s_delay_alu instid0(VALU_DEP_1)
	v_cmpx_eq_u32_e64 v1, v35
	s_cbranch_execz .LBB4_70
; %bb.69:                               ;   in Loop: Header=BB4_66 Depth=2
	v_bfe_u32 v0, v0, s27, 10
	s_delay_alu instid0(VALU_DEP_1)
	v_lshlrev_b32_e32 v0, 2, v0
	ds_add_u32 v0, v48 offset:4224
.LBB4_70:                               ;   in Loop: Header=BB4_66 Depth=2
	s_or_b32 exec_lo, exec_lo, s51
	v_cmp_gt_i32_e32 vcc_lo, 0, v2
	s_mov_b32 s51, exec_lo
	v_cndmask_b32_e64 v0, 0x7fffffff, 0, vcc_lo
	s_delay_alu instid0(VALU_DEP_1) | instskip(NEXT) | instid1(VALU_DEP_1)
	v_xor_b32_e32 v0, v0, v2
	v_and_b32_e32 v1, s29, v0
	s_delay_alu instid0(VALU_DEP_1)
	;; [unrolled: 16-line block ×3, first 2 shown]
	v_cmpx_eq_u32_e64 v1, v35
	s_cbranch_execz .LBB4_65
; %bb.73:                               ;   in Loop: Header=BB4_66 Depth=2
	v_bfe_u32 v0, v0, s27, 10
	s_delay_alu instid0(VALU_DEP_1)
	v_lshlrev_b32_e32 v0, 2, v0
	ds_add_u32 v0, v48 offset:4224
	s_branch .LBB4_65
.LBB4_74:                               ;   in Loop: Header=BB4_20 Depth=1
	s_or_b32 exec_lo, exec_lo, s28
	s_and_saveexec_b32 s28, s1
	s_cbranch_execz .LBB4_77
; %bb.75:                               ;   in Loop: Header=BB4_20 Depth=1
	global_load_b32 v0, v[16:17], off
	s_lshl_b32 s29, -1, s6
	s_waitcnt vmcnt(0)
	v_cmp_gt_i32_e32 vcc_lo, 0, v0
	v_cndmask_b32_e64 v1, 0x7fffffff, 0, vcc_lo
	s_delay_alu instid0(VALU_DEP_1) | instskip(NEXT) | instid1(VALU_DEP_1)
	v_xor_b32_e32 v0, v1, v0
	v_and_b32_e32 v1, s29, v0
	s_waitcnt lgkmcnt(0)
	s_delay_alu instid0(VALU_DEP_1)
	v_cmp_eq_u32_e32 vcc_lo, v1, v35
	s_and_b32 exec_lo, exec_lo, vcc_lo
	s_cbranch_execz .LBB4_77
; %bb.76:                               ;   in Loop: Header=BB4_20 Depth=1
	v_bfe_u32 v0, v0, s27, 10
	s_delay_alu instid0(VALU_DEP_1)
	v_lshlrev_b32_e32 v0, 2, v0
	ds_add_u32 v0, v48 offset:4224
.LBB4_77:                               ;   in Loop: Header=BB4_20 Depth=1
	s_or_b32 exec_lo, exec_lo, s28
	s_mov_b32 s29, 0
	s_mov_b32 s28, 0
                                        ; implicit-def: $vgpr0
	s_and_saveexec_b32 s50, s0
	s_cbranch_execz .LBB4_81
; %bb.78:                               ;   in Loop: Header=BB4_20 Depth=1
	global_load_b32 v0, v[12:13], off
	s_lshl_b32 s6, -1, s6
	s_waitcnt vmcnt(0)
	v_cmp_gt_i32_e32 vcc_lo, 0, v0
	v_cndmask_b32_e64 v1, 0x7fffffff, 0, vcc_lo
	s_delay_alu instid0(VALU_DEP_1) | instskip(NEXT) | instid1(VALU_DEP_1)
	v_xor_b32_e32 v1, v1, v0
	v_and_b32_e32 v0, s6, v1
	s_mov_b32 s6, 0
	s_waitcnt lgkmcnt(0)
	s_delay_alu instid0(VALU_DEP_1) | instskip(SKIP_1) | instid1(SALU_CYCLE_1)
	v_cmp_eq_u32_e32 vcc_lo, v0, v35
                                        ; implicit-def: $vgpr0
	s_and_saveexec_b32 s28, vcc_lo
	s_xor_b32 s28, exec_lo, s28
; %bb.79:                               ;   in Loop: Header=BB4_20 Depth=1
	s_mov_b32 s6, exec_lo
	v_bfe_u32 v0, v1, s27, 10
; %bb.80:                               ;   in Loop: Header=BB4_20 Depth=1
	s_or_b32 exec_lo, exec_lo, s28
	s_delay_alu instid0(SALU_CYCLE_1)
	s_and_b32 s28, s6, exec_lo
.LBB4_81:                               ;   in Loop: Header=BB4_20 Depth=1
	s_or_b32 exec_lo, exec_lo, s50
	s_delay_alu instid0(SALU_CYCLE_1)
	s_and_b32 vcc_lo, exec_lo, s29
	s_cbranch_vccz .LBB4_94
.LBB4_82:                               ;   in Loop: Header=BB4_20 Depth=1
	v_mov_b32_e32 v0, v24
	s_and_saveexec_b32 s6, s3
	s_cbranch_execz .LBB4_86
; %bb.83:                               ;   in Loop: Header=BB4_20 Depth=1
	v_dual_mov_b32 v2, v22 :: v_dual_mov_b32 v3, v23
	v_dual_mov_b32 v0, v20 :: v_dual_mov_b32 v1, v21
	s_mov_b32 s29, 0
.LBB4_84:                               ;   Parent Loop BB4_20 Depth=1
                                        ; =>  This Inner Loop Header: Depth=2
	s_delay_alu instid0(VALU_DEP_1) | instskip(NEXT) | instid1(VALU_DEP_3)
	v_lshlrev_b64 v[8:9], 4, v[0:1]
	v_lshlrev_b64 v[1:2], 4, v[2:3]
	v_add_nc_u32_e32 v0, s33, v0
	s_delay_alu instid0(VALU_DEP_3) | instskip(NEXT) | instid1(VALU_DEP_4)
	v_add_co_u32 v4, vcc_lo, s30, v8
	v_add_co_ci_u32_e32 v5, vcc_lo, s31, v9, vcc_lo
	v_add_co_u32 v10, vcc_lo, s42, v8
	v_add_co_ci_u32_e32 v11, vcc_lo, s43, v9, vcc_lo
	global_load_b128 v[4:7], v[4:5], off
	v_add_co_u32 v33, vcc_lo, s44, v8
	v_add_co_ci_u32_e32 v34, vcc_lo, s45, v9, vcc_lo
	global_load_b128 v[8:11], v[10:11], off
	s_waitcnt lgkmcnt(0)
	v_add_co_u32 v35, vcc_lo, s30, v1
	v_add_co_ci_u32_e32 v36, vcc_lo, s31, v2, vcc_lo
	s_waitcnt vmcnt(1)
	v_cmp_gt_i32_e32 vcc_lo, 0, v4
	v_cndmask_b32_e64 v1, 0x7fffffff, 0, vcc_lo
	v_cmp_gt_i32_e32 vcc_lo, 0, v5
	s_delay_alu instid0(VALU_DEP_2) | instskip(SKIP_2) | instid1(VALU_DEP_3)
	v_xor_b32_e32 v1, v1, v4
	v_cndmask_b32_e64 v2, 0x7fffffff, 0, vcc_lo
	v_cmp_gt_i32_e32 vcc_lo, 0, v6
	v_bfe_u32 v1, v1, s27, 10
	s_delay_alu instid0(VALU_DEP_3) | instskip(SKIP_2) | instid1(VALU_DEP_4)
	v_xor_b32_e32 v2, v2, v5
	v_cndmask_b32_e64 v3, 0x7fffffff, 0, vcc_lo
	v_cmp_gt_i32_e32 vcc_lo, 0, v7
	v_lshlrev_b32_e32 v1, 2, v1
	s_delay_alu instid0(VALU_DEP_4) | instskip(NEXT) | instid1(VALU_DEP_4)
	v_bfe_u32 v2, v2, s27, 10
	v_xor_b32_e32 v3, v3, v6
	v_cndmask_b32_e64 v37, 0x7fffffff, 0, vcc_lo
	s_waitcnt vmcnt(0)
	v_cmp_gt_i32_e32 vcc_lo, 0, v8
	v_lshlrev_b32_e32 v2, 2, v2
	v_bfe_u32 v3, v3, s27, 10
	v_xor_b32_e32 v4, v37, v7
	v_cndmask_b32_e64 v5, 0x7fffffff, 0, vcc_lo
	v_cmp_gt_i32_e32 vcc_lo, 0, v9
	s_delay_alu instid0(VALU_DEP_4) | instskip(NEXT) | instid1(VALU_DEP_4)
	v_lshlrev_b32_e32 v3, 2, v3
	v_bfe_u32 v4, v4, s27, 10
	s_delay_alu instid0(VALU_DEP_4) | instskip(SKIP_2) | instid1(VALU_DEP_4)
	v_xor_b32_e32 v5, v5, v8
	v_cndmask_b32_e64 v6, 0x7fffffff, 0, vcc_lo
	v_cmp_gt_i32_e32 vcc_lo, 0, v10
	v_lshlrev_b32_e32 v4, 2, v4
	ds_add_u32 v1, v48 offset:4224
	ds_add_u32 v2, v48 offset:4224
	;; [unrolled: 1-line block ×4, first 2 shown]
	s_clause 0x1
	global_load_b128 v[1:4], v[33:34], off
	global_load_b128 v[33:36], v[35:36], off
	v_cndmask_b32_e64 v7, 0x7fffffff, 0, vcc_lo
	v_cmp_gt_i32_e32 vcc_lo, 0, v11
	v_xor_b32_e32 v6, v6, v9
	v_bfe_u32 v5, v5, s27, 10
	s_delay_alu instid0(VALU_DEP_4) | instskip(SKIP_1) | instid1(VALU_DEP_4)
	v_xor_b32_e32 v7, v7, v10
	v_cndmask_b32_e64 v37, 0x7fffffff, 0, vcc_lo
	v_bfe_u32 v6, v6, s27, 10
	s_delay_alu instid0(VALU_DEP_4) | instskip(NEXT) | instid1(VALU_DEP_4)
	v_lshlrev_b32_e32 v5, 2, v5
	v_bfe_u32 v7, v7, s27, 10
	s_delay_alu instid0(VALU_DEP_4) | instskip(NEXT) | instid1(VALU_DEP_4)
	v_xor_b32_e32 v8, v37, v11
	v_lshlrev_b32_e32 v6, 2, v6
	s_delay_alu instid0(VALU_DEP_3) | instskip(NEXT) | instid1(VALU_DEP_3)
	v_lshlrev_b32_e32 v7, 2, v7
	v_bfe_u32 v8, v8, s27, 10
	s_delay_alu instid0(VALU_DEP_1)
	v_lshlrev_b32_e32 v8, 2, v8
	ds_add_u32 v5, v48 offset:4224
	ds_add_u32 v6, v48 offset:4224
	;; [unrolled: 1-line block ×4, first 2 shown]
	s_waitcnt vmcnt(1)
	v_cmp_gt_i32_e32 vcc_lo, 0, v1
	v_cndmask_b32_e64 v5, 0x7fffffff, 0, vcc_lo
	v_cmp_gt_i32_e32 vcc_lo, 0, v2
	s_delay_alu instid0(VALU_DEP_2) | instskip(SKIP_2) | instid1(VALU_DEP_3)
	v_xor_b32_e32 v1, v5, v1
	v_cndmask_b32_e64 v6, 0x7fffffff, 0, vcc_lo
	v_cmp_gt_i32_e32 vcc_lo, 0, v3
	v_bfe_u32 v1, v1, s27, 10
	s_delay_alu instid0(VALU_DEP_3) | instskip(SKIP_2) | instid1(VALU_DEP_4)
	v_xor_b32_e32 v2, v6, v2
	v_cndmask_b32_e64 v7, 0x7fffffff, 0, vcc_lo
	v_cmp_gt_i32_e32 vcc_lo, 0, v4
	v_lshlrev_b32_e32 v1, 2, v1
	s_delay_alu instid0(VALU_DEP_4) | instskip(NEXT) | instid1(VALU_DEP_4)
	v_bfe_u32 v2, v2, s27, 10
	v_xor_b32_e32 v3, v7, v3
	v_cndmask_b32_e64 v8, 0x7fffffff, 0, vcc_lo
	s_waitcnt vmcnt(0)
	v_cmp_gt_i32_e32 vcc_lo, 0, v33
	v_lshlrev_b32_e32 v2, 2, v2
	v_bfe_u32 v3, v3, s27, 10
	v_xor_b32_e32 v4, v8, v4
	v_cndmask_b32_e64 v9, 0x7fffffff, 0, vcc_lo
	v_cmp_gt_i32_e32 vcc_lo, 0, v34
	s_delay_alu instid0(VALU_DEP_4) | instskip(NEXT) | instid1(VALU_DEP_4)
	v_lshlrev_b32_e32 v3, 2, v3
	v_bfe_u32 v4, v4, s27, 10
	s_delay_alu instid0(VALU_DEP_4) | instskip(SKIP_2) | instid1(VALU_DEP_4)
	v_xor_b32_e32 v5, v9, v33
	v_cndmask_b32_e64 v10, 0x7fffffff, 0, vcc_lo
	v_cmp_gt_i32_e32 vcc_lo, 0, v35
	v_lshlrev_b32_e32 v4, 2, v4
	s_delay_alu instid0(VALU_DEP_4) | instskip(NEXT) | instid1(VALU_DEP_4)
	v_bfe_u32 v5, v5, s27, 10
	v_xor_b32_e32 v6, v10, v34
	v_cndmask_b32_e64 v11, 0x7fffffff, 0, vcc_lo
	v_cmp_gt_i32_e32 vcc_lo, 0, v36
	s_delay_alu instid0(VALU_DEP_4) | instskip(NEXT) | instid1(VALU_DEP_4)
	v_lshlrev_b32_e32 v5, 2, v5
	v_bfe_u32 v6, v6, s27, 10
	s_delay_alu instid0(VALU_DEP_4) | instskip(SKIP_1) | instid1(VALU_DEP_3)
	v_xor_b32_e32 v7, v11, v35
	v_cndmask_b32_e64 v37, 0x7fffffff, 0, vcc_lo
	v_lshlrev_b32_e32 v6, 2, v6
	s_delay_alu instid0(VALU_DEP_3) | instskip(NEXT) | instid1(VALU_DEP_3)
	v_bfe_u32 v7, v7, s27, 10
	v_xor_b32_e32 v8, v37, v36
	s_delay_alu instid0(VALU_DEP_2) | instskip(NEXT) | instid1(VALU_DEP_2)
	v_lshlrev_b32_e32 v7, 2, v7
	v_bfe_u32 v8, v8, s27, 10
	s_delay_alu instid0(VALU_DEP_1)
	v_lshlrev_b32_e32 v8, 2, v8
	ds_add_u32 v1, v48 offset:4224
	ds_add_u32 v2, v48 offset:4224
	;; [unrolled: 1-line block ×8, first 2 shown]
	v_ashrrev_i32_e32 v1, 31, v0
	v_add_co_u32 v2, vcc_lo, s39, v0
	s_delay_alu instid0(VALU_DEP_2) | instskip(NEXT) | instid1(VALU_DEP_1)
	v_add_co_ci_u32_e32 v3, vcc_lo, s38, v1, vcc_lo
	v_cmp_le_u64_e32 vcc_lo, s[18:19], v[2:3]
	s_or_b32 s29, vcc_lo, s29
	s_delay_alu instid0(SALU_CYCLE_1)
	s_and_not1_b32 exec_lo, exec_lo, s29
	s_cbranch_execnz .LBB4_84
; %bb.85:                               ;   in Loop: Header=BB4_20 Depth=1
	s_or_b32 exec_lo, exec_lo, s29
.LBB4_86:                               ;   in Loop: Header=BB4_20 Depth=1
	s_delay_alu instid0(SALU_CYCLE_1) | instskip(NEXT) | instid1(SALU_CYCLE_1)
	s_or_b32 exec_lo, exec_lo, s6
	s_mov_b32 s6, exec_lo
	v_cmpx_gt_i32_e64 s18, v0
	s_cbranch_execz .LBB4_89
; %bb.87:                               ;   in Loop: Header=BB4_20 Depth=1
	s_mov_b32 s29, 0
.LBB4_88:                               ;   Parent Loop BB4_20 Depth=1
                                        ; =>  This Inner Loop Header: Depth=2
	v_ashrrev_i32_e32 v1, 31, v0
	s_delay_alu instid0(VALU_DEP_1) | instskip(SKIP_1) | instid1(VALU_DEP_2)
	v_lshlrev_b64 v[1:2], 4, v[0:1]
	v_add_nc_u32_e32 v0, s10, v0
	v_add_co_u32 v1, vcc_lo, s30, v1
	s_delay_alu instid0(VALU_DEP_3)
	v_add_co_ci_u32_e32 v2, vcc_lo, s31, v2, vcc_lo
	global_load_b128 v[1:4], v[1:2], off
	s_waitcnt vmcnt(0)
	v_cmp_gt_i32_e32 vcc_lo, 0, v1
	v_cndmask_b32_e64 v5, 0x7fffffff, 0, vcc_lo
	v_cmp_gt_i32_e32 vcc_lo, 0, v2
	s_delay_alu instid0(VALU_DEP_2) | instskip(SKIP_2) | instid1(VALU_DEP_3)
	v_xor_b32_e32 v1, v5, v1
	v_cndmask_b32_e64 v6, 0x7fffffff, 0, vcc_lo
	v_cmp_gt_i32_e32 vcc_lo, 0, v3
	v_bfe_u32 v1, v1, s27, 10
	s_delay_alu instid0(VALU_DEP_3) | instskip(SKIP_2) | instid1(VALU_DEP_4)
	v_xor_b32_e32 v2, v6, v2
	v_cndmask_b32_e64 v7, 0x7fffffff, 0, vcc_lo
	v_cmp_gt_i32_e32 vcc_lo, 0, v4
	v_lshlrev_b32_e32 v1, 2, v1
	s_delay_alu instid0(VALU_DEP_4) | instskip(NEXT) | instid1(VALU_DEP_4)
	v_bfe_u32 v2, v2, s27, 10
	v_xor_b32_e32 v3, v7, v3
	v_cndmask_b32_e64 v8, 0x7fffffff, 0, vcc_lo
	v_cmp_le_i32_e32 vcc_lo, s18, v0
	s_delay_alu instid0(VALU_DEP_4) | instskip(NEXT) | instid1(VALU_DEP_4)
	v_lshlrev_b32_e32 v2, 2, v2
	v_bfe_u32 v3, v3, s27, 10
	s_delay_alu instid0(VALU_DEP_4) | instskip(SKIP_1) | instid1(VALU_DEP_2)
	v_xor_b32_e32 v4, v8, v4
	s_or_b32 s29, vcc_lo, s29
	v_lshlrev_b32_e32 v3, 2, v3
	s_delay_alu instid0(VALU_DEP_2) | instskip(NEXT) | instid1(VALU_DEP_1)
	v_bfe_u32 v4, v4, s27, 10
	v_lshlrev_b32_e32 v4, 2, v4
	ds_add_u32 v1, v48 offset:4224
	ds_add_u32 v2, v48 offset:4224
	;; [unrolled: 1-line block ×4, first 2 shown]
	s_and_not1_b32 exec_lo, exec_lo, s29
	s_cbranch_execnz .LBB4_88
.LBB4_89:                               ;   in Loop: Header=BB4_20 Depth=1
	s_or_b32 exec_lo, exec_lo, s6
	s_and_saveexec_b32 s6, s1
	s_cbranch_execz .LBB4_91
; %bb.90:                               ;   in Loop: Header=BB4_20 Depth=1
	global_load_b32 v0, v[16:17], off
	s_waitcnt vmcnt(0)
	v_cmp_gt_i32_e32 vcc_lo, 0, v0
	v_cndmask_b32_e64 v1, 0x7fffffff, 0, vcc_lo
	s_delay_alu instid0(VALU_DEP_1) | instskip(NEXT) | instid1(VALU_DEP_1)
	v_xor_b32_e32 v0, v1, v0
	v_bfe_u32 v0, v0, s27, 10
	s_delay_alu instid0(VALU_DEP_1)
	v_lshlrev_b32_e32 v0, 2, v0
	ds_add_u32 v0, v48 offset:4224
.LBB4_91:                               ;   in Loop: Header=BB4_20 Depth=1
	s_or_b32 exec_lo, exec_lo, s6
                                        ; implicit-def: $vgpr0
	s_and_saveexec_b32 s6, s0
	s_cbranch_execz .LBB4_93
; %bb.92:                               ;   in Loop: Header=BB4_20 Depth=1
	global_load_b32 v0, v[12:13], off
	s_or_b32 s28, s28, exec_lo
	s_waitcnt vmcnt(0)
	v_cmp_gt_i32_e32 vcc_lo, 0, v0
	v_cndmask_b32_e64 v1, 0x7fffffff, 0, vcc_lo
	s_delay_alu instid0(VALU_DEP_1) | instskip(NEXT) | instid1(VALU_DEP_1)
	v_xor_b32_e32 v0, v1, v0
	v_bfe_u32 v0, v0, s27, 10
.LBB4_93:                               ;   in Loop: Header=BB4_20 Depth=1
	s_or_b32 exec_lo, exec_lo, s6
.LBB4_94:                               ;   in Loop: Header=BB4_20 Depth=1
	s_and_saveexec_b32 s6, s28
	s_cbranch_execz .LBB4_96
; %bb.95:                               ;   in Loop: Header=BB4_20 Depth=1
	s_delay_alu instid0(VALU_DEP_1)
	v_lshlrev_b32_e32 v0, 2, v0
	ds_add_u32 v0, v48 offset:4224
.LBB4_96:                               ;   in Loop: Header=BB4_20 Depth=1
	s_or_b32 exec_lo, exec_lo, s6
	v_mov_b32_e32 v0, v30
	v_dual_mov_b32 v2, v28 :: v_dual_mov_b32 v1, v31
	v_mov_b32_e32 v3, v26
	s_mov_b32 s28, 0
	s_waitcnt lgkmcnt(0)
	s_barrier
	buffer_gl0_inv
	s_branch .LBB4_98
	.p2align	6
.LBB4_97:                               ;   in Loop: Header=BB4_98 Depth=2
	s_or_b32 exec_lo, exec_lo, s6
	v_add_nc_u32_e32 v3, s41, v3
	v_add_co_u32 v0, s6, v0, s49
	s_delay_alu instid0(VALU_DEP_1) | instskip(NEXT) | instid1(VALU_DEP_3)
	v_add_co_ci_u32_e64 v1, s6, 0, v1, s6
	v_cmp_lt_u32_e32 vcc_lo, 0x3ff, v3
	v_add_nc_u32_e32 v2, s49, v2
	s_or_b32 s28, vcc_lo, s28
	s_delay_alu instid0(SALU_CYCLE_1)
	s_and_not1_b32 exec_lo, exec_lo, s28
	s_cbranch_execz .LBB4_100
.LBB4_98:                               ;   Parent Loop BB4_20 Depth=1
                                        ; =>  This Inner Loop Header: Depth=2
	ds_load_b32 v4, v2
	s_mov_b32 s6, exec_lo
	s_waitcnt lgkmcnt(0)
	v_cmpx_ne_u32_e32 0, v4
	s_cbranch_execz .LBB4_97
; %bb.99:                               ;   in Loop: Header=BB4_98 Depth=2
	global_atomic_add_u32 v[0:1], v4, off
	s_branch .LBB4_97
.LBB4_100:                              ;   in Loop: Header=BB4_20 Depth=1
	s_or_b32 exec_lo, exec_lo, s28
	s_mov_b32 s6, 0
	s_waitcnt_vscnt null, 0x0
	s_barrier
	buffer_gl0_inv
	s_and_saveexec_b32 s28, s2
	s_cbranch_execz .LBB4_102
; %bb.101:                              ;   in Loop: Header=BB4_20 Depth=1
	v_mov_b32_e32 v0, s46
	global_atomic_inc_u32 v0, v27, v0, s[8:9] offset:256 glc
	s_waitcnt vmcnt(0)
	v_cmp_eq_u32_e32 vcc_lo, s46, v0
	s_and_b32 s6, vcc_lo, exec_lo
.LBB4_102:                              ;   in Loop: Header=BB4_20 Depth=1
	s_or_b32 exec_lo, exec_lo, s28
	global_load_b32 v0, v27, s[24:25] offset:14
	v_cndmask_b32_e64 v1, 0, 1, s6
	s_delay_alu instid0(VALU_DEP_1) | instskip(NEXT) | instid1(VALU_DEP_1)
	v_or_b32_dpp v1, v1, v1 row_shl:1 row_mask:0xf bank_mask:0xf bound_ctrl:1
	v_or_b32_dpp v1, v1, v1 row_shl:2 row_mask:0xf bank_mask:0xf bound_ctrl:1
	s_delay_alu instid0(VALU_DEP_1) | instskip(NEXT) | instid1(VALU_DEP_1)
	v_or_b32_dpp v1, v1, v1 row_shl:4 row_mask:0xf bank_mask:0xf bound_ctrl:1
	v_or_b32_dpp v1, v1, v1 row_shl:8 row_mask:0xf bank_mask:0xf bound_ctrl:1
	s_waitcnt vmcnt(0)
	v_readfirstlane_b32 s28, v0
	s_delay_alu instid0(VALU_DEP_2) | instskip(NEXT) | instid1(VALU_DEP_2)
	v_mov_b32_dpp v0, v1 row_share:0 row_mask:0xf bank_mask:0xf bound_ctrl:1
	s_and_b32 s6, s28, 0xffff
	s_lshr_b32 s28, s28, 16
	s_mul_i32 s29, s47, s6
	s_delay_alu instid0(VALU_DEP_1) | instskip(SKIP_1) | instid1(SALU_CYCLE_1)
	v_permlanex16_b32 v1, v0, 0, 0 op_sel:[0,1]
	s_ashr_i32 s29, s29, 8
	s_mul_i32 s28, s29, s28
	s_delay_alu instid0(VALU_DEP_1) | instskip(SKIP_1) | instid1(SALU_CYCLE_1)
	v_or_b32_e32 v2, v1, v0
	s_add_i32 s28, s28, 31
	s_and_not1_b32 s28, s28, 31
	s_delay_alu instid0(SALU_CYCLE_1)
	s_cmp_eq_u32 s28, 32
	s_cbranch_scc1 .LBB4_111
; %bb.103:                              ;   in Loop: Header=BB4_20 Depth=1
	v_mad_u32_u24 v3, v43, s6, v44
	s_mov_b32 s6, exec_lo
	s_delay_alu instid0(VALU_DEP_1) | instskip(NEXT) | instid1(VALU_DEP_1)
	v_mad_u64_u32 v[0:1], null, v3, s41, v[26:27]
	v_lshrrev_b32_e32 v1, 5, v0
	s_delay_alu instid0(VALU_DEP_1) | instskip(NEXT) | instid1(VALU_DEP_1)
	v_or_b32_e32 v1, v50, v1
	v_cmpx_eq_u32_e32 0, v1
	s_cbranch_execz .LBB4_105
; %bb.104:                              ;   in Loop: Header=BB4_20 Depth=1
	ds_store_b32 v27, v2 offset:8320
.LBB4_105:                              ;   in Loop: Header=BB4_20 Depth=1
	s_or_b32 exec_lo, exec_lo, s6
	v_cmp_eq_u32_e32 vcc_lo, 0, v50
	v_cmp_lt_u32_e64 s6, 31, v0
	s_waitcnt lgkmcnt(0)
	s_barrier
	buffer_gl0_inv
	s_and_b32 s28, s6, vcc_lo
	s_delay_alu instid0(SALU_CYCLE_1)
	s_and_saveexec_b32 s6, s28
	s_cbranch_execz .LBB4_110
; %bb.106:                              ;   in Loop: Header=BB4_20 Depth=1
	s_mov_b32 s29, exec_lo
	s_mov_b32 s28, 0
.LBB4_107:                              ;   Parent Loop BB4_20 Depth=1
                                        ; =>  This Inner Loop Header: Depth=2
	s_ctz_i32_b32 s50, s29
	s_delay_alu instid0(SALU_CYCLE_1) | instskip(SKIP_1) | instid1(SALU_CYCLE_1)
	v_readlane_b32 s51, v2, s50
	s_lshl_b32 s50, 1, s50
	s_and_not1_b32 s29, s29, s50
	s_delay_alu instid0(VALU_DEP_1)
	s_or_b32 s28, s28, s51
	s_cmp_lg_u32 s29, 0
	s_cbranch_scc1 .LBB4_107
; %bb.108:                              ;   in Loop: Header=BB4_20 Depth=1
	v_mbcnt_lo_u32_b32 v0, exec_lo, 0
	s_mov_b32 s29, exec_lo
	s_delay_alu instid0(VALU_DEP_1)
	v_cmpx_eq_u32_e32 0, v0
	s_xor_b32 s29, exec_lo, s29
	s_cbranch_execz .LBB4_110
; %bb.109:                              ;   in Loop: Header=BB4_20 Depth=1
	v_mov_b32_e32 v0, s28
	ds_or_b32 v27, v0 offset:8320
.LBB4_110:                              ;   in Loop: Header=BB4_20 Depth=1
	s_or_b32 exec_lo, exec_lo, s6
	s_waitcnt lgkmcnt(0)
	s_barrier
	buffer_gl0_inv
	ds_load_b32 v2, v27 offset:8320
	s_waitcnt lgkmcnt(0)
	s_barrier
	buffer_gl0_inv
.LBB4_111:                              ;   in Loop: Header=BB4_20 Depth=1
	s_mov_b32 s6, exec_lo
	v_cmpx_ne_u32_e32 0, v2
	s_xor_b32 s6, exec_lo, s6
	s_cbranch_execz .LBB4_115
; %bb.112:                              ;   in Loop: Header=BB4_20 Depth=1
	s_and_saveexec_b32 s28, s2
	s_cbranch_execz .LBB4_114
; %bb.113:                              ;   in Loop: Header=BB4_20 Depth=1
	s_add_i32 s29, s7, 1
	v_dual_mov_b32 v0, s8 :: v_dual_mov_b32 v1, s9
	v_mov_b32_e32 v2, s29
	flat_store_b32 v[0:1], v2 offset:640
.LBB4_114:                              ;   in Loop: Header=BB4_20 Depth=1
	s_or_b32 exec_lo, exec_lo, s28
.LBB4_115:                              ;   in Loop: Header=BB4_20 Depth=1
	s_and_not1_saveexec_b32 s6, s6
	s_cbranch_execz .LBB4_121
; %bb.116:                              ;   in Loop: Header=BB4_20 Depth=1
	s_and_saveexec_b32 s28, s2
	s_cbranch_execz .LBB4_120
; %bb.117:                              ;   in Loop: Header=BB4_20 Depth=1
	v_dual_mov_b32 v0, s8 :: v_dual_mov_b32 v1, s9
	flat_load_b32 v0, v[0:1] offset:640 glc
	s_waitcnt vmcnt(0) lgkmcnt(0)
	buffer_gl1_inv
	buffer_gl0_inv
	v_cmp_ge_u32_e32 vcc_lo, s7, v0
	s_and_b32 exec_lo, exec_lo, vcc_lo
	s_cbranch_execz .LBB4_120
; %bb.118:                              ;   in Loop: Header=BB4_20 Depth=1
	s_mov_b32 s29, 0
.LBB4_119:                              ;   Parent Loop BB4_20 Depth=1
                                        ; =>  This Inner Loop Header: Depth=2
	v_dual_mov_b32 v0, s8 :: v_dual_mov_b32 v1, s9
	s_sleep 1
	flat_load_b32 v0, v[0:1] offset:640 glc
	s_waitcnt vmcnt(0) lgkmcnt(0)
	buffer_gl1_inv
	buffer_gl0_inv
	v_readfirstlane_b32 s50, v0
	s_delay_alu instid0(VALU_DEP_1) | instskip(SKIP_1) | instid1(SALU_CYCLE_1)
	s_cmp_gt_u32 s50, s7
	s_cselect_b32 s50, -1, 0
	s_and_b32 s50, exec_lo, s50
	s_delay_alu instid0(SALU_CYCLE_1) | instskip(NEXT) | instid1(SALU_CYCLE_1)
	s_or_b32 s29, s50, s29
	s_and_not1_b32 exec_lo, exec_lo, s29
	s_cbranch_execnz .LBB4_119
.LBB4_120:                              ;   in Loop: Header=BB4_20 Depth=1
	s_or_b32 exec_lo, exec_lo, s28
	s_waitcnt lgkmcnt(0)
	s_waitcnt_vscnt null, 0x0
	s_barrier
	buffer_gl0_inv
.LBB4_121:                              ;   in Loop: Header=BB4_20 Depth=1
	s_or_b32 exec_lo, exec_lo, s6
	v_mov_b32_e32 v0, v30
	v_dual_mov_b32 v2, v28 :: v_dual_mov_b32 v1, v31
	v_mov_b32_e32 v3, v26
	s_mov_b32 s28, 0
.LBB4_122:                              ;   Parent Loop BB4_20 Depth=1
                                        ; =>  This Inner Loop Header: Depth=2
	global_load_b32 v4, v[0:1], off
	v_add_nc_u32_e32 v3, s41, v3
	v_add_co_u32 v0, vcc_lo, v0, s49
	v_add_co_ci_u32_e32 v1, vcc_lo, 0, v1, vcc_lo
	s_delay_alu instid0(VALU_DEP_3) | instskip(NEXT) | instid1(VALU_DEP_1)
	v_cmp_lt_u32_e64 s6, 0x3ff, v3
	s_or_b32 s28, s6, s28
	s_waitcnt vmcnt(0)
	ds_store_b32 v2, v4
	v_add_nc_u32_e32 v2, s49, v2
	s_and_not1_b32 exec_lo, exec_lo, s28
	s_cbranch_execnz .LBB4_122
; %bb.123:                              ;   in Loop: Header=BB4_20 Depth=1
	s_or_b32 exec_lo, exec_lo, s28
	s_waitcnt lgkmcnt(0)
	s_waitcnt_vscnt null, 0x0
	s_barrier
	buffer_gl0_inv
	flat_load_b32 v0, v[28:29] glc dlc
	s_waitcnt vmcnt(0) lgkmcnt(0)
	ds_store_b32 v25, v0
	s_waitcnt lgkmcnt(0)
	s_barrier
	buffer_gl0_inv
	ds_load_b32 v0, v25
	s_waitcnt lgkmcnt(0)
	s_barrier
	buffer_gl0_inv
	ds_store_b32 v45, v0
	s_waitcnt lgkmcnt(0)
	s_barrier
	buffer_gl0_inv
	s_and_saveexec_b32 s6, s4
	s_cbranch_execz .LBB4_125
; %bb.124:                              ;   in Loop: Header=BB4_20 Depth=1
	ds_load_2addr_b32 v[1:2], v49 offset1:1
	ds_load_2addr_b32 v[3:4], v49 offset0:2 offset1:3
	ds_load_2addr_b32 v[5:6], v49 offset0:4 offset1:5
	;; [unrolled: 1-line block ×3, first 2 shown]
	v_and_b32_e32 v65, 15, v50
	ds_load_2addr_b32 v[9:10], v49 offset0:8 offset1:9
	ds_load_2addr_b32 v[33:34], v49 offset0:10 offset1:11
	;; [unrolled: 1-line block ×4, first 2 shown]
	v_cmp_ne_u32_e32 vcc_lo, 0, v65
	ds_load_2addr_b32 v[39:40], v49 offset0:16 offset1:17
	ds_load_2addr_b32 v[51:52], v49 offset0:18 offset1:19
	;; [unrolled: 1-line block ×8, first 2 shown]
	v_bfe_i32 v67, v50, 4, 1
	s_waitcnt lgkmcnt(15)
	v_add_nc_u32_e32 v11, v2, v1
	s_waitcnt lgkmcnt(14)
	s_delay_alu instid0(VALU_DEP_1) | instskip(SKIP_1) | instid1(VALU_DEP_1)
	v_add3_u32 v11, v11, v3, v4
	s_waitcnt lgkmcnt(13)
	v_add3_u32 v11, v11, v5, v6
	s_waitcnt lgkmcnt(12)
	s_delay_alu instid0(VALU_DEP_1) | instskip(SKIP_1) | instid1(VALU_DEP_1)
	v_add3_u32 v11, v11, v7, v8
	s_waitcnt lgkmcnt(11)
	v_add3_u32 v11, v11, v9, v10
	;; [unrolled: 5-line block ×7, first 2 shown]
	s_waitcnt lgkmcnt(0)
	s_delay_alu instid0(VALU_DEP_1) | instskip(NEXT) | instid1(VALU_DEP_1)
	v_add3_u32 v11, v11, v63, v64
	v_mov_b32_dpp v66, v11 row_shr:1 row_mask:0xf bank_mask:0xf
	s_delay_alu instid0(VALU_DEP_1) | instskip(SKIP_1) | instid1(VALU_DEP_2)
	v_cndmask_b32_e32 v66, 0, v66, vcc_lo
	v_cmp_lt_u32_e32 vcc_lo, 1, v65
	v_add_nc_u32_e32 v11, v66, v11
	s_delay_alu instid0(VALU_DEP_1) | instskip(NEXT) | instid1(VALU_DEP_1)
	v_mov_b32_dpp v66, v11 row_shr:2 row_mask:0xf bank_mask:0xf
	v_cndmask_b32_e32 v66, 0, v66, vcc_lo
	v_cmp_lt_u32_e32 vcc_lo, 3, v65
	s_delay_alu instid0(VALU_DEP_2) | instskip(NEXT) | instid1(VALU_DEP_1)
	v_add_nc_u32_e32 v11, v11, v66
	v_mov_b32_dpp v66, v11 row_shr:4 row_mask:0xf bank_mask:0xf
	s_delay_alu instid0(VALU_DEP_1) | instskip(SKIP_1) | instid1(VALU_DEP_2)
	v_cndmask_b32_e32 v66, 0, v66, vcc_lo
	v_cmp_lt_u32_e32 vcc_lo, 7, v65
	v_add_nc_u32_e32 v11, v11, v66
	s_delay_alu instid0(VALU_DEP_1) | instskip(NEXT) | instid1(VALU_DEP_1)
	v_mov_b32_dpp v66, v11 row_shr:8 row_mask:0xf bank_mask:0xf
	v_cndmask_b32_e32 v65, 0, v66, vcc_lo
	v_add_nc_u32_e32 v66, -1, v50
	s_delay_alu instid0(VALU_DEP_2) | instskip(NEXT) | instid1(VALU_DEP_2)
	v_add_nc_u32_e32 v11, v11, v65
	v_cmp_gt_i32_e32 vcc_lo, 0, v66
	ds_swizzle_b32 v65, v11 offset:swizzle(BROADCAST,32,15)
	s_waitcnt lgkmcnt(0)
	v_dual_cndmask_b32 v66, v66, v50 :: v_dual_and_b32 v65, v67, v65
	s_delay_alu instid0(VALU_DEP_1) | instskip(NEXT) | instid1(VALU_DEP_2)
	v_lshlrev_b32_e32 v66, 2, v66
	v_add_nc_u32_e32 v11, v11, v65
	ds_bpermute_b32 v11, v66, v11
	s_waitcnt lgkmcnt(0)
	v_add_nc_u32_e32 v1, v11, v1
	s_delay_alu instid0(VALU_DEP_1) | instskip(NEXT) | instid1(VALU_DEP_1)
	v_cndmask_b32_e64 v0, v1, v0, s2
	v_add_nc_u32_e32 v1, v0, v2
	s_delay_alu instid0(VALU_DEP_1) | instskip(NEXT) | instid1(VALU_DEP_1)
	v_add_nc_u32_e32 v2, v1, v3
	v_add_nc_u32_e32 v3, v2, v4
	s_delay_alu instid0(VALU_DEP_1) | instskip(NEXT) | instid1(VALU_DEP_1)
	v_add_nc_u32_e32 v4, v3, v5
	;; [unrolled: 3-line block ×3, first 2 shown]
	v_add_nc_u32_e32 v7, v6, v8
	ds_store_2addr_b32 v49, v0, v1 offset1:1
	ds_store_2addr_b32 v49, v2, v3 offset0:2 offset1:3
	ds_store_2addr_b32 v49, v4, v5 offset0:4 offset1:5
	;; [unrolled: 1-line block ×3, first 2 shown]
	v_add_nc_u32_e32 v8, v7, v9
	s_delay_alu instid0(VALU_DEP_1) | instskip(NEXT) | instid1(VALU_DEP_1)
	v_add_nc_u32_e32 v9, v8, v10
	v_add_nc_u32_e32 v10, v9, v33
	s_delay_alu instid0(VALU_DEP_1) | instskip(NEXT) | instid1(VALU_DEP_1)
	v_add_nc_u32_e32 v11, v10, v34
	;; [unrolled: 3-line block ×3, first 2 shown]
	v_add_nc_u32_e32 v35, v34, v37
	s_delay_alu instid0(VALU_DEP_1)
	v_add_nc_u32_e32 v36, v35, v38
	ds_store_2addr_b32 v49, v8, v9 offset0:8 offset1:9
	ds_store_2addr_b32 v49, v10, v11 offset0:10 offset1:11
	;; [unrolled: 1-line block ×4, first 2 shown]
	v_add_nc_u32_e32 v37, v36, v39
	s_delay_alu instid0(VALU_DEP_1) | instskip(NEXT) | instid1(VALU_DEP_1)
	v_add_nc_u32_e32 v38, v37, v40
	v_add_nc_u32_e32 v39, v38, v51
	s_delay_alu instid0(VALU_DEP_1) | instskip(NEXT) | instid1(VALU_DEP_1)
	v_add_nc_u32_e32 v40, v39, v52
	v_add_nc_u32_e32 v51, v40, v53
	s_delay_alu instid0(VALU_DEP_1) | instskip(NEXT) | instid1(VALU_DEP_1)
	v_add_nc_u32_e32 v52, v51, v54
	v_add_nc_u32_e32 v53, v52, v55
	s_delay_alu instid0(VALU_DEP_1) | instskip(NEXT) | instid1(VALU_DEP_1)
	v_add_nc_u32_e32 v54, v53, v56
	v_add_nc_u32_e32 v55, v54, v57
	s_delay_alu instid0(VALU_DEP_1) | instskip(NEXT) | instid1(VALU_DEP_1)
	v_add_nc_u32_e32 v56, v55, v58
	v_add_nc_u32_e32 v57, v56, v59
	s_delay_alu instid0(VALU_DEP_1) | instskip(NEXT) | instid1(VALU_DEP_1)
	v_add_nc_u32_e32 v58, v57, v60
	v_add_nc_u32_e32 v59, v58, v61
	s_delay_alu instid0(VALU_DEP_1) | instskip(NEXT) | instid1(VALU_DEP_1)
	v_add_nc_u32_e32 v60, v59, v62
	v_add_nc_u32_e32 v0, v60, v63
	s_delay_alu instid0(VALU_DEP_1)
	v_add_nc_u32_e32 v1, v0, v64
	ds_store_2addr_b32 v49, v37, v38 offset0:16 offset1:17
	ds_store_2addr_b32 v49, v39, v40 offset0:18 offset1:19
	;; [unrolled: 1-line block ×8, first 2 shown]
.LBB4_125:                              ;   in Loop: Header=BB4_20 Depth=1
	s_or_b32 exec_lo, exec_lo, s6
	s_waitcnt lgkmcnt(0)
	s_barrier
	buffer_gl0_inv
	ds_load_b32 v0, v45
	s_waitcnt lgkmcnt(0)
	s_barrier
	buffer_gl0_inv
	v_mov_b32_e32 v3, v46
	v_mov_b32_e32 v4, v26
	s_mov_b32 s28, 0
	ds_store_b32 v25, v0
	s_waitcnt lgkmcnt(0)
	s_barrier
	buffer_gl0_inv
	ds_load_b32 v0, v25
	s_waitcnt lgkmcnt(0)
	flat_store_b32 v[28:29], v0 dlc
	s_waitcnt_vscnt null, 0x0
	s_waitcnt lgkmcnt(0)
	s_barrier
	buffer_gl0_inv
	ds_load_b32 v0, v27 offset:8576
	s_set_inst_prefetch_distance 0x1
	s_branch .LBB4_127
	.p2align	6
.LBB4_126:                              ;   in Loop: Header=BB4_127 Depth=2
	s_or_b32 exec_lo, exec_lo, s6
	v_add_nc_u32_e32 v4, s41, v4
	v_add_nc_u32_e32 v3, s49, v3
	s_delay_alu instid0(VALU_DEP_2) | instskip(SKIP_1) | instid1(SALU_CYCLE_1)
	v_cmp_lt_u32_e32 vcc_lo, 0x3ff, v4
	s_or_b32 s28, vcc_lo, s28
	s_and_not1_b32 exec_lo, exec_lo, s28
	s_cbranch_execz .LBB4_131
.LBB4_127:                              ;   Parent Loop BB4_20 Depth=1
                                        ; =>  This Inner Loop Header: Depth=2
	v_mov_b32_e32 v2, 0
	s_mov_b32 s6, exec_lo
	v_cmpx_ne_u32_e32 0, v4
	s_cbranch_execz .LBB4_129
; %bb.128:                              ;   in Loop: Header=BB4_127 Depth=2
	ds_load_b32 v2, v3
.LBB4_129:                              ;   in Loop: Header=BB4_127 Depth=2
	s_or_b32 exec_lo, exec_lo, s6
	ds_load_b32 v5, v3 offset:4
	s_waitcnt lgkmcnt(1)
	v_cmp_gt_i32_e32 vcc_lo, v32, v2
	s_waitcnt lgkmcnt(0)
	v_cmp_ge_i32_e64 s6, v5, v32
	s_delay_alu instid0(VALU_DEP_1) | instskip(NEXT) | instid1(SALU_CYCLE_1)
	s_and_b32 s29, vcc_lo, s6
	s_and_saveexec_b32 s6, s29
	s_cbranch_execz .LBB4_126
; %bb.130:                              ;   in Loop: Header=BB4_127 Depth=2
	v_sub_nc_u32_e32 v1, v32, v2
	v_sub_nc_u32_e32 v2, v5, v2
	v_lshl_or_b32 v0, v4, s27, v0
	ds_store_b96 v27, v[0:2] offset:8576
	s_branch .LBB4_126
.LBB4_131:                              ;   in Loop: Header=BB4_20 Depth=1
	s_set_inst_prefetch_distance 0x2
	s_or_b32 exec_lo, exec_lo, s28
	s_cmp_eq_u32 s7, 3
	s_waitcnt lgkmcnt(0)
	s_barrier
	buffer_gl0_inv
	s_cbranch_scc0 .LBB4_616
; %bb.132:                              ;   in Loop: Header=BB4_20 Depth=1
	ds_load_b64 v[32:33], v27 offset:8576
	s_and_saveexec_b32 s6, s5
	s_cbranch_execz .LBB4_134
; %bb.133:                              ;   in Loop: Header=BB4_20 Depth=1
	s_waitcnt lgkmcnt(0)
	s_clause 0x1
	global_store_b32 v27, v33, s[8:9]
	global_store_b32 v27, v32, s[8:9] offset:12
.LBB4_134:                              ;   in Loop: Header=BB4_20 Depth=1
	s_or_b32 exec_lo, exec_lo, s6
	v_mov_b32_e32 v34, v24
	s_and_saveexec_b32 s6, s3
	s_cbranch_execz .LBB4_490
; %bb.135:                              ;   in Loop: Header=BB4_20 Depth=1
	v_dual_mov_b32 v37, v23 :: v_dual_mov_b32 v36, v22
	v_dual_mov_b32 v35, v21 :: v_dual_mov_b32 v34, v20
	s_mov_b32 s27, 0
	s_branch .LBB4_137
.LBB4_136:                              ;   in Loop: Header=BB4_137 Depth=2
	s_or_b32 exec_lo, exec_lo, s28
	v_add_nc_u32_e32 v34, s33, v34
	s_delay_alu instid0(VALU_DEP_1) | instskip(SKIP_1) | instid1(VALU_DEP_2)
	v_ashrrev_i32_e32 v35, 31, v34
	v_add_co_u32 v36, vcc_lo, s39, v34
	v_add_co_ci_u32_e32 v37, vcc_lo, s38, v35, vcc_lo
	s_delay_alu instid0(VALU_DEP_1) | instskip(SKIP_1) | instid1(SALU_CYCLE_1)
	v_cmp_le_u64_e32 vcc_lo, s[18:19], v[36:37]
	s_or_b32 s27, vcc_lo, s27
	s_and_not1_b32 exec_lo, exec_lo, s27
	s_cbranch_execz .LBB4_489
.LBB4_137:                              ;   Parent Loop BB4_20 Depth=1
                                        ; =>  This Inner Loop Header: Depth=2
	s_delay_alu instid0(VALU_DEP_1) | instskip(SKIP_2) | instid1(VALU_DEP_1)
	v_lshlrev_b64 v[0:1], 4, v[34:35]
	s_mov_b32 s29, 0
	s_mov_b32 s28, exec_lo
                                        ; implicit-def: $vgpr38
	v_add_co_u32 v4, vcc_lo, s30, v0
	s_delay_alu instid0(VALU_DEP_2) | instskip(NEXT) | instid1(VALU_DEP_2)
	v_add_co_ci_u32_e32 v5, vcc_lo, s31, v1, vcc_lo
	v_add_co_u32 v8, vcc_lo, v4, s22
	global_load_b128 v[0:3], v[4:5], off
	v_add_co_ci_u32_e32 v9, vcc_lo, s23, v5, vcc_lo
	global_load_b128 v[4:7], v[8:9], off
	s_waitcnt vmcnt(1)
	v_cmp_gt_i32_e32 vcc_lo, 0, v0
	v_cndmask_b32_e64 v10, 0x7fffffff, 0, vcc_lo
	s_delay_alu instid0(VALU_DEP_1) | instskip(SKIP_2) | instid1(VALU_DEP_2)
	v_xor_b32_e32 v11, v10, v0
	v_lshl_add_u32 v10, v34, 2, s20
                                        ; implicit-def: $vgpr0
	s_waitcnt lgkmcnt(0)
	v_cmpx_ge_u32_e64 v11, v32
	s_xor_b32 s28, exec_lo, s28
	s_cbranch_execz .LBB4_144
; %bb.138:                              ;   in Loop: Header=BB4_137 Depth=2
	s_mov_b32 s50, 0
	s_mov_b32 s29, exec_lo
                                        ; implicit-def: $vgpr0
                                        ; implicit-def: $vgpr38
	v_cmpx_eq_u32_e64 v11, v32
	s_cbranch_execz .LBB4_156
; %bb.139:                              ;   in Loop: Header=BB4_137 Depth=2
	s_mov_b32 s51, exec_lo
	s_mov_b32 s50, exec_lo
	v_mbcnt_lo_u32_b32 v0, s51, 0
                                        ; implicit-def: $vgpr11
	s_delay_alu instid0(VALU_DEP_1)
	v_cmpx_eq_u32_e32 0, v0
	s_cbranch_execz .LBB4_141
; %bb.140:                              ;   in Loop: Header=BB4_137 Depth=2
	s_bcnt1_i32_b32 s51, s51
	s_delay_alu instid0(SALU_CYCLE_1)
	v_mov_b32_e32 v11, s51
	global_atomic_add_u32 v11, v27, v11, s[8:9] offset:512 glc
.LBB4_141:                              ;   in Loop: Header=BB4_137 Depth=2
	s_or_b32 exec_lo, exec_lo, s50
	s_waitcnt vmcnt(0)
	v_readfirstlane_b32 s50, v11
	s_mov_b32 s51, 0
                                        ; implicit-def: $vgpr38
	s_delay_alu instid0(VALU_DEP_1) | instskip(SKIP_1) | instid1(VALU_DEP_1)
	v_add_nc_u32_e32 v11, s50, v0
	s_mov_b32 s50, exec_lo
                                        ; implicit-def: $vgpr0
	v_cmpx_lt_i32_e64 v11, v33
	s_xor_b32 s50, exec_lo, s50
	s_cbranch_execz .LBB4_155
; %bb.142:                              ;   in Loop: Header=BB4_137 Depth=2
	v_xad_u32 v38, v11, -1, s40
	s_and_not1_b32 vcc_lo, exec_lo, s11
	s_cbranch_vccnz .LBB4_152
; %bb.143:                              ;   in Loop: Header=BB4_137 Depth=2
	v_ashrrev_i32_e32 v11, 31, v10
	s_delay_alu instid0(VALU_DEP_1) | instskip(NEXT) | instid1(VALU_DEP_1)
	v_lshlrev_b64 v[39:40], 2, v[10:11]
	v_add_co_u32 v39, vcc_lo, s16, v39
	s_delay_alu instid0(VALU_DEP_2)
	v_add_co_ci_u32_e32 v40, vcc_lo, s17, v40, vcc_lo
	global_load_b32 v0, v[39:40], off
	s_and_not1_b32 vcc_lo, exec_lo, s51
	s_cbranch_vccz .LBB4_153
	s_branch .LBB4_154
.LBB4_144:                              ;   in Loop: Header=BB4_137 Depth=2
	s_and_not1_saveexec_b32 s28, s28
	s_cbranch_execz .LBB4_157
.LBB4_145:                              ;   in Loop: Header=BB4_137 Depth=2
	s_mov_b32 s51, exec_lo
	s_mov_b32 s50, exec_lo
	s_waitcnt vmcnt(0)
	v_mbcnt_lo_u32_b32 v0, s51, 0
                                        ; implicit-def: $vgpr11
	s_delay_alu instid0(VALU_DEP_1)
	v_cmpx_eq_u32_e32 0, v0
	s_cbranch_execz .LBB4_147
; %bb.146:                              ;   in Loop: Header=BB4_137 Depth=2
	s_bcnt1_i32_b32 s51, s51
	s_delay_alu instid0(SALU_CYCLE_1)
	v_mov_b32_e32 v11, s51
	global_atomic_add_u32 v11, v27, v11, s[8:9] offset:384 glc
.LBB4_147:                              ;   in Loop: Header=BB4_137 Depth=2
	s_or_b32 exec_lo, exec_lo, s50
	s_waitcnt vmcnt(0)
	v_readfirstlane_b32 s50, v11
	s_and_not1_b32 vcc_lo, exec_lo, s11
	s_delay_alu instid0(VALU_DEP_1)
	v_add_nc_u32_e32 v38, s50, v0
	s_cbranch_vccnz .LBB4_149
; %bb.148:                              ;   in Loop: Header=BB4_137 Depth=2
	v_ashrrev_i32_e32 v11, 31, v10
	s_delay_alu instid0(VALU_DEP_1) | instskip(NEXT) | instid1(VALU_DEP_1)
	v_lshlrev_b64 v[39:40], 2, v[10:11]
	v_add_co_u32 v39, vcc_lo, s16, v39
	s_delay_alu instid0(VALU_DEP_2)
	v_add_co_ci_u32_e32 v40, vcc_lo, s17, v40, vcc_lo
	global_load_b32 v0, v[39:40], off
	s_cbranch_execz .LBB4_150
	s_branch .LBB4_151
.LBB4_149:                              ;   in Loop: Header=BB4_137 Depth=2
                                        ; implicit-def: $vgpr0
.LBB4_150:                              ;   in Loop: Header=BB4_137 Depth=2
	s_waitcnt vmcnt(0)
	v_add_nc_u32_e32 v0, s12, v10
.LBB4_151:                              ;   in Loop: Header=BB4_137 Depth=2
	s_or_b32 s29, s29, exec_lo
	s_or_b32 exec_lo, exec_lo, s28
	s_and_saveexec_b32 s28, s29
	s_cbranch_execnz .LBB4_158
	s_branch .LBB4_159
.LBB4_152:                              ;   in Loop: Header=BB4_137 Depth=2
                                        ; implicit-def: $vgpr0
.LBB4_153:                              ;   in Loop: Header=BB4_137 Depth=2
	s_waitcnt vmcnt(0)
	v_add_nc_u32_e32 v0, s12, v10
.LBB4_154:                              ;   in Loop: Header=BB4_137 Depth=2
	s_mov_b32 s51, exec_lo
.LBB4_155:                              ;   in Loop: Header=BB4_137 Depth=2
	s_or_b32 exec_lo, exec_lo, s50
	s_delay_alu instid0(SALU_CYCLE_1)
	s_and_b32 s50, s51, exec_lo
.LBB4_156:                              ;   in Loop: Header=BB4_137 Depth=2
	s_or_b32 exec_lo, exec_lo, s29
	s_delay_alu instid0(SALU_CYCLE_1)
	s_and_b32 s29, s50, exec_lo
	s_and_not1_saveexec_b32 s28, s28
	s_cbranch_execnz .LBB4_145
.LBB4_157:                              ;   in Loop: Header=BB4_137 Depth=2
	s_or_b32 exec_lo, exec_lo, s28
	s_and_saveexec_b32 s28, s29
	s_cbranch_execz .LBB4_159
.LBB4_158:                              ;   in Loop: Header=BB4_137 Depth=2
	v_ashrrev_i32_e32 v39, 31, v38
	s_delay_alu instid0(VALU_DEP_1) | instskip(NEXT) | instid1(VALU_DEP_1)
	v_lshlrev_b64 v[38:39], 2, v[38:39]
	v_add_co_u32 v38, vcc_lo, s13, v38
	s_delay_alu instid0(VALU_DEP_2)
	v_add_co_ci_u32_e32 v39, vcc_lo, s15, v39, vcc_lo
	s_waitcnt vmcnt(0)
	global_store_b32 v[38:39], v0, off
.LBB4_159:                              ;   in Loop: Header=BB4_137 Depth=2
	s_or_b32 exec_lo, exec_lo, s28
	v_cmp_gt_i32_e32 vcc_lo, 0, v1
	s_mov_b32 s29, 0
	s_mov_b32 s28, exec_lo
                                        ; implicit-def: $vgpr11
	s_waitcnt vmcnt(0)
	v_cndmask_b32_e64 v0, 0x7fffffff, 0, vcc_lo
	s_delay_alu instid0(VALU_DEP_1) | instskip(SKIP_1) | instid1(VALU_DEP_2)
	v_xor_b32_e32 v35, v0, v1
	v_add_nc_u32_e32 v1, 1, v10
                                        ; implicit-def: $vgpr0
	v_cmpx_ge_u32_e64 v35, v32
	s_xor_b32 s28, exec_lo, s28
	s_cbranch_execz .LBB4_166
; %bb.160:                              ;   in Loop: Header=BB4_137 Depth=2
	s_mov_b32 s50, 0
	s_mov_b32 s29, exec_lo
                                        ; implicit-def: $vgpr11
                                        ; implicit-def: $vgpr0
	v_cmpx_eq_u32_e64 v35, v32
	s_cbranch_execz .LBB4_178
; %bb.161:                              ;   in Loop: Header=BB4_137 Depth=2
	s_mov_b32 s51, exec_lo
	s_mov_b32 s50, exec_lo
	v_mbcnt_lo_u32_b32 v0, s51, 0
                                        ; implicit-def: $vgpr11
	s_delay_alu instid0(VALU_DEP_1)
	v_cmpx_eq_u32_e32 0, v0
	s_cbranch_execz .LBB4_163
; %bb.162:                              ;   in Loop: Header=BB4_137 Depth=2
	s_bcnt1_i32_b32 s51, s51
	s_delay_alu instid0(SALU_CYCLE_1)
	v_mov_b32_e32 v11, s51
	global_atomic_add_u32 v11, v27, v11, s[8:9] offset:512 glc
.LBB4_163:                              ;   in Loop: Header=BB4_137 Depth=2
	s_or_b32 exec_lo, exec_lo, s50
	s_waitcnt vmcnt(0)
	v_readfirstlane_b32 s50, v11
	s_mov_b32 s51, 0
                                        ; implicit-def: $vgpr11
	s_delay_alu instid0(VALU_DEP_1) | instskip(SKIP_1) | instid1(VALU_DEP_1)
	v_add_nc_u32_e32 v35, s50, v0
	s_mov_b32 s50, exec_lo
                                        ; implicit-def: $vgpr0
	v_cmpx_lt_i32_e64 v35, v33
	s_cbranch_execz .LBB4_177
; %bb.164:                              ;   in Loop: Header=BB4_137 Depth=2
	v_xad_u32 v0, v35, -1, s40
	s_and_not1_b32 vcc_lo, exec_lo, s11
	s_cbranch_vccnz .LBB4_174
; %bb.165:                              ;   in Loop: Header=BB4_137 Depth=2
	v_ashrrev_i32_e32 v11, 31, v10
	s_delay_alu instid0(VALU_DEP_1) | instskip(NEXT) | instid1(VALU_DEP_1)
	v_lshlrev_b64 v[38:39], 2, v[10:11]
	v_add_co_u32 v38, vcc_lo, s14, v38
	s_delay_alu instid0(VALU_DEP_2)
	v_add_co_ci_u32_e32 v39, vcc_lo, s21, v39, vcc_lo
	global_load_b32 v11, v[38:39], off
	s_and_not1_b32 vcc_lo, exec_lo, s51
	s_cbranch_vccz .LBB4_175
	s_branch .LBB4_176
.LBB4_166:                              ;   in Loop: Header=BB4_137 Depth=2
	s_and_not1_saveexec_b32 s28, s28
	s_cbranch_execz .LBB4_179
.LBB4_167:                              ;   in Loop: Header=BB4_137 Depth=2
	s_mov_b32 s51, exec_lo
	s_mov_b32 s50, exec_lo
	v_mbcnt_lo_u32_b32 v0, s51, 0
                                        ; implicit-def: $vgpr11
	s_delay_alu instid0(VALU_DEP_1)
	v_cmpx_eq_u32_e32 0, v0
	s_cbranch_execz .LBB4_169
; %bb.168:                              ;   in Loop: Header=BB4_137 Depth=2
	s_bcnt1_i32_b32 s51, s51
	s_waitcnt vmcnt(0)
	v_mov_b32_e32 v11, s51
	global_atomic_add_u32 v11, v27, v11, s[8:9] offset:384 glc
.LBB4_169:                              ;   in Loop: Header=BB4_137 Depth=2
	s_or_b32 exec_lo, exec_lo, s50
	s_waitcnt vmcnt(0)
	v_readfirstlane_b32 s50, v11
	s_and_not1_b32 vcc_lo, exec_lo, s11
	s_delay_alu instid0(VALU_DEP_1)
	v_add_nc_u32_e32 v0, s50, v0
	s_cbranch_vccnz .LBB4_171
; %bb.170:                              ;   in Loop: Header=BB4_137 Depth=2
	v_ashrrev_i32_e32 v11, 31, v10
	s_delay_alu instid0(VALU_DEP_1) | instskip(NEXT) | instid1(VALU_DEP_1)
	v_lshlrev_b64 v[38:39], 2, v[10:11]
	v_add_co_u32 v38, vcc_lo, s14, v38
	s_delay_alu instid0(VALU_DEP_2)
	v_add_co_ci_u32_e32 v39, vcc_lo, s21, v39, vcc_lo
	global_load_b32 v11, v[38:39], off
	s_cbranch_execz .LBB4_172
	s_branch .LBB4_173
.LBB4_171:                              ;   in Loop: Header=BB4_137 Depth=2
                                        ; implicit-def: $vgpr11
.LBB4_172:                              ;   in Loop: Header=BB4_137 Depth=2
	s_waitcnt vmcnt(0)
	v_add_nc_u32_e32 v11, s12, v1
.LBB4_173:                              ;   in Loop: Header=BB4_137 Depth=2
	s_or_b32 s29, s29, exec_lo
	s_or_b32 exec_lo, exec_lo, s28
	s_and_saveexec_b32 s28, s29
	s_cbranch_execnz .LBB4_180
	s_branch .LBB4_181
.LBB4_174:                              ;   in Loop: Header=BB4_137 Depth=2
                                        ; implicit-def: $vgpr11
.LBB4_175:                              ;   in Loop: Header=BB4_137 Depth=2
	s_waitcnt vmcnt(0)
	v_add_nc_u32_e32 v11, s12, v1
.LBB4_176:                              ;   in Loop: Header=BB4_137 Depth=2
	s_mov_b32 s51, exec_lo
.LBB4_177:                              ;   in Loop: Header=BB4_137 Depth=2
	s_or_b32 exec_lo, exec_lo, s50
	s_delay_alu instid0(SALU_CYCLE_1)
	s_and_b32 s50, s51, exec_lo
.LBB4_178:                              ;   in Loop: Header=BB4_137 Depth=2
	s_or_b32 exec_lo, exec_lo, s29
	s_delay_alu instid0(SALU_CYCLE_1)
	s_and_b32 s29, s50, exec_lo
                                        ; implicit-def: $vgpr1
	s_and_not1_saveexec_b32 s28, s28
	s_cbranch_execnz .LBB4_167
.LBB4_179:                              ;   in Loop: Header=BB4_137 Depth=2
	s_or_b32 exec_lo, exec_lo, s28
	s_and_saveexec_b32 s28, s29
	s_cbranch_execz .LBB4_181
.LBB4_180:                              ;   in Loop: Header=BB4_137 Depth=2
	v_ashrrev_i32_e32 v1, 31, v0
	s_delay_alu instid0(VALU_DEP_1) | instskip(NEXT) | instid1(VALU_DEP_1)
	v_lshlrev_b64 v[0:1], 2, v[0:1]
	v_add_co_u32 v0, vcc_lo, s13, v0
	s_delay_alu instid0(VALU_DEP_2)
	v_add_co_ci_u32_e32 v1, vcc_lo, s15, v1, vcc_lo
	s_waitcnt vmcnt(0)
	global_store_b32 v[0:1], v11, off
.LBB4_181:                              ;   in Loop: Header=BB4_137 Depth=2
	s_or_b32 exec_lo, exec_lo, s28
	v_cmp_gt_i32_e32 vcc_lo, 0, v2
	v_add_nc_u32_e32 v1, 2, v10
	s_mov_b32 s29, 0
	s_mov_b32 s28, exec_lo
	v_cndmask_b32_e64 v0, 0x7fffffff, 0, vcc_lo
	s_waitcnt vmcnt(0)
	s_delay_alu instid0(VALU_DEP_1) | instskip(NEXT) | instid1(VALU_DEP_1)
	v_xor_b32_e32 v11, v0, v2
                                        ; implicit-def: $vgpr2
                                        ; implicit-def: $vgpr0
	v_cmpx_ge_u32_e64 v11, v32
	s_xor_b32 s28, exec_lo, s28
	s_cbranch_execz .LBB4_188
; %bb.182:                              ;   in Loop: Header=BB4_137 Depth=2
	s_mov_b32 s50, 0
	s_mov_b32 s29, exec_lo
                                        ; implicit-def: $vgpr2
                                        ; implicit-def: $vgpr0
	v_cmpx_eq_u32_e64 v11, v32
	s_cbranch_execz .LBB4_200
; %bb.183:                              ;   in Loop: Header=BB4_137 Depth=2
	s_mov_b32 s51, exec_lo
	s_mov_b32 s50, exec_lo
	v_mbcnt_lo_u32_b32 v0, s51, 0
                                        ; implicit-def: $vgpr2
	s_delay_alu instid0(VALU_DEP_1)
	v_cmpx_eq_u32_e32 0, v0
	s_cbranch_execz .LBB4_185
; %bb.184:                              ;   in Loop: Header=BB4_137 Depth=2
	s_bcnt1_i32_b32 s51, s51
	s_delay_alu instid0(SALU_CYCLE_1)
	v_mov_b32_e32 v2, s51
	global_atomic_add_u32 v2, v27, v2, s[8:9] offset:512 glc
.LBB4_185:                              ;   in Loop: Header=BB4_137 Depth=2
	s_or_b32 exec_lo, exec_lo, s50
	s_waitcnt vmcnt(0)
	v_readfirstlane_b32 s50, v2
	s_mov_b32 s51, 0
                                        ; implicit-def: $vgpr2
	s_delay_alu instid0(VALU_DEP_1) | instskip(SKIP_1) | instid1(VALU_DEP_1)
	v_add_nc_u32_e32 v11, s50, v0
	s_mov_b32 s50, exec_lo
                                        ; implicit-def: $vgpr0
	v_cmpx_lt_i32_e64 v11, v33
	s_cbranch_execz .LBB4_199
; %bb.186:                              ;   in Loop: Header=BB4_137 Depth=2
	v_xad_u32 v0, v11, -1, s40
	s_and_not1_b32 vcc_lo, exec_lo, s11
	s_cbranch_vccnz .LBB4_196
; %bb.187:                              ;   in Loop: Header=BB4_137 Depth=2
	v_ashrrev_i32_e32 v11, 31, v10
	s_delay_alu instid0(VALU_DEP_1) | instskip(NEXT) | instid1(VALU_DEP_1)
	v_lshlrev_b64 v[38:39], 2, v[10:11]
	v_add_co_u32 v38, vcc_lo, s34, v38
	s_delay_alu instid0(VALU_DEP_2)
	v_add_co_ci_u32_e32 v39, vcc_lo, s35, v39, vcc_lo
	global_load_b32 v2, v[38:39], off
	s_and_not1_b32 vcc_lo, exec_lo, s51
	s_cbranch_vccz .LBB4_197
	s_branch .LBB4_198
.LBB4_188:                              ;   in Loop: Header=BB4_137 Depth=2
	s_and_not1_saveexec_b32 s28, s28
	s_cbranch_execz .LBB4_201
.LBB4_189:                              ;   in Loop: Header=BB4_137 Depth=2
	s_mov_b32 s51, exec_lo
	s_mov_b32 s50, exec_lo
	v_mbcnt_lo_u32_b32 v0, s51, 0
                                        ; implicit-def: $vgpr2
	s_delay_alu instid0(VALU_DEP_1)
	v_cmpx_eq_u32_e32 0, v0
	s_cbranch_execz .LBB4_191
; %bb.190:                              ;   in Loop: Header=BB4_137 Depth=2
	s_bcnt1_i32_b32 s51, s51
	s_waitcnt vmcnt(0)
	v_mov_b32_e32 v2, s51
	global_atomic_add_u32 v2, v27, v2, s[8:9] offset:384 glc
.LBB4_191:                              ;   in Loop: Header=BB4_137 Depth=2
	s_or_b32 exec_lo, exec_lo, s50
	s_waitcnt vmcnt(0)
	v_readfirstlane_b32 s50, v2
	s_and_not1_b32 vcc_lo, exec_lo, s11
	s_delay_alu instid0(VALU_DEP_1)
	v_add_nc_u32_e32 v0, s50, v0
	s_cbranch_vccnz .LBB4_193
; %bb.192:                              ;   in Loop: Header=BB4_137 Depth=2
	v_ashrrev_i32_e32 v11, 31, v10
	s_delay_alu instid0(VALU_DEP_1) | instskip(NEXT) | instid1(VALU_DEP_1)
	v_lshlrev_b64 v[38:39], 2, v[10:11]
	v_add_co_u32 v38, vcc_lo, s34, v38
	s_delay_alu instid0(VALU_DEP_2)
	v_add_co_ci_u32_e32 v39, vcc_lo, s35, v39, vcc_lo
	global_load_b32 v2, v[38:39], off
	s_cbranch_execz .LBB4_194
	s_branch .LBB4_195
.LBB4_193:                              ;   in Loop: Header=BB4_137 Depth=2
                                        ; implicit-def: $vgpr2
.LBB4_194:                              ;   in Loop: Header=BB4_137 Depth=2
	s_waitcnt vmcnt(0)
	v_add_nc_u32_e32 v2, s12, v1
.LBB4_195:                              ;   in Loop: Header=BB4_137 Depth=2
	s_or_b32 s29, s29, exec_lo
	s_or_b32 exec_lo, exec_lo, s28
	s_and_saveexec_b32 s28, s29
	s_cbranch_execnz .LBB4_202
	s_branch .LBB4_203
.LBB4_196:                              ;   in Loop: Header=BB4_137 Depth=2
                                        ; implicit-def: $vgpr2
.LBB4_197:                              ;   in Loop: Header=BB4_137 Depth=2
	s_waitcnt vmcnt(0)
	v_add_nc_u32_e32 v2, s12, v1
.LBB4_198:                              ;   in Loop: Header=BB4_137 Depth=2
	s_mov_b32 s51, exec_lo
.LBB4_199:                              ;   in Loop: Header=BB4_137 Depth=2
	s_or_b32 exec_lo, exec_lo, s50
	s_delay_alu instid0(SALU_CYCLE_1)
	s_and_b32 s50, s51, exec_lo
.LBB4_200:                              ;   in Loop: Header=BB4_137 Depth=2
	s_or_b32 exec_lo, exec_lo, s29
	s_delay_alu instid0(SALU_CYCLE_1)
	s_and_b32 s29, s50, exec_lo
                                        ; implicit-def: $vgpr1
	s_and_not1_saveexec_b32 s28, s28
	s_cbranch_execnz .LBB4_189
.LBB4_201:                              ;   in Loop: Header=BB4_137 Depth=2
	s_or_b32 exec_lo, exec_lo, s28
	s_and_saveexec_b32 s28, s29
	s_cbranch_execz .LBB4_203
.LBB4_202:                              ;   in Loop: Header=BB4_137 Depth=2
	v_ashrrev_i32_e32 v1, 31, v0
	s_delay_alu instid0(VALU_DEP_1) | instskip(NEXT) | instid1(VALU_DEP_1)
	v_lshlrev_b64 v[0:1], 2, v[0:1]
	v_add_co_u32 v0, vcc_lo, s13, v0
	s_delay_alu instid0(VALU_DEP_2)
	v_add_co_ci_u32_e32 v1, vcc_lo, s15, v1, vcc_lo
	s_waitcnt vmcnt(0)
	global_store_b32 v[0:1], v2, off
.LBB4_203:                              ;   in Loop: Header=BB4_137 Depth=2
	s_or_b32 exec_lo, exec_lo, s28
	v_cmp_gt_i32_e32 vcc_lo, 0, v3
	v_add_nc_u32_e32 v1, 3, v10
	s_mov_b32 s29, 0
	s_mov_b32 s28, exec_lo
                                        ; implicit-def: $vgpr2
	v_cndmask_b32_e64 v0, 0x7fffffff, 0, vcc_lo
	s_delay_alu instid0(VALU_DEP_1) | instskip(NEXT) | instid1(VALU_DEP_1)
	v_xor_b32_e32 v3, v0, v3
                                        ; implicit-def: $vgpr0
	v_cmpx_ge_u32_e64 v3, v32
	s_xor_b32 s28, exec_lo, s28
	s_cbranch_execz .LBB4_210
; %bb.204:                              ;   in Loop: Header=BB4_137 Depth=2
	s_mov_b32 s50, 0
	s_mov_b32 s29, exec_lo
                                        ; implicit-def: $vgpr2
                                        ; implicit-def: $vgpr0
	v_cmpx_eq_u32_e64 v3, v32
	s_cbranch_execz .LBB4_222
; %bb.205:                              ;   in Loop: Header=BB4_137 Depth=2
	s_mov_b32 s51, exec_lo
	s_mov_b32 s50, exec_lo
	v_mbcnt_lo_u32_b32 v0, s51, 0
                                        ; implicit-def: $vgpr2
	s_delay_alu instid0(VALU_DEP_1)
	v_cmpx_eq_u32_e32 0, v0
	s_cbranch_execz .LBB4_207
; %bb.206:                              ;   in Loop: Header=BB4_137 Depth=2
	s_bcnt1_i32_b32 s51, s51
	s_waitcnt vmcnt(0)
	v_mov_b32_e32 v2, s51
	global_atomic_add_u32 v2, v27, v2, s[8:9] offset:512 glc
.LBB4_207:                              ;   in Loop: Header=BB4_137 Depth=2
	s_or_b32 exec_lo, exec_lo, s50
	s_waitcnt vmcnt(0)
	v_readfirstlane_b32 s50, v2
	s_mov_b32 s51, 0
                                        ; implicit-def: $vgpr2
	s_delay_alu instid0(VALU_DEP_1) | instskip(SKIP_1) | instid1(VALU_DEP_1)
	v_add_nc_u32_e32 v3, s50, v0
	s_mov_b32 s50, exec_lo
                                        ; implicit-def: $vgpr0
	v_cmpx_lt_i32_e64 v3, v33
	s_cbranch_execz .LBB4_221
; %bb.208:                              ;   in Loop: Header=BB4_137 Depth=2
	v_xad_u32 v0, v3, -1, s40
	s_and_not1_b32 vcc_lo, exec_lo, s11
	s_cbranch_vccnz .LBB4_218
; %bb.209:                              ;   in Loop: Header=BB4_137 Depth=2
	v_ashrrev_i32_e32 v11, 31, v10
	s_delay_alu instid0(VALU_DEP_1) | instskip(NEXT) | instid1(VALU_DEP_1)
	v_lshlrev_b64 v[2:3], 2, v[10:11]
	v_add_co_u32 v2, vcc_lo, s36, v2
	s_delay_alu instid0(VALU_DEP_2)
	v_add_co_ci_u32_e32 v3, vcc_lo, s37, v3, vcc_lo
	global_load_b32 v2, v[2:3], off
	s_and_not1_b32 vcc_lo, exec_lo, s51
	s_cbranch_vccz .LBB4_219
	s_branch .LBB4_220
.LBB4_210:                              ;   in Loop: Header=BB4_137 Depth=2
	s_and_not1_saveexec_b32 s28, s28
	s_cbranch_execz .LBB4_223
.LBB4_211:                              ;   in Loop: Header=BB4_137 Depth=2
	s_mov_b32 s51, exec_lo
	s_mov_b32 s50, exec_lo
	v_mbcnt_lo_u32_b32 v0, s51, 0
                                        ; implicit-def: $vgpr2
	s_delay_alu instid0(VALU_DEP_1)
	v_cmpx_eq_u32_e32 0, v0
	s_cbranch_execz .LBB4_213
; %bb.212:                              ;   in Loop: Header=BB4_137 Depth=2
	s_bcnt1_i32_b32 s51, s51
	s_waitcnt vmcnt(0)
	v_mov_b32_e32 v2, s51
	global_atomic_add_u32 v2, v27, v2, s[8:9] offset:384 glc
.LBB4_213:                              ;   in Loop: Header=BB4_137 Depth=2
	s_or_b32 exec_lo, exec_lo, s50
	s_waitcnt vmcnt(0)
	v_readfirstlane_b32 s50, v2
	s_and_not1_b32 vcc_lo, exec_lo, s11
	s_delay_alu instid0(VALU_DEP_1)
	v_add_nc_u32_e32 v0, s50, v0
	s_cbranch_vccnz .LBB4_215
; %bb.214:                              ;   in Loop: Header=BB4_137 Depth=2
	v_ashrrev_i32_e32 v11, 31, v10
	s_delay_alu instid0(VALU_DEP_1) | instskip(NEXT) | instid1(VALU_DEP_1)
	v_lshlrev_b64 v[2:3], 2, v[10:11]
	v_add_co_u32 v2, vcc_lo, s36, v2
	s_delay_alu instid0(VALU_DEP_2)
	v_add_co_ci_u32_e32 v3, vcc_lo, s37, v3, vcc_lo
	global_load_b32 v2, v[2:3], off
	s_cbranch_execz .LBB4_216
	s_branch .LBB4_217
.LBB4_215:                              ;   in Loop: Header=BB4_137 Depth=2
                                        ; implicit-def: $vgpr2
.LBB4_216:                              ;   in Loop: Header=BB4_137 Depth=2
	s_waitcnt vmcnt(0)
	v_add_nc_u32_e32 v2, s12, v1
.LBB4_217:                              ;   in Loop: Header=BB4_137 Depth=2
	s_or_b32 s29, s29, exec_lo
	s_or_b32 exec_lo, exec_lo, s28
	s_and_saveexec_b32 s28, s29
	s_cbranch_execnz .LBB4_224
	s_branch .LBB4_225
.LBB4_218:                              ;   in Loop: Header=BB4_137 Depth=2
                                        ; implicit-def: $vgpr2
.LBB4_219:                              ;   in Loop: Header=BB4_137 Depth=2
	s_waitcnt vmcnt(0)
	v_add_nc_u32_e32 v2, s12, v1
.LBB4_220:                              ;   in Loop: Header=BB4_137 Depth=2
	s_mov_b32 s51, exec_lo
.LBB4_221:                              ;   in Loop: Header=BB4_137 Depth=2
	s_or_b32 exec_lo, exec_lo, s50
	s_delay_alu instid0(SALU_CYCLE_1)
	s_and_b32 s50, s51, exec_lo
.LBB4_222:                              ;   in Loop: Header=BB4_137 Depth=2
	s_or_b32 exec_lo, exec_lo, s29
	s_delay_alu instid0(SALU_CYCLE_1)
	s_and_b32 s29, s50, exec_lo
                                        ; implicit-def: $vgpr1
                                        ; implicit-def: $vgpr10
	s_and_not1_saveexec_b32 s28, s28
	s_cbranch_execnz .LBB4_211
.LBB4_223:                              ;   in Loop: Header=BB4_137 Depth=2
	s_or_b32 exec_lo, exec_lo, s28
	s_and_saveexec_b32 s28, s29
	s_cbranch_execz .LBB4_225
.LBB4_224:                              ;   in Loop: Header=BB4_137 Depth=2
	v_ashrrev_i32_e32 v1, 31, v0
	s_delay_alu instid0(VALU_DEP_1) | instskip(NEXT) | instid1(VALU_DEP_1)
	v_lshlrev_b64 v[0:1], 2, v[0:1]
	v_add_co_u32 v0, vcc_lo, s13, v0
	s_delay_alu instid0(VALU_DEP_2)
	v_add_co_ci_u32_e32 v1, vcc_lo, s15, v1, vcc_lo
	s_waitcnt vmcnt(0)
	global_store_b32 v[0:1], v2, off
.LBB4_225:                              ;   in Loop: Header=BB4_137 Depth=2
	s_or_b32 exec_lo, exec_lo, s28
	v_lshlrev_b64 v[0:1], 4, v[36:37]
	s_waitcnt vmcnt(0)
	v_add_co_u32 v2, vcc_lo, v8, s22
	v_add_co_ci_u32_e32 v3, vcc_lo, s23, v9, vcc_lo
	v_add_co_u32 v35, null, v34, s10
	s_delay_alu instid0(VALU_DEP_4)
	v_add_co_u32 v0, vcc_lo, s30, v0
	v_add_co_ci_u32_e32 v1, vcc_lo, s31, v1, vcc_lo
	v_cmp_gt_i32_e32 vcc_lo, 0, v4
	s_clause 0x1
	global_load_b128 v[8:11], v[2:3], off
	global_load_b128 v[0:3], v[0:1], off
	s_mov_b32 s29, 0
	s_mov_b32 s28, exec_lo
	v_cndmask_b32_e64 v37, 0x7fffffff, 0, vcc_lo
                                        ; implicit-def: $vgpr39
	s_delay_alu instid0(VALU_DEP_1) | instskip(SKIP_1) | instid1(VALU_DEP_2)
	v_xor_b32_e32 v38, v37, v4
	v_lshl_add_u32 v37, v35, 2, s20
                                        ; implicit-def: $vgpr4
	v_cmpx_ge_u32_e64 v38, v32
	s_xor_b32 s28, exec_lo, s28
	s_cbranch_execz .LBB4_232
; %bb.226:                              ;   in Loop: Header=BB4_137 Depth=2
	s_mov_b32 s50, 0
	s_mov_b32 s29, exec_lo
                                        ; implicit-def: $vgpr4
                                        ; implicit-def: $vgpr39
	v_cmpx_eq_u32_e64 v38, v32
	s_cbranch_execz .LBB4_244
; %bb.227:                              ;   in Loop: Header=BB4_137 Depth=2
	s_mov_b32 s51, exec_lo
	s_mov_b32 s50, exec_lo
	v_mbcnt_lo_u32_b32 v4, s51, 0
                                        ; implicit-def: $vgpr38
	s_delay_alu instid0(VALU_DEP_1)
	v_cmpx_eq_u32_e32 0, v4
	s_cbranch_execz .LBB4_229
; %bb.228:                              ;   in Loop: Header=BB4_137 Depth=2
	s_bcnt1_i32_b32 s51, s51
	s_delay_alu instid0(SALU_CYCLE_1)
	v_mov_b32_e32 v38, s51
	global_atomic_add_u32 v38, v27, v38, s[8:9] offset:512 glc
.LBB4_229:                              ;   in Loop: Header=BB4_137 Depth=2
	s_or_b32 exec_lo, exec_lo, s50
	s_waitcnt vmcnt(0)
	v_readfirstlane_b32 s50, v38
	s_mov_b32 s51, 0
                                        ; implicit-def: $vgpr39
	s_delay_alu instid0(VALU_DEP_1) | instskip(SKIP_1) | instid1(VALU_DEP_1)
	v_add_nc_u32_e32 v38, s50, v4
	s_mov_b32 s50, exec_lo
                                        ; implicit-def: $vgpr4
	v_cmpx_lt_i32_e64 v38, v33
	s_xor_b32 s50, exec_lo, s50
	s_cbranch_execz .LBB4_243
; %bb.230:                              ;   in Loop: Header=BB4_137 Depth=2
	v_xad_u32 v39, v38, -1, s40
	s_and_not1_b32 vcc_lo, exec_lo, s11
	s_cbranch_vccnz .LBB4_240
; %bb.231:                              ;   in Loop: Header=BB4_137 Depth=2
	v_ashrrev_i32_e32 v38, 31, v37
	s_delay_alu instid0(VALU_DEP_1) | instskip(NEXT) | instid1(VALU_DEP_1)
	v_lshlrev_b64 v[51:52], 2, v[37:38]
	v_add_co_u32 v51, vcc_lo, s16, v51
	s_delay_alu instid0(VALU_DEP_2)
	v_add_co_ci_u32_e32 v52, vcc_lo, s17, v52, vcc_lo
	global_load_b32 v4, v[51:52], off
	s_and_not1_b32 vcc_lo, exec_lo, s51
	s_cbranch_vccz .LBB4_241
	s_branch .LBB4_242
.LBB4_232:                              ;   in Loop: Header=BB4_137 Depth=2
	s_and_not1_saveexec_b32 s28, s28
	s_cbranch_execz .LBB4_245
.LBB4_233:                              ;   in Loop: Header=BB4_137 Depth=2
	s_mov_b32 s51, exec_lo
	s_mov_b32 s50, exec_lo
	s_waitcnt vmcnt(0)
	v_mbcnt_lo_u32_b32 v4, s51, 0
                                        ; implicit-def: $vgpr38
	s_delay_alu instid0(VALU_DEP_1)
	v_cmpx_eq_u32_e32 0, v4
	s_cbranch_execz .LBB4_235
; %bb.234:                              ;   in Loop: Header=BB4_137 Depth=2
	s_bcnt1_i32_b32 s51, s51
	s_delay_alu instid0(SALU_CYCLE_1)
	v_mov_b32_e32 v38, s51
	global_atomic_add_u32 v38, v27, v38, s[8:9] offset:384 glc
.LBB4_235:                              ;   in Loop: Header=BB4_137 Depth=2
	s_or_b32 exec_lo, exec_lo, s50
	s_waitcnt vmcnt(0)
	v_readfirstlane_b32 s50, v38
	s_and_not1_b32 vcc_lo, exec_lo, s11
	s_delay_alu instid0(VALU_DEP_1)
	v_add_nc_u32_e32 v39, s50, v4
	s_cbranch_vccnz .LBB4_237
; %bb.236:                              ;   in Loop: Header=BB4_137 Depth=2
	v_ashrrev_i32_e32 v38, 31, v37
	s_delay_alu instid0(VALU_DEP_1) | instskip(NEXT) | instid1(VALU_DEP_1)
	v_lshlrev_b64 v[51:52], 2, v[37:38]
	v_add_co_u32 v51, vcc_lo, s16, v51
	s_delay_alu instid0(VALU_DEP_2)
	v_add_co_ci_u32_e32 v52, vcc_lo, s17, v52, vcc_lo
	global_load_b32 v4, v[51:52], off
	s_cbranch_execz .LBB4_238
	s_branch .LBB4_239
.LBB4_237:                              ;   in Loop: Header=BB4_137 Depth=2
                                        ; implicit-def: $vgpr4
.LBB4_238:                              ;   in Loop: Header=BB4_137 Depth=2
	s_waitcnt vmcnt(0)
	v_add_nc_u32_e32 v4, s12, v37
.LBB4_239:                              ;   in Loop: Header=BB4_137 Depth=2
	s_or_b32 s29, s29, exec_lo
	s_or_b32 exec_lo, exec_lo, s28
	s_and_saveexec_b32 s28, s29
	s_cbranch_execnz .LBB4_246
	s_branch .LBB4_247
.LBB4_240:                              ;   in Loop: Header=BB4_137 Depth=2
                                        ; implicit-def: $vgpr4
.LBB4_241:                              ;   in Loop: Header=BB4_137 Depth=2
	s_waitcnt vmcnt(0)
	v_add_nc_u32_e32 v4, s12, v37
.LBB4_242:                              ;   in Loop: Header=BB4_137 Depth=2
	s_mov_b32 s51, exec_lo
.LBB4_243:                              ;   in Loop: Header=BB4_137 Depth=2
	s_or_b32 exec_lo, exec_lo, s50
	s_delay_alu instid0(SALU_CYCLE_1)
	s_and_b32 s50, s51, exec_lo
.LBB4_244:                              ;   in Loop: Header=BB4_137 Depth=2
	s_or_b32 exec_lo, exec_lo, s29
	s_delay_alu instid0(SALU_CYCLE_1)
	s_and_b32 s29, s50, exec_lo
	s_and_not1_saveexec_b32 s28, s28
	s_cbranch_execnz .LBB4_233
.LBB4_245:                              ;   in Loop: Header=BB4_137 Depth=2
	s_or_b32 exec_lo, exec_lo, s28
	s_and_saveexec_b32 s28, s29
	s_cbranch_execz .LBB4_247
.LBB4_246:                              ;   in Loop: Header=BB4_137 Depth=2
	v_ashrrev_i32_e32 v40, 31, v39
	s_delay_alu instid0(VALU_DEP_1) | instskip(NEXT) | instid1(VALU_DEP_1)
	v_lshlrev_b64 v[38:39], 2, v[39:40]
	v_add_co_u32 v38, vcc_lo, s13, v38
	s_delay_alu instid0(VALU_DEP_2)
	v_add_co_ci_u32_e32 v39, vcc_lo, s15, v39, vcc_lo
	s_waitcnt vmcnt(0)
	global_store_b32 v[38:39], v4, off
.LBB4_247:                              ;   in Loop: Header=BB4_137 Depth=2
	s_or_b32 exec_lo, exec_lo, s28
	v_cmp_gt_i32_e32 vcc_lo, 0, v5
	s_mov_b32 s29, 0
	s_mov_b32 s28, exec_lo
                                        ; implicit-def: $vgpr38
	s_waitcnt vmcnt(0)
	v_cndmask_b32_e64 v4, 0x7fffffff, 0, vcc_lo
	s_delay_alu instid0(VALU_DEP_1) | instskip(SKIP_1) | instid1(VALU_DEP_2)
	v_xor_b32_e32 v39, v4, v5
	v_add_nc_u32_e32 v5, 1, v37
                                        ; implicit-def: $vgpr4
	v_cmpx_ge_u32_e64 v39, v32
	s_xor_b32 s28, exec_lo, s28
	s_cbranch_execz .LBB4_254
; %bb.248:                              ;   in Loop: Header=BB4_137 Depth=2
	s_mov_b32 s50, 0
	s_mov_b32 s29, exec_lo
                                        ; implicit-def: $vgpr38
                                        ; implicit-def: $vgpr4
	v_cmpx_eq_u32_e64 v39, v32
	s_cbranch_execz .LBB4_266
; %bb.249:                              ;   in Loop: Header=BB4_137 Depth=2
	s_mov_b32 s51, exec_lo
	s_mov_b32 s50, exec_lo
	v_mbcnt_lo_u32_b32 v4, s51, 0
                                        ; implicit-def: $vgpr38
	s_delay_alu instid0(VALU_DEP_1)
	v_cmpx_eq_u32_e32 0, v4
	s_cbranch_execz .LBB4_251
; %bb.250:                              ;   in Loop: Header=BB4_137 Depth=2
	s_bcnt1_i32_b32 s51, s51
	s_delay_alu instid0(SALU_CYCLE_1)
	v_mov_b32_e32 v38, s51
	global_atomic_add_u32 v38, v27, v38, s[8:9] offset:512 glc
.LBB4_251:                              ;   in Loop: Header=BB4_137 Depth=2
	s_or_b32 exec_lo, exec_lo, s50
	s_waitcnt vmcnt(0)
	v_readfirstlane_b32 s50, v38
	s_mov_b32 s51, 0
                                        ; implicit-def: $vgpr38
	s_delay_alu instid0(VALU_DEP_1) | instskip(SKIP_1) | instid1(VALU_DEP_1)
	v_add_nc_u32_e32 v39, s50, v4
	s_mov_b32 s50, exec_lo
                                        ; implicit-def: $vgpr4
	v_cmpx_lt_i32_e64 v39, v33
	s_cbranch_execz .LBB4_265
; %bb.252:                              ;   in Loop: Header=BB4_137 Depth=2
	v_xad_u32 v4, v39, -1, s40
	s_and_not1_b32 vcc_lo, exec_lo, s11
	s_cbranch_vccnz .LBB4_262
; %bb.253:                              ;   in Loop: Header=BB4_137 Depth=2
	v_ashrrev_i32_e32 v38, 31, v37
	s_delay_alu instid0(VALU_DEP_1) | instskip(NEXT) | instid1(VALU_DEP_1)
	v_lshlrev_b64 v[38:39], 2, v[37:38]
	v_add_co_u32 v38, vcc_lo, s14, v38
	s_delay_alu instid0(VALU_DEP_2)
	v_add_co_ci_u32_e32 v39, vcc_lo, s21, v39, vcc_lo
	global_load_b32 v38, v[38:39], off
	s_and_not1_b32 vcc_lo, exec_lo, s51
	s_cbranch_vccz .LBB4_263
	s_branch .LBB4_264
.LBB4_254:                              ;   in Loop: Header=BB4_137 Depth=2
	s_and_not1_saveexec_b32 s28, s28
	s_cbranch_execz .LBB4_267
.LBB4_255:                              ;   in Loop: Header=BB4_137 Depth=2
	s_mov_b32 s51, exec_lo
	s_mov_b32 s50, exec_lo
	v_mbcnt_lo_u32_b32 v4, s51, 0
                                        ; implicit-def: $vgpr38
	s_delay_alu instid0(VALU_DEP_1)
	v_cmpx_eq_u32_e32 0, v4
	s_cbranch_execz .LBB4_257
; %bb.256:                              ;   in Loop: Header=BB4_137 Depth=2
	s_bcnt1_i32_b32 s51, s51
	s_waitcnt vmcnt(0)
	v_mov_b32_e32 v38, s51
	global_atomic_add_u32 v38, v27, v38, s[8:9] offset:384 glc
.LBB4_257:                              ;   in Loop: Header=BB4_137 Depth=2
	s_or_b32 exec_lo, exec_lo, s50
	s_waitcnt vmcnt(0)
	v_readfirstlane_b32 s50, v38
	s_and_not1_b32 vcc_lo, exec_lo, s11
	s_delay_alu instid0(VALU_DEP_1)
	v_add_nc_u32_e32 v4, s50, v4
	s_cbranch_vccnz .LBB4_259
; %bb.258:                              ;   in Loop: Header=BB4_137 Depth=2
	v_ashrrev_i32_e32 v38, 31, v37
	s_delay_alu instid0(VALU_DEP_1) | instskip(NEXT) | instid1(VALU_DEP_1)
	v_lshlrev_b64 v[38:39], 2, v[37:38]
	v_add_co_u32 v38, vcc_lo, s14, v38
	s_delay_alu instid0(VALU_DEP_2)
	v_add_co_ci_u32_e32 v39, vcc_lo, s21, v39, vcc_lo
	global_load_b32 v38, v[38:39], off
	s_cbranch_execz .LBB4_260
	s_branch .LBB4_261
.LBB4_259:                              ;   in Loop: Header=BB4_137 Depth=2
                                        ; implicit-def: $vgpr38
.LBB4_260:                              ;   in Loop: Header=BB4_137 Depth=2
	s_waitcnt vmcnt(0)
	v_add_nc_u32_e32 v38, s12, v5
.LBB4_261:                              ;   in Loop: Header=BB4_137 Depth=2
	s_or_b32 s29, s29, exec_lo
	s_or_b32 exec_lo, exec_lo, s28
	s_and_saveexec_b32 s28, s29
	s_cbranch_execnz .LBB4_268
	s_branch .LBB4_269
.LBB4_262:                              ;   in Loop: Header=BB4_137 Depth=2
                                        ; implicit-def: $vgpr38
.LBB4_263:                              ;   in Loop: Header=BB4_137 Depth=2
	s_waitcnt vmcnt(0)
	v_add_nc_u32_e32 v38, s12, v5
.LBB4_264:                              ;   in Loop: Header=BB4_137 Depth=2
	s_mov_b32 s51, exec_lo
.LBB4_265:                              ;   in Loop: Header=BB4_137 Depth=2
	s_or_b32 exec_lo, exec_lo, s50
	s_delay_alu instid0(SALU_CYCLE_1)
	s_and_b32 s50, s51, exec_lo
.LBB4_266:                              ;   in Loop: Header=BB4_137 Depth=2
	s_or_b32 exec_lo, exec_lo, s29
	s_delay_alu instid0(SALU_CYCLE_1)
	s_and_b32 s29, s50, exec_lo
                                        ; implicit-def: $vgpr5
	s_and_not1_saveexec_b32 s28, s28
	s_cbranch_execnz .LBB4_255
.LBB4_267:                              ;   in Loop: Header=BB4_137 Depth=2
	s_or_b32 exec_lo, exec_lo, s28
	s_and_saveexec_b32 s28, s29
	s_cbranch_execz .LBB4_269
.LBB4_268:                              ;   in Loop: Header=BB4_137 Depth=2
	v_ashrrev_i32_e32 v5, 31, v4
	s_delay_alu instid0(VALU_DEP_1) | instskip(NEXT) | instid1(VALU_DEP_1)
	v_lshlrev_b64 v[4:5], 2, v[4:5]
	v_add_co_u32 v4, vcc_lo, s13, v4
	s_delay_alu instid0(VALU_DEP_2)
	v_add_co_ci_u32_e32 v5, vcc_lo, s15, v5, vcc_lo
	s_waitcnt vmcnt(0)
	global_store_b32 v[4:5], v38, off
.LBB4_269:                              ;   in Loop: Header=BB4_137 Depth=2
	s_or_b32 exec_lo, exec_lo, s28
	v_cmp_gt_i32_e32 vcc_lo, 0, v6
	v_add_nc_u32_e32 v5, 2, v37
	s_mov_b32 s29, 0
	s_mov_b32 s28, exec_lo
	v_cndmask_b32_e64 v4, 0x7fffffff, 0, vcc_lo
	s_waitcnt vmcnt(0)
	s_delay_alu instid0(VALU_DEP_1) | instskip(NEXT) | instid1(VALU_DEP_1)
	v_xor_b32_e32 v38, v4, v6
                                        ; implicit-def: $vgpr6
                                        ; implicit-def: $vgpr4
	v_cmpx_ge_u32_e64 v38, v32
	s_xor_b32 s28, exec_lo, s28
	s_cbranch_execz .LBB4_276
; %bb.270:                              ;   in Loop: Header=BB4_137 Depth=2
	s_mov_b32 s50, 0
	s_mov_b32 s29, exec_lo
                                        ; implicit-def: $vgpr6
                                        ; implicit-def: $vgpr4
	v_cmpx_eq_u32_e64 v38, v32
	s_cbranch_execz .LBB4_288
; %bb.271:                              ;   in Loop: Header=BB4_137 Depth=2
	s_mov_b32 s51, exec_lo
	s_mov_b32 s50, exec_lo
	v_mbcnt_lo_u32_b32 v4, s51, 0
                                        ; implicit-def: $vgpr6
	s_delay_alu instid0(VALU_DEP_1)
	v_cmpx_eq_u32_e32 0, v4
	s_cbranch_execz .LBB4_273
; %bb.272:                              ;   in Loop: Header=BB4_137 Depth=2
	s_bcnt1_i32_b32 s51, s51
	s_delay_alu instid0(SALU_CYCLE_1)
	v_mov_b32_e32 v6, s51
	global_atomic_add_u32 v6, v27, v6, s[8:9] offset:512 glc
.LBB4_273:                              ;   in Loop: Header=BB4_137 Depth=2
	s_or_b32 exec_lo, exec_lo, s50
	s_waitcnt vmcnt(0)
	v_readfirstlane_b32 s50, v6
	s_mov_b32 s51, 0
                                        ; implicit-def: $vgpr6
	s_delay_alu instid0(VALU_DEP_1) | instskip(SKIP_1) | instid1(VALU_DEP_1)
	v_add_nc_u32_e32 v38, s50, v4
	s_mov_b32 s50, exec_lo
                                        ; implicit-def: $vgpr4
	v_cmpx_lt_i32_e64 v38, v33
	s_cbranch_execz .LBB4_287
; %bb.274:                              ;   in Loop: Header=BB4_137 Depth=2
	v_xad_u32 v4, v38, -1, s40
	s_and_not1_b32 vcc_lo, exec_lo, s11
	s_cbranch_vccnz .LBB4_284
; %bb.275:                              ;   in Loop: Header=BB4_137 Depth=2
	v_ashrrev_i32_e32 v38, 31, v37
	s_delay_alu instid0(VALU_DEP_1) | instskip(NEXT) | instid1(VALU_DEP_1)
	v_lshlrev_b64 v[38:39], 2, v[37:38]
	v_add_co_u32 v38, vcc_lo, s34, v38
	s_delay_alu instid0(VALU_DEP_2)
	v_add_co_ci_u32_e32 v39, vcc_lo, s35, v39, vcc_lo
	global_load_b32 v6, v[38:39], off
	s_and_not1_b32 vcc_lo, exec_lo, s51
	s_cbranch_vccz .LBB4_285
	s_branch .LBB4_286
.LBB4_276:                              ;   in Loop: Header=BB4_137 Depth=2
	s_and_not1_saveexec_b32 s28, s28
	s_cbranch_execz .LBB4_289
.LBB4_277:                              ;   in Loop: Header=BB4_137 Depth=2
	s_mov_b32 s51, exec_lo
	s_mov_b32 s50, exec_lo
	v_mbcnt_lo_u32_b32 v4, s51, 0
                                        ; implicit-def: $vgpr6
	s_delay_alu instid0(VALU_DEP_1)
	v_cmpx_eq_u32_e32 0, v4
	s_cbranch_execz .LBB4_279
; %bb.278:                              ;   in Loop: Header=BB4_137 Depth=2
	s_bcnt1_i32_b32 s51, s51
	s_waitcnt vmcnt(0)
	v_mov_b32_e32 v6, s51
	global_atomic_add_u32 v6, v27, v6, s[8:9] offset:384 glc
.LBB4_279:                              ;   in Loop: Header=BB4_137 Depth=2
	s_or_b32 exec_lo, exec_lo, s50
	s_waitcnt vmcnt(0)
	v_readfirstlane_b32 s50, v6
	s_and_not1_b32 vcc_lo, exec_lo, s11
	s_delay_alu instid0(VALU_DEP_1)
	v_add_nc_u32_e32 v4, s50, v4
	s_cbranch_vccnz .LBB4_281
; %bb.280:                              ;   in Loop: Header=BB4_137 Depth=2
	v_ashrrev_i32_e32 v38, 31, v37
	s_delay_alu instid0(VALU_DEP_1) | instskip(NEXT) | instid1(VALU_DEP_1)
	v_lshlrev_b64 v[38:39], 2, v[37:38]
	v_add_co_u32 v38, vcc_lo, s34, v38
	s_delay_alu instid0(VALU_DEP_2)
	v_add_co_ci_u32_e32 v39, vcc_lo, s35, v39, vcc_lo
	global_load_b32 v6, v[38:39], off
	s_cbranch_execz .LBB4_282
	s_branch .LBB4_283
.LBB4_281:                              ;   in Loop: Header=BB4_137 Depth=2
                                        ; implicit-def: $vgpr6
.LBB4_282:                              ;   in Loop: Header=BB4_137 Depth=2
	s_waitcnt vmcnt(0)
	v_add_nc_u32_e32 v6, s12, v5
.LBB4_283:                              ;   in Loop: Header=BB4_137 Depth=2
	s_or_b32 s29, s29, exec_lo
	s_or_b32 exec_lo, exec_lo, s28
	s_and_saveexec_b32 s28, s29
	s_cbranch_execnz .LBB4_290
	s_branch .LBB4_291
.LBB4_284:                              ;   in Loop: Header=BB4_137 Depth=2
                                        ; implicit-def: $vgpr6
.LBB4_285:                              ;   in Loop: Header=BB4_137 Depth=2
	s_waitcnt vmcnt(0)
	v_add_nc_u32_e32 v6, s12, v5
.LBB4_286:                              ;   in Loop: Header=BB4_137 Depth=2
	s_mov_b32 s51, exec_lo
.LBB4_287:                              ;   in Loop: Header=BB4_137 Depth=2
	s_or_b32 exec_lo, exec_lo, s50
	s_delay_alu instid0(SALU_CYCLE_1)
	s_and_b32 s50, s51, exec_lo
.LBB4_288:                              ;   in Loop: Header=BB4_137 Depth=2
	s_or_b32 exec_lo, exec_lo, s29
	s_delay_alu instid0(SALU_CYCLE_1)
	s_and_b32 s29, s50, exec_lo
                                        ; implicit-def: $vgpr5
	s_and_not1_saveexec_b32 s28, s28
	s_cbranch_execnz .LBB4_277
.LBB4_289:                              ;   in Loop: Header=BB4_137 Depth=2
	s_or_b32 exec_lo, exec_lo, s28
	s_and_saveexec_b32 s28, s29
	s_cbranch_execz .LBB4_291
.LBB4_290:                              ;   in Loop: Header=BB4_137 Depth=2
	v_ashrrev_i32_e32 v5, 31, v4
	s_delay_alu instid0(VALU_DEP_1) | instskip(NEXT) | instid1(VALU_DEP_1)
	v_lshlrev_b64 v[4:5], 2, v[4:5]
	v_add_co_u32 v4, vcc_lo, s13, v4
	s_delay_alu instid0(VALU_DEP_2)
	v_add_co_ci_u32_e32 v5, vcc_lo, s15, v5, vcc_lo
	s_waitcnt vmcnt(0)
	global_store_b32 v[4:5], v6, off
.LBB4_291:                              ;   in Loop: Header=BB4_137 Depth=2
	s_or_b32 exec_lo, exec_lo, s28
	v_cmp_gt_i32_e32 vcc_lo, 0, v7
	v_add_nc_u32_e32 v5, 3, v37
	s_mov_b32 s29, 0
	s_mov_b32 s28, exec_lo
                                        ; implicit-def: $vgpr6
	v_cndmask_b32_e64 v4, 0x7fffffff, 0, vcc_lo
	s_delay_alu instid0(VALU_DEP_1) | instskip(NEXT) | instid1(VALU_DEP_1)
	v_xor_b32_e32 v7, v4, v7
                                        ; implicit-def: $vgpr4
	v_cmpx_ge_u32_e64 v7, v32
	s_xor_b32 s28, exec_lo, s28
	s_cbranch_execz .LBB4_298
; %bb.292:                              ;   in Loop: Header=BB4_137 Depth=2
	s_mov_b32 s50, 0
	s_mov_b32 s29, exec_lo
                                        ; implicit-def: $vgpr6
                                        ; implicit-def: $vgpr4
	v_cmpx_eq_u32_e64 v7, v32
	s_cbranch_execz .LBB4_310
; %bb.293:                              ;   in Loop: Header=BB4_137 Depth=2
	s_mov_b32 s51, exec_lo
	s_mov_b32 s50, exec_lo
	v_mbcnt_lo_u32_b32 v4, s51, 0
                                        ; implicit-def: $vgpr6
	s_delay_alu instid0(VALU_DEP_1)
	v_cmpx_eq_u32_e32 0, v4
	s_cbranch_execz .LBB4_295
; %bb.294:                              ;   in Loop: Header=BB4_137 Depth=2
	s_bcnt1_i32_b32 s51, s51
	s_waitcnt vmcnt(0)
	v_mov_b32_e32 v6, s51
	global_atomic_add_u32 v6, v27, v6, s[8:9] offset:512 glc
.LBB4_295:                              ;   in Loop: Header=BB4_137 Depth=2
	s_or_b32 exec_lo, exec_lo, s50
	s_waitcnt vmcnt(0)
	v_readfirstlane_b32 s50, v6
	s_mov_b32 s51, 0
                                        ; implicit-def: $vgpr6
	s_delay_alu instid0(VALU_DEP_1) | instskip(SKIP_1) | instid1(VALU_DEP_1)
	v_add_nc_u32_e32 v7, s50, v4
	s_mov_b32 s50, exec_lo
                                        ; implicit-def: $vgpr4
	v_cmpx_lt_i32_e64 v7, v33
	s_cbranch_execz .LBB4_309
; %bb.296:                              ;   in Loop: Header=BB4_137 Depth=2
	v_xad_u32 v4, v7, -1, s40
	s_and_not1_b32 vcc_lo, exec_lo, s11
	s_cbranch_vccnz .LBB4_306
; %bb.297:                              ;   in Loop: Header=BB4_137 Depth=2
	v_ashrrev_i32_e32 v38, 31, v37
	s_delay_alu instid0(VALU_DEP_1) | instskip(NEXT) | instid1(VALU_DEP_1)
	v_lshlrev_b64 v[6:7], 2, v[37:38]
	v_add_co_u32 v6, vcc_lo, s36, v6
	s_delay_alu instid0(VALU_DEP_2)
	v_add_co_ci_u32_e32 v7, vcc_lo, s37, v7, vcc_lo
	global_load_b32 v6, v[6:7], off
	s_and_not1_b32 vcc_lo, exec_lo, s51
	s_cbranch_vccz .LBB4_307
	s_branch .LBB4_308
.LBB4_298:                              ;   in Loop: Header=BB4_137 Depth=2
	s_and_not1_saveexec_b32 s28, s28
	s_cbranch_execz .LBB4_311
.LBB4_299:                              ;   in Loop: Header=BB4_137 Depth=2
	s_mov_b32 s51, exec_lo
	s_mov_b32 s50, exec_lo
	v_mbcnt_lo_u32_b32 v4, s51, 0
                                        ; implicit-def: $vgpr6
	s_delay_alu instid0(VALU_DEP_1)
	v_cmpx_eq_u32_e32 0, v4
	s_cbranch_execz .LBB4_301
; %bb.300:                              ;   in Loop: Header=BB4_137 Depth=2
	s_bcnt1_i32_b32 s51, s51
	s_waitcnt vmcnt(0)
	v_mov_b32_e32 v6, s51
	global_atomic_add_u32 v6, v27, v6, s[8:9] offset:384 glc
.LBB4_301:                              ;   in Loop: Header=BB4_137 Depth=2
	s_or_b32 exec_lo, exec_lo, s50
	s_waitcnt vmcnt(0)
	v_readfirstlane_b32 s50, v6
	s_and_not1_b32 vcc_lo, exec_lo, s11
	s_delay_alu instid0(VALU_DEP_1)
	v_add_nc_u32_e32 v4, s50, v4
	s_cbranch_vccnz .LBB4_303
; %bb.302:                              ;   in Loop: Header=BB4_137 Depth=2
	v_ashrrev_i32_e32 v38, 31, v37
	s_delay_alu instid0(VALU_DEP_1) | instskip(NEXT) | instid1(VALU_DEP_1)
	v_lshlrev_b64 v[6:7], 2, v[37:38]
	v_add_co_u32 v6, vcc_lo, s36, v6
	s_delay_alu instid0(VALU_DEP_2)
	v_add_co_ci_u32_e32 v7, vcc_lo, s37, v7, vcc_lo
	global_load_b32 v6, v[6:7], off
	s_cbranch_execz .LBB4_304
	s_branch .LBB4_305
.LBB4_303:                              ;   in Loop: Header=BB4_137 Depth=2
                                        ; implicit-def: $vgpr6
.LBB4_304:                              ;   in Loop: Header=BB4_137 Depth=2
	s_waitcnt vmcnt(0)
	v_add_nc_u32_e32 v6, s12, v5
.LBB4_305:                              ;   in Loop: Header=BB4_137 Depth=2
	s_or_b32 s29, s29, exec_lo
	s_or_b32 exec_lo, exec_lo, s28
	s_and_saveexec_b32 s28, s29
	s_cbranch_execnz .LBB4_312
	s_branch .LBB4_313
.LBB4_306:                              ;   in Loop: Header=BB4_137 Depth=2
                                        ; implicit-def: $vgpr6
.LBB4_307:                              ;   in Loop: Header=BB4_137 Depth=2
	s_waitcnt vmcnt(0)
	v_add_nc_u32_e32 v6, s12, v5
.LBB4_308:                              ;   in Loop: Header=BB4_137 Depth=2
	s_mov_b32 s51, exec_lo
.LBB4_309:                              ;   in Loop: Header=BB4_137 Depth=2
	s_or_b32 exec_lo, exec_lo, s50
	s_delay_alu instid0(SALU_CYCLE_1)
	s_and_b32 s50, s51, exec_lo
.LBB4_310:                              ;   in Loop: Header=BB4_137 Depth=2
	s_or_b32 exec_lo, exec_lo, s29
	s_delay_alu instid0(SALU_CYCLE_1)
	s_and_b32 s29, s50, exec_lo
                                        ; implicit-def: $vgpr5
                                        ; implicit-def: $vgpr37
	s_and_not1_saveexec_b32 s28, s28
	s_cbranch_execnz .LBB4_299
.LBB4_311:                              ;   in Loop: Header=BB4_137 Depth=2
	s_or_b32 exec_lo, exec_lo, s28
	s_and_saveexec_b32 s28, s29
	s_cbranch_execz .LBB4_313
.LBB4_312:                              ;   in Loop: Header=BB4_137 Depth=2
	v_ashrrev_i32_e32 v5, 31, v4
	s_delay_alu instid0(VALU_DEP_1) | instskip(NEXT) | instid1(VALU_DEP_1)
	v_lshlrev_b64 v[4:5], 2, v[4:5]
	v_add_co_u32 v4, vcc_lo, s13, v4
	s_delay_alu instid0(VALU_DEP_2)
	v_add_co_ci_u32_e32 v5, vcc_lo, s15, v5, vcc_lo
	s_waitcnt vmcnt(0)
	global_store_b32 v[4:5], v6, off
.LBB4_313:                              ;   in Loop: Header=BB4_137 Depth=2
	s_or_b32 exec_lo, exec_lo, s28
	v_cmp_gt_i32_e32 vcc_lo, 0, v8
	v_add_nc_u32_e32 v5, s10, v35
	s_mov_b32 s29, 0
	s_mov_b32 s28, exec_lo
                                        ; implicit-def: $vgpr6
	v_cndmask_b32_e64 v4, 0x7fffffff, 0, vcc_lo
	s_delay_alu instid0(VALU_DEP_1) | instskip(SKIP_1) | instid1(VALU_DEP_2)
	v_xor_b32_e32 v7, v4, v8
	v_lshl_add_u32 v4, v5, 2, s20
                                        ; implicit-def: $vgpr5
	v_cmpx_ge_u32_e64 v7, v32
	s_xor_b32 s28, exec_lo, s28
	s_cbranch_execz .LBB4_320
; %bb.314:                              ;   in Loop: Header=BB4_137 Depth=2
	s_mov_b32 s50, 0
	s_mov_b32 s29, exec_lo
                                        ; implicit-def: $vgpr5
                                        ; implicit-def: $vgpr6
	v_cmpx_eq_u32_e64 v7, v32
	s_cbranch_execz .LBB4_332
; %bb.315:                              ;   in Loop: Header=BB4_137 Depth=2
	s_mov_b32 s51, exec_lo
	s_mov_b32 s50, exec_lo
	v_mbcnt_lo_u32_b32 v5, s51, 0
                                        ; implicit-def: $vgpr6
	s_delay_alu instid0(VALU_DEP_1)
	v_cmpx_eq_u32_e32 0, v5
	s_cbranch_execz .LBB4_317
; %bb.316:                              ;   in Loop: Header=BB4_137 Depth=2
	s_bcnt1_i32_b32 s51, s51
	s_waitcnt vmcnt(0)
	v_mov_b32_e32 v6, s51
	global_atomic_add_u32 v6, v27, v6, s[8:9] offset:512 glc
.LBB4_317:                              ;   in Loop: Header=BB4_137 Depth=2
	s_or_b32 exec_lo, exec_lo, s50
	s_waitcnt vmcnt(0)
	v_readfirstlane_b32 s50, v6
	s_mov_b32 s51, 0
                                        ; implicit-def: $vgpr6
	s_delay_alu instid0(VALU_DEP_1) | instskip(SKIP_1) | instid1(VALU_DEP_1)
	v_add_nc_u32_e32 v7, s50, v5
	s_mov_b32 s50, exec_lo
                                        ; implicit-def: $vgpr5
	v_cmpx_lt_i32_e64 v7, v33
	s_xor_b32 s50, exec_lo, s50
	s_cbranch_execz .LBB4_331
; %bb.318:                              ;   in Loop: Header=BB4_137 Depth=2
	v_xad_u32 v6, v7, -1, s40
	s_and_not1_b32 vcc_lo, exec_lo, s11
	s_cbranch_vccnz .LBB4_328
; %bb.319:                              ;   in Loop: Header=BB4_137 Depth=2
	v_ashrrev_i32_e32 v5, 31, v4
	s_delay_alu instid0(VALU_DEP_1) | instskip(NEXT) | instid1(VALU_DEP_1)
	v_lshlrev_b64 v[7:8], 2, v[4:5]
	v_add_co_u32 v7, vcc_lo, s16, v7
	s_delay_alu instid0(VALU_DEP_2)
	v_add_co_ci_u32_e32 v8, vcc_lo, s17, v8, vcc_lo
	global_load_b32 v5, v[7:8], off
	s_and_not1_b32 vcc_lo, exec_lo, s51
	s_cbranch_vccz .LBB4_329
	s_branch .LBB4_330
.LBB4_320:                              ;   in Loop: Header=BB4_137 Depth=2
	s_and_not1_saveexec_b32 s28, s28
	s_cbranch_execz .LBB4_333
.LBB4_321:                              ;   in Loop: Header=BB4_137 Depth=2
	s_mov_b32 s51, exec_lo
	s_mov_b32 s50, exec_lo
	s_waitcnt vmcnt(0)
	v_mbcnt_lo_u32_b32 v5, s51, 0
                                        ; implicit-def: $vgpr6
	s_delay_alu instid0(VALU_DEP_1)
	v_cmpx_eq_u32_e32 0, v5
	s_cbranch_execz .LBB4_323
; %bb.322:                              ;   in Loop: Header=BB4_137 Depth=2
	s_bcnt1_i32_b32 s51, s51
	s_delay_alu instid0(SALU_CYCLE_1)
	v_mov_b32_e32 v6, s51
	global_atomic_add_u32 v6, v27, v6, s[8:9] offset:384 glc
.LBB4_323:                              ;   in Loop: Header=BB4_137 Depth=2
	s_or_b32 exec_lo, exec_lo, s50
	s_waitcnt vmcnt(0)
	v_readfirstlane_b32 s50, v6
	s_and_not1_b32 vcc_lo, exec_lo, s11
	s_delay_alu instid0(VALU_DEP_1)
	v_add_nc_u32_e32 v6, s50, v5
	s_cbranch_vccnz .LBB4_325
; %bb.324:                              ;   in Loop: Header=BB4_137 Depth=2
	v_ashrrev_i32_e32 v5, 31, v4
	s_delay_alu instid0(VALU_DEP_1) | instskip(NEXT) | instid1(VALU_DEP_1)
	v_lshlrev_b64 v[7:8], 2, v[4:5]
	v_add_co_u32 v7, vcc_lo, s16, v7
	s_delay_alu instid0(VALU_DEP_2)
	v_add_co_ci_u32_e32 v8, vcc_lo, s17, v8, vcc_lo
	global_load_b32 v5, v[7:8], off
	s_cbranch_execz .LBB4_326
	s_branch .LBB4_327
.LBB4_325:                              ;   in Loop: Header=BB4_137 Depth=2
                                        ; implicit-def: $vgpr5
.LBB4_326:                              ;   in Loop: Header=BB4_137 Depth=2
	s_waitcnt vmcnt(0)
	v_add_nc_u32_e32 v5, s12, v4
.LBB4_327:                              ;   in Loop: Header=BB4_137 Depth=2
	s_or_b32 s29, s29, exec_lo
	s_or_b32 exec_lo, exec_lo, s28
	s_and_saveexec_b32 s28, s29
	s_cbranch_execnz .LBB4_334
	s_branch .LBB4_335
.LBB4_328:                              ;   in Loop: Header=BB4_137 Depth=2
                                        ; implicit-def: $vgpr5
.LBB4_329:                              ;   in Loop: Header=BB4_137 Depth=2
	s_waitcnt vmcnt(0)
	v_add_nc_u32_e32 v5, s12, v4
.LBB4_330:                              ;   in Loop: Header=BB4_137 Depth=2
	s_mov_b32 s51, exec_lo
.LBB4_331:                              ;   in Loop: Header=BB4_137 Depth=2
	s_or_b32 exec_lo, exec_lo, s50
	s_delay_alu instid0(SALU_CYCLE_1)
	s_and_b32 s50, s51, exec_lo
.LBB4_332:                              ;   in Loop: Header=BB4_137 Depth=2
	s_or_b32 exec_lo, exec_lo, s29
	s_delay_alu instid0(SALU_CYCLE_1)
	s_and_b32 s29, s50, exec_lo
	s_and_not1_saveexec_b32 s28, s28
	s_cbranch_execnz .LBB4_321
.LBB4_333:                              ;   in Loop: Header=BB4_137 Depth=2
	s_or_b32 exec_lo, exec_lo, s28
	s_and_saveexec_b32 s28, s29
	s_cbranch_execz .LBB4_335
.LBB4_334:                              ;   in Loop: Header=BB4_137 Depth=2
	s_waitcnt vmcnt(0)
	v_ashrrev_i32_e32 v7, 31, v6
	s_delay_alu instid0(VALU_DEP_1) | instskip(NEXT) | instid1(VALU_DEP_1)
	v_lshlrev_b64 v[6:7], 2, v[6:7]
	v_add_co_u32 v6, vcc_lo, s13, v6
	s_delay_alu instid0(VALU_DEP_2)
	v_add_co_ci_u32_e32 v7, vcc_lo, s15, v7, vcc_lo
	global_store_b32 v[6:7], v5, off
.LBB4_335:                              ;   in Loop: Header=BB4_137 Depth=2
	s_or_b32 exec_lo, exec_lo, s28
	v_cmp_gt_i32_e32 vcc_lo, 0, v9
	v_add_nc_u32_e32 v7, 1, v4
	s_mov_b32 s29, 0
	s_mov_b32 s28, exec_lo
                                        ; implicit-def: $vgpr6
	s_waitcnt vmcnt(0)
	v_cndmask_b32_e64 v5, 0x7fffffff, 0, vcc_lo
	s_delay_alu instid0(VALU_DEP_1) | instskip(NEXT) | instid1(VALU_DEP_1)
	v_xor_b32_e32 v8, v5, v9
                                        ; implicit-def: $vgpr5
	v_cmpx_ge_u32_e64 v8, v32
	s_xor_b32 s28, exec_lo, s28
	s_cbranch_execz .LBB4_342
; %bb.336:                              ;   in Loop: Header=BB4_137 Depth=2
	s_mov_b32 s50, 0
	s_mov_b32 s29, exec_lo
                                        ; implicit-def: $vgpr5
                                        ; implicit-def: $vgpr6
	v_cmpx_eq_u32_e64 v8, v32
	s_cbranch_execz .LBB4_354
; %bb.337:                              ;   in Loop: Header=BB4_137 Depth=2
	s_mov_b32 s51, exec_lo
	s_mov_b32 s50, exec_lo
	v_mbcnt_lo_u32_b32 v5, s51, 0
                                        ; implicit-def: $vgpr6
	s_delay_alu instid0(VALU_DEP_1)
	v_cmpx_eq_u32_e32 0, v5
	s_cbranch_execz .LBB4_339
; %bb.338:                              ;   in Loop: Header=BB4_137 Depth=2
	s_bcnt1_i32_b32 s51, s51
	s_delay_alu instid0(SALU_CYCLE_1)
	v_mov_b32_e32 v6, s51
	global_atomic_add_u32 v6, v27, v6, s[8:9] offset:512 glc
.LBB4_339:                              ;   in Loop: Header=BB4_137 Depth=2
	s_or_b32 exec_lo, exec_lo, s50
	s_waitcnt vmcnt(0)
	v_readfirstlane_b32 s50, v6
	s_mov_b32 s51, 0
                                        ; implicit-def: $vgpr6
	s_delay_alu instid0(VALU_DEP_1) | instskip(SKIP_1) | instid1(VALU_DEP_1)
	v_add_nc_u32_e32 v8, s50, v5
	s_mov_b32 s50, exec_lo
                                        ; implicit-def: $vgpr5
	v_cmpx_lt_i32_e64 v8, v33
	s_cbranch_execz .LBB4_353
; %bb.340:                              ;   in Loop: Header=BB4_137 Depth=2
	v_xad_u32 v6, v8, -1, s40
	s_and_not1_b32 vcc_lo, exec_lo, s11
	s_cbranch_vccnz .LBB4_350
; %bb.341:                              ;   in Loop: Header=BB4_137 Depth=2
	v_ashrrev_i32_e32 v5, 31, v4
	s_delay_alu instid0(VALU_DEP_1) | instskip(NEXT) | instid1(VALU_DEP_1)
	v_lshlrev_b64 v[8:9], 2, v[4:5]
	v_add_co_u32 v8, vcc_lo, s14, v8
	s_delay_alu instid0(VALU_DEP_2)
	v_add_co_ci_u32_e32 v9, vcc_lo, s21, v9, vcc_lo
	global_load_b32 v5, v[8:9], off
	s_and_not1_b32 vcc_lo, exec_lo, s51
	s_cbranch_vccz .LBB4_351
	s_branch .LBB4_352
.LBB4_342:                              ;   in Loop: Header=BB4_137 Depth=2
	s_and_not1_saveexec_b32 s28, s28
	s_cbranch_execz .LBB4_355
.LBB4_343:                              ;   in Loop: Header=BB4_137 Depth=2
	s_mov_b32 s51, exec_lo
	s_mov_b32 s50, exec_lo
	s_waitcnt vmcnt(0)
	v_mbcnt_lo_u32_b32 v5, s51, 0
                                        ; implicit-def: $vgpr6
	s_delay_alu instid0(VALU_DEP_1)
	v_cmpx_eq_u32_e32 0, v5
	s_cbranch_execz .LBB4_345
; %bb.344:                              ;   in Loop: Header=BB4_137 Depth=2
	s_bcnt1_i32_b32 s51, s51
	s_delay_alu instid0(SALU_CYCLE_1)
	v_mov_b32_e32 v6, s51
	global_atomic_add_u32 v6, v27, v6, s[8:9] offset:384 glc
.LBB4_345:                              ;   in Loop: Header=BB4_137 Depth=2
	s_or_b32 exec_lo, exec_lo, s50
	s_waitcnt vmcnt(0)
	v_readfirstlane_b32 s50, v6
	s_and_not1_b32 vcc_lo, exec_lo, s11
	s_delay_alu instid0(VALU_DEP_1)
	v_add_nc_u32_e32 v6, s50, v5
	s_cbranch_vccnz .LBB4_347
; %bb.346:                              ;   in Loop: Header=BB4_137 Depth=2
	v_ashrrev_i32_e32 v5, 31, v4
	s_delay_alu instid0(VALU_DEP_1) | instskip(NEXT) | instid1(VALU_DEP_1)
	v_lshlrev_b64 v[8:9], 2, v[4:5]
	v_add_co_u32 v8, vcc_lo, s14, v8
	s_delay_alu instid0(VALU_DEP_2)
	v_add_co_ci_u32_e32 v9, vcc_lo, s21, v9, vcc_lo
	global_load_b32 v5, v[8:9], off
	s_cbranch_execz .LBB4_348
	s_branch .LBB4_349
.LBB4_347:                              ;   in Loop: Header=BB4_137 Depth=2
                                        ; implicit-def: $vgpr5
.LBB4_348:                              ;   in Loop: Header=BB4_137 Depth=2
	s_waitcnt vmcnt(0)
	v_add_nc_u32_e32 v5, s12, v7
.LBB4_349:                              ;   in Loop: Header=BB4_137 Depth=2
	s_or_b32 s29, s29, exec_lo
	s_or_b32 exec_lo, exec_lo, s28
	s_and_saveexec_b32 s28, s29
	s_cbranch_execnz .LBB4_356
	s_branch .LBB4_357
.LBB4_350:                              ;   in Loop: Header=BB4_137 Depth=2
                                        ; implicit-def: $vgpr5
.LBB4_351:                              ;   in Loop: Header=BB4_137 Depth=2
	s_waitcnt vmcnt(0)
	v_add_nc_u32_e32 v5, s12, v7
.LBB4_352:                              ;   in Loop: Header=BB4_137 Depth=2
	s_mov_b32 s51, exec_lo
.LBB4_353:                              ;   in Loop: Header=BB4_137 Depth=2
	s_or_b32 exec_lo, exec_lo, s50
	s_delay_alu instid0(SALU_CYCLE_1)
	s_and_b32 s50, s51, exec_lo
.LBB4_354:                              ;   in Loop: Header=BB4_137 Depth=2
	s_or_b32 exec_lo, exec_lo, s29
	s_delay_alu instid0(SALU_CYCLE_1)
	s_and_b32 s29, s50, exec_lo
                                        ; implicit-def: $vgpr7
	s_and_not1_saveexec_b32 s28, s28
	s_cbranch_execnz .LBB4_343
.LBB4_355:                              ;   in Loop: Header=BB4_137 Depth=2
	s_or_b32 exec_lo, exec_lo, s28
	s_and_saveexec_b32 s28, s29
	s_cbranch_execz .LBB4_357
.LBB4_356:                              ;   in Loop: Header=BB4_137 Depth=2
	v_ashrrev_i32_e32 v7, 31, v6
	s_delay_alu instid0(VALU_DEP_1) | instskip(NEXT) | instid1(VALU_DEP_1)
	v_lshlrev_b64 v[6:7], 2, v[6:7]
	v_add_co_u32 v6, vcc_lo, s13, v6
	s_delay_alu instid0(VALU_DEP_2)
	v_add_co_ci_u32_e32 v7, vcc_lo, s15, v7, vcc_lo
	s_waitcnt vmcnt(0)
	global_store_b32 v[6:7], v5, off
.LBB4_357:                              ;   in Loop: Header=BB4_137 Depth=2
	s_or_b32 exec_lo, exec_lo, s28
	v_cmp_gt_i32_e32 vcc_lo, 0, v10
	v_add_nc_u32_e32 v7, 2, v4
	s_mov_b32 s29, 0
	s_mov_b32 s28, exec_lo
                                        ; implicit-def: $vgpr6
	s_waitcnt vmcnt(0)
	v_cndmask_b32_e64 v5, 0x7fffffff, 0, vcc_lo
	s_delay_alu instid0(VALU_DEP_1) | instskip(NEXT) | instid1(VALU_DEP_1)
	v_xor_b32_e32 v8, v5, v10
                                        ; implicit-def: $vgpr5
	v_cmpx_ge_u32_e64 v8, v32
	s_xor_b32 s28, exec_lo, s28
	s_cbranch_execz .LBB4_364
; %bb.358:                              ;   in Loop: Header=BB4_137 Depth=2
	s_mov_b32 s50, 0
	s_mov_b32 s29, exec_lo
                                        ; implicit-def: $vgpr5
                                        ; implicit-def: $vgpr6
	v_cmpx_eq_u32_e64 v8, v32
	s_cbranch_execz .LBB4_376
; %bb.359:                              ;   in Loop: Header=BB4_137 Depth=2
	s_mov_b32 s51, exec_lo
	s_mov_b32 s50, exec_lo
	v_mbcnt_lo_u32_b32 v5, s51, 0
                                        ; implicit-def: $vgpr6
	s_delay_alu instid0(VALU_DEP_1)
	v_cmpx_eq_u32_e32 0, v5
	s_cbranch_execz .LBB4_361
; %bb.360:                              ;   in Loop: Header=BB4_137 Depth=2
	s_bcnt1_i32_b32 s51, s51
	s_delay_alu instid0(SALU_CYCLE_1)
	v_mov_b32_e32 v6, s51
	global_atomic_add_u32 v6, v27, v6, s[8:9] offset:512 glc
.LBB4_361:                              ;   in Loop: Header=BB4_137 Depth=2
	s_or_b32 exec_lo, exec_lo, s50
	s_waitcnt vmcnt(0)
	v_readfirstlane_b32 s50, v6
	s_mov_b32 s51, 0
                                        ; implicit-def: $vgpr6
	s_delay_alu instid0(VALU_DEP_1) | instskip(SKIP_1) | instid1(VALU_DEP_1)
	v_add_nc_u32_e32 v8, s50, v5
	s_mov_b32 s50, exec_lo
                                        ; implicit-def: $vgpr5
	v_cmpx_lt_i32_e64 v8, v33
	s_cbranch_execz .LBB4_375
; %bb.362:                              ;   in Loop: Header=BB4_137 Depth=2
	v_xad_u32 v6, v8, -1, s40
	s_and_not1_b32 vcc_lo, exec_lo, s11
	s_cbranch_vccnz .LBB4_372
; %bb.363:                              ;   in Loop: Header=BB4_137 Depth=2
	v_ashrrev_i32_e32 v5, 31, v4
	s_delay_alu instid0(VALU_DEP_1) | instskip(NEXT) | instid1(VALU_DEP_1)
	v_lshlrev_b64 v[8:9], 2, v[4:5]
	v_add_co_u32 v8, vcc_lo, s34, v8
	s_delay_alu instid0(VALU_DEP_2)
	v_add_co_ci_u32_e32 v9, vcc_lo, s35, v9, vcc_lo
	global_load_b32 v5, v[8:9], off
	s_and_not1_b32 vcc_lo, exec_lo, s51
	s_cbranch_vccz .LBB4_373
	s_branch .LBB4_374
.LBB4_364:                              ;   in Loop: Header=BB4_137 Depth=2
	s_and_not1_saveexec_b32 s28, s28
	s_cbranch_execz .LBB4_377
.LBB4_365:                              ;   in Loop: Header=BB4_137 Depth=2
	s_mov_b32 s51, exec_lo
	s_mov_b32 s50, exec_lo
	s_waitcnt vmcnt(0)
	v_mbcnt_lo_u32_b32 v5, s51, 0
                                        ; implicit-def: $vgpr6
	s_delay_alu instid0(VALU_DEP_1)
	v_cmpx_eq_u32_e32 0, v5
	s_cbranch_execz .LBB4_367
; %bb.366:                              ;   in Loop: Header=BB4_137 Depth=2
	s_bcnt1_i32_b32 s51, s51
	s_delay_alu instid0(SALU_CYCLE_1)
	v_mov_b32_e32 v6, s51
	global_atomic_add_u32 v6, v27, v6, s[8:9] offset:384 glc
.LBB4_367:                              ;   in Loop: Header=BB4_137 Depth=2
	s_or_b32 exec_lo, exec_lo, s50
	s_waitcnt vmcnt(0)
	v_readfirstlane_b32 s50, v6
	s_and_not1_b32 vcc_lo, exec_lo, s11
	s_delay_alu instid0(VALU_DEP_1)
	v_add_nc_u32_e32 v6, s50, v5
	s_cbranch_vccnz .LBB4_369
; %bb.368:                              ;   in Loop: Header=BB4_137 Depth=2
	v_ashrrev_i32_e32 v5, 31, v4
	s_delay_alu instid0(VALU_DEP_1) | instskip(NEXT) | instid1(VALU_DEP_1)
	v_lshlrev_b64 v[8:9], 2, v[4:5]
	v_add_co_u32 v8, vcc_lo, s34, v8
	s_delay_alu instid0(VALU_DEP_2)
	v_add_co_ci_u32_e32 v9, vcc_lo, s35, v9, vcc_lo
	global_load_b32 v5, v[8:9], off
	s_cbranch_execz .LBB4_370
	s_branch .LBB4_371
.LBB4_369:                              ;   in Loop: Header=BB4_137 Depth=2
                                        ; implicit-def: $vgpr5
.LBB4_370:                              ;   in Loop: Header=BB4_137 Depth=2
	s_waitcnt vmcnt(0)
	v_add_nc_u32_e32 v5, s12, v7
.LBB4_371:                              ;   in Loop: Header=BB4_137 Depth=2
	s_or_b32 s29, s29, exec_lo
	s_or_b32 exec_lo, exec_lo, s28
	s_and_saveexec_b32 s28, s29
	s_cbranch_execnz .LBB4_378
	s_branch .LBB4_379
.LBB4_372:                              ;   in Loop: Header=BB4_137 Depth=2
                                        ; implicit-def: $vgpr5
.LBB4_373:                              ;   in Loop: Header=BB4_137 Depth=2
	s_waitcnt vmcnt(0)
	v_add_nc_u32_e32 v5, s12, v7
.LBB4_374:                              ;   in Loop: Header=BB4_137 Depth=2
	s_mov_b32 s51, exec_lo
.LBB4_375:                              ;   in Loop: Header=BB4_137 Depth=2
	s_or_b32 exec_lo, exec_lo, s50
	s_delay_alu instid0(SALU_CYCLE_1)
	s_and_b32 s50, s51, exec_lo
.LBB4_376:                              ;   in Loop: Header=BB4_137 Depth=2
	s_or_b32 exec_lo, exec_lo, s29
	s_delay_alu instid0(SALU_CYCLE_1)
	s_and_b32 s29, s50, exec_lo
                                        ; implicit-def: $vgpr7
	s_and_not1_saveexec_b32 s28, s28
	s_cbranch_execnz .LBB4_365
.LBB4_377:                              ;   in Loop: Header=BB4_137 Depth=2
	s_or_b32 exec_lo, exec_lo, s28
	s_and_saveexec_b32 s28, s29
	s_cbranch_execz .LBB4_379
.LBB4_378:                              ;   in Loop: Header=BB4_137 Depth=2
	v_ashrrev_i32_e32 v7, 31, v6
	s_delay_alu instid0(VALU_DEP_1) | instskip(NEXT) | instid1(VALU_DEP_1)
	v_lshlrev_b64 v[6:7], 2, v[6:7]
	v_add_co_u32 v6, vcc_lo, s13, v6
	s_delay_alu instid0(VALU_DEP_2)
	v_add_co_ci_u32_e32 v7, vcc_lo, s15, v7, vcc_lo
	s_waitcnt vmcnt(0)
	global_store_b32 v[6:7], v5, off
.LBB4_379:                              ;   in Loop: Header=BB4_137 Depth=2
	s_or_b32 exec_lo, exec_lo, s28
	v_cmp_gt_i32_e32 vcc_lo, 0, v11
	v_add_nc_u32_e32 v7, 3, v4
	s_mov_b32 s29, 0
	s_mov_b32 s28, exec_lo
                                        ; implicit-def: $vgpr6
	s_waitcnt vmcnt(0)
	v_cndmask_b32_e64 v5, 0x7fffffff, 0, vcc_lo
	s_delay_alu instid0(VALU_DEP_1) | instskip(NEXT) | instid1(VALU_DEP_1)
	v_xor_b32_e32 v8, v5, v11
                                        ; implicit-def: $vgpr5
	v_cmpx_ge_u32_e64 v8, v32
	s_xor_b32 s28, exec_lo, s28
	s_cbranch_execz .LBB4_386
; %bb.380:                              ;   in Loop: Header=BB4_137 Depth=2
	s_mov_b32 s50, 0
	s_mov_b32 s29, exec_lo
                                        ; implicit-def: $vgpr5
                                        ; implicit-def: $vgpr6
	v_cmpx_eq_u32_e64 v8, v32
	s_cbranch_execz .LBB4_398
; %bb.381:                              ;   in Loop: Header=BB4_137 Depth=2
	s_mov_b32 s51, exec_lo
	s_mov_b32 s50, exec_lo
	v_mbcnt_lo_u32_b32 v5, s51, 0
                                        ; implicit-def: $vgpr6
	s_delay_alu instid0(VALU_DEP_1)
	v_cmpx_eq_u32_e32 0, v5
	s_cbranch_execz .LBB4_383
; %bb.382:                              ;   in Loop: Header=BB4_137 Depth=2
	s_bcnt1_i32_b32 s51, s51
	s_delay_alu instid0(SALU_CYCLE_1)
	v_mov_b32_e32 v6, s51
	global_atomic_add_u32 v6, v27, v6, s[8:9] offset:512 glc
.LBB4_383:                              ;   in Loop: Header=BB4_137 Depth=2
	s_or_b32 exec_lo, exec_lo, s50
	s_waitcnt vmcnt(0)
	v_readfirstlane_b32 s50, v6
	s_mov_b32 s51, 0
                                        ; implicit-def: $vgpr6
	s_delay_alu instid0(VALU_DEP_1) | instskip(SKIP_1) | instid1(VALU_DEP_1)
	v_add_nc_u32_e32 v8, s50, v5
	s_mov_b32 s50, exec_lo
                                        ; implicit-def: $vgpr5
	v_cmpx_lt_i32_e64 v8, v33
	s_cbranch_execz .LBB4_397
; %bb.384:                              ;   in Loop: Header=BB4_137 Depth=2
	v_xad_u32 v6, v8, -1, s40
	s_and_not1_b32 vcc_lo, exec_lo, s11
	s_cbranch_vccnz .LBB4_394
; %bb.385:                              ;   in Loop: Header=BB4_137 Depth=2
	v_ashrrev_i32_e32 v5, 31, v4
	s_delay_alu instid0(VALU_DEP_1) | instskip(NEXT) | instid1(VALU_DEP_1)
	v_lshlrev_b64 v[4:5], 2, v[4:5]
	v_add_co_u32 v4, vcc_lo, s36, v4
	s_delay_alu instid0(VALU_DEP_2)
	v_add_co_ci_u32_e32 v5, vcc_lo, s37, v5, vcc_lo
	global_load_b32 v5, v[4:5], off
	s_and_not1_b32 vcc_lo, exec_lo, s51
	s_cbranch_vccz .LBB4_395
	s_branch .LBB4_396
.LBB4_386:                              ;   in Loop: Header=BB4_137 Depth=2
	s_and_not1_saveexec_b32 s28, s28
	s_cbranch_execz .LBB4_399
.LBB4_387:                              ;   in Loop: Header=BB4_137 Depth=2
	s_mov_b32 s51, exec_lo
	s_mov_b32 s50, exec_lo
	s_waitcnt vmcnt(0)
	v_mbcnt_lo_u32_b32 v5, s51, 0
                                        ; implicit-def: $vgpr6
	s_delay_alu instid0(VALU_DEP_1)
	v_cmpx_eq_u32_e32 0, v5
	s_cbranch_execz .LBB4_389
; %bb.388:                              ;   in Loop: Header=BB4_137 Depth=2
	s_bcnt1_i32_b32 s51, s51
	s_delay_alu instid0(SALU_CYCLE_1)
	v_mov_b32_e32 v6, s51
	global_atomic_add_u32 v6, v27, v6, s[8:9] offset:384 glc
.LBB4_389:                              ;   in Loop: Header=BB4_137 Depth=2
	s_or_b32 exec_lo, exec_lo, s50
	s_waitcnt vmcnt(0)
	v_readfirstlane_b32 s50, v6
	s_and_not1_b32 vcc_lo, exec_lo, s11
	s_delay_alu instid0(VALU_DEP_1)
	v_add_nc_u32_e32 v6, s50, v5
	s_cbranch_vccnz .LBB4_391
; %bb.390:                              ;   in Loop: Header=BB4_137 Depth=2
	v_ashrrev_i32_e32 v5, 31, v4
	s_delay_alu instid0(VALU_DEP_1) | instskip(NEXT) | instid1(VALU_DEP_1)
	v_lshlrev_b64 v[4:5], 2, v[4:5]
	v_add_co_u32 v4, vcc_lo, s36, v4
	s_delay_alu instid0(VALU_DEP_2)
	v_add_co_ci_u32_e32 v5, vcc_lo, s37, v5, vcc_lo
	global_load_b32 v5, v[4:5], off
	s_cbranch_execz .LBB4_392
	s_branch .LBB4_393
.LBB4_391:                              ;   in Loop: Header=BB4_137 Depth=2
                                        ; implicit-def: $vgpr5
.LBB4_392:                              ;   in Loop: Header=BB4_137 Depth=2
	s_waitcnt vmcnt(0)
	v_add_nc_u32_e32 v5, s12, v7
.LBB4_393:                              ;   in Loop: Header=BB4_137 Depth=2
	s_or_b32 s29, s29, exec_lo
	s_or_b32 exec_lo, exec_lo, s28
	s_and_saveexec_b32 s28, s29
	s_cbranch_execnz .LBB4_400
	s_branch .LBB4_401
.LBB4_394:                              ;   in Loop: Header=BB4_137 Depth=2
                                        ; implicit-def: $vgpr5
.LBB4_395:                              ;   in Loop: Header=BB4_137 Depth=2
	s_waitcnt vmcnt(0)
	v_add_nc_u32_e32 v5, s12, v7
.LBB4_396:                              ;   in Loop: Header=BB4_137 Depth=2
	s_mov_b32 s51, exec_lo
.LBB4_397:                              ;   in Loop: Header=BB4_137 Depth=2
	s_or_b32 exec_lo, exec_lo, s50
	s_delay_alu instid0(SALU_CYCLE_1)
	s_and_b32 s50, s51, exec_lo
.LBB4_398:                              ;   in Loop: Header=BB4_137 Depth=2
	s_or_b32 exec_lo, exec_lo, s29
	s_delay_alu instid0(SALU_CYCLE_1)
	s_and_b32 s29, s50, exec_lo
                                        ; implicit-def: $vgpr7
                                        ; implicit-def: $vgpr4
	s_and_not1_saveexec_b32 s28, s28
	s_cbranch_execnz .LBB4_387
.LBB4_399:                              ;   in Loop: Header=BB4_137 Depth=2
	s_or_b32 exec_lo, exec_lo, s28
	s_and_saveexec_b32 s28, s29
	s_cbranch_execz .LBB4_401
.LBB4_400:                              ;   in Loop: Header=BB4_137 Depth=2
	v_ashrrev_i32_e32 v7, 31, v6
	s_delay_alu instid0(VALU_DEP_1) | instskip(NEXT) | instid1(VALU_DEP_1)
	v_lshlrev_b64 v[6:7], 2, v[6:7]
	v_add_co_u32 v6, vcc_lo, s13, v6
	s_delay_alu instid0(VALU_DEP_2)
	v_add_co_ci_u32_e32 v7, vcc_lo, s15, v7, vcc_lo
	s_waitcnt vmcnt(0)
	global_store_b32 v[6:7], v5, off
.LBB4_401:                              ;   in Loop: Header=BB4_137 Depth=2
	s_or_b32 exec_lo, exec_lo, s28
	v_cmp_gt_i32_e32 vcc_lo, 0, v0
	s_mov_b32 s29, 0
	s_mov_b32 s28, exec_lo
                                        ; implicit-def: $vgpr6
	v_cndmask_b32_e64 v4, 0x7fffffff, 0, vcc_lo
	s_waitcnt vmcnt(0)
	s_delay_alu instid0(VALU_DEP_1) | instskip(SKIP_1) | instid1(VALU_DEP_2)
	v_xor_b32_e32 v5, v4, v0
	v_lshl_add_u32 v4, v36, 2, s20
                                        ; implicit-def: $vgpr0
	v_cmpx_ge_u32_e64 v5, v32
	s_xor_b32 s28, exec_lo, s28
	s_cbranch_execz .LBB4_408
; %bb.402:                              ;   in Loop: Header=BB4_137 Depth=2
	s_mov_b32 s50, 0
	s_mov_b32 s29, exec_lo
                                        ; implicit-def: $vgpr0
                                        ; implicit-def: $vgpr6
	v_cmpx_eq_u32_e64 v5, v32
	s_cbranch_execz .LBB4_420
; %bb.403:                              ;   in Loop: Header=BB4_137 Depth=2
	s_mov_b32 s51, exec_lo
	s_mov_b32 s50, exec_lo
	v_mbcnt_lo_u32_b32 v0, s51, 0
                                        ; implicit-def: $vgpr5
	s_delay_alu instid0(VALU_DEP_1)
	v_cmpx_eq_u32_e32 0, v0
	s_cbranch_execz .LBB4_405
; %bb.404:                              ;   in Loop: Header=BB4_137 Depth=2
	s_bcnt1_i32_b32 s51, s51
	s_delay_alu instid0(SALU_CYCLE_1)
	v_mov_b32_e32 v5, s51
	global_atomic_add_u32 v5, v27, v5, s[8:9] offset:512 glc
.LBB4_405:                              ;   in Loop: Header=BB4_137 Depth=2
	s_or_b32 exec_lo, exec_lo, s50
	s_waitcnt vmcnt(0)
	v_readfirstlane_b32 s50, v5
	s_mov_b32 s51, 0
                                        ; implicit-def: $vgpr6
	s_delay_alu instid0(VALU_DEP_1) | instskip(SKIP_1) | instid1(VALU_DEP_1)
	v_add_nc_u32_e32 v5, s50, v0
	s_mov_b32 s50, exec_lo
                                        ; implicit-def: $vgpr0
	v_cmpx_lt_i32_e64 v5, v33
	s_xor_b32 s50, exec_lo, s50
	s_cbranch_execz .LBB4_419
; %bb.406:                              ;   in Loop: Header=BB4_137 Depth=2
	v_xad_u32 v6, v5, -1, s40
	s_and_not1_b32 vcc_lo, exec_lo, s11
	s_cbranch_vccnz .LBB4_416
; %bb.407:                              ;   in Loop: Header=BB4_137 Depth=2
	v_ashrrev_i32_e32 v5, 31, v4
	s_delay_alu instid0(VALU_DEP_1) | instskip(NEXT) | instid1(VALU_DEP_1)
	v_lshlrev_b64 v[7:8], 2, v[4:5]
	v_add_co_u32 v7, vcc_lo, s16, v7
	s_delay_alu instid0(VALU_DEP_2)
	v_add_co_ci_u32_e32 v8, vcc_lo, s17, v8, vcc_lo
	global_load_b32 v0, v[7:8], off
	s_and_not1_b32 vcc_lo, exec_lo, s51
	s_cbranch_vccz .LBB4_417
	s_branch .LBB4_418
.LBB4_408:                              ;   in Loop: Header=BB4_137 Depth=2
	s_and_not1_saveexec_b32 s28, s28
	s_cbranch_execz .LBB4_421
.LBB4_409:                              ;   in Loop: Header=BB4_137 Depth=2
	s_mov_b32 s51, exec_lo
	s_mov_b32 s50, exec_lo
	s_waitcnt vmcnt(0)
	v_mbcnt_lo_u32_b32 v0, s51, 0
                                        ; implicit-def: $vgpr5
	s_delay_alu instid0(VALU_DEP_1)
	v_cmpx_eq_u32_e32 0, v0
	s_cbranch_execz .LBB4_411
; %bb.410:                              ;   in Loop: Header=BB4_137 Depth=2
	s_bcnt1_i32_b32 s51, s51
	s_delay_alu instid0(SALU_CYCLE_1)
	v_mov_b32_e32 v5, s51
	global_atomic_add_u32 v5, v27, v5, s[8:9] offset:384 glc
.LBB4_411:                              ;   in Loop: Header=BB4_137 Depth=2
	s_or_b32 exec_lo, exec_lo, s50
	s_waitcnt vmcnt(0)
	v_readfirstlane_b32 s50, v5
	s_and_not1_b32 vcc_lo, exec_lo, s11
	s_delay_alu instid0(VALU_DEP_1)
	v_add_nc_u32_e32 v6, s50, v0
	s_cbranch_vccnz .LBB4_413
; %bb.412:                              ;   in Loop: Header=BB4_137 Depth=2
	v_ashrrev_i32_e32 v5, 31, v4
	s_delay_alu instid0(VALU_DEP_1) | instskip(NEXT) | instid1(VALU_DEP_1)
	v_lshlrev_b64 v[7:8], 2, v[4:5]
	v_add_co_u32 v7, vcc_lo, s16, v7
	s_delay_alu instid0(VALU_DEP_2)
	v_add_co_ci_u32_e32 v8, vcc_lo, s17, v8, vcc_lo
	global_load_b32 v0, v[7:8], off
	s_cbranch_execz .LBB4_414
	s_branch .LBB4_415
.LBB4_413:                              ;   in Loop: Header=BB4_137 Depth=2
                                        ; implicit-def: $vgpr0
.LBB4_414:                              ;   in Loop: Header=BB4_137 Depth=2
	s_waitcnt vmcnt(0)
	v_add_nc_u32_e32 v0, s12, v4
.LBB4_415:                              ;   in Loop: Header=BB4_137 Depth=2
	s_or_b32 s29, s29, exec_lo
	s_or_b32 exec_lo, exec_lo, s28
	s_and_saveexec_b32 s28, s29
	s_cbranch_execnz .LBB4_422
	s_branch .LBB4_423
.LBB4_416:                              ;   in Loop: Header=BB4_137 Depth=2
                                        ; implicit-def: $vgpr0
.LBB4_417:                              ;   in Loop: Header=BB4_137 Depth=2
	s_waitcnt vmcnt(0)
	v_add_nc_u32_e32 v0, s12, v4
.LBB4_418:                              ;   in Loop: Header=BB4_137 Depth=2
	s_mov_b32 s51, exec_lo
.LBB4_419:                              ;   in Loop: Header=BB4_137 Depth=2
	s_or_b32 exec_lo, exec_lo, s50
	s_delay_alu instid0(SALU_CYCLE_1)
	s_and_b32 s50, s51, exec_lo
.LBB4_420:                              ;   in Loop: Header=BB4_137 Depth=2
	s_or_b32 exec_lo, exec_lo, s29
	s_delay_alu instid0(SALU_CYCLE_1)
	s_and_b32 s29, s50, exec_lo
	s_and_not1_saveexec_b32 s28, s28
	s_cbranch_execnz .LBB4_409
.LBB4_421:                              ;   in Loop: Header=BB4_137 Depth=2
	s_or_b32 exec_lo, exec_lo, s28
	s_and_saveexec_b32 s28, s29
	s_cbranch_execz .LBB4_423
.LBB4_422:                              ;   in Loop: Header=BB4_137 Depth=2
	v_ashrrev_i32_e32 v7, 31, v6
	s_delay_alu instid0(VALU_DEP_1) | instskip(NEXT) | instid1(VALU_DEP_1)
	v_lshlrev_b64 v[5:6], 2, v[6:7]
	v_add_co_u32 v5, vcc_lo, s13, v5
	s_delay_alu instid0(VALU_DEP_2)
	v_add_co_ci_u32_e32 v6, vcc_lo, s15, v6, vcc_lo
	s_waitcnt vmcnt(0)
	global_store_b32 v[5:6], v0, off
.LBB4_423:                              ;   in Loop: Header=BB4_137 Depth=2
	s_or_b32 exec_lo, exec_lo, s28
	v_cmp_gt_i32_e32 vcc_lo, 0, v1
	s_mov_b32 s29, 0
	s_mov_b32 s28, exec_lo
                                        ; implicit-def: $vgpr5
	s_waitcnt vmcnt(0)
	v_cndmask_b32_e64 v0, 0x7fffffff, 0, vcc_lo
	s_delay_alu instid0(VALU_DEP_1) | instskip(SKIP_1) | instid1(VALU_DEP_2)
	v_xor_b32_e32 v6, v0, v1
	v_add_nc_u32_e32 v1, 1, v4
                                        ; implicit-def: $vgpr0
	v_cmpx_ge_u32_e64 v6, v32
	s_xor_b32 s28, exec_lo, s28
	s_cbranch_execz .LBB4_430
; %bb.424:                              ;   in Loop: Header=BB4_137 Depth=2
	s_mov_b32 s50, 0
	s_mov_b32 s29, exec_lo
                                        ; implicit-def: $vgpr5
                                        ; implicit-def: $vgpr0
	v_cmpx_eq_u32_e64 v6, v32
	s_cbranch_execz .LBB4_442
; %bb.425:                              ;   in Loop: Header=BB4_137 Depth=2
	s_mov_b32 s51, exec_lo
	s_mov_b32 s50, exec_lo
	v_mbcnt_lo_u32_b32 v0, s51, 0
                                        ; implicit-def: $vgpr5
	s_delay_alu instid0(VALU_DEP_1)
	v_cmpx_eq_u32_e32 0, v0
	s_cbranch_execz .LBB4_427
; %bb.426:                              ;   in Loop: Header=BB4_137 Depth=2
	s_bcnt1_i32_b32 s51, s51
	s_delay_alu instid0(SALU_CYCLE_1)
	v_mov_b32_e32 v5, s51
	global_atomic_add_u32 v5, v27, v5, s[8:9] offset:512 glc
.LBB4_427:                              ;   in Loop: Header=BB4_137 Depth=2
	s_or_b32 exec_lo, exec_lo, s50
	s_waitcnt vmcnt(0)
	v_readfirstlane_b32 s50, v5
	s_mov_b32 s51, 0
                                        ; implicit-def: $vgpr5
	s_delay_alu instid0(VALU_DEP_1) | instskip(SKIP_1) | instid1(VALU_DEP_1)
	v_add_nc_u32_e32 v6, s50, v0
	s_mov_b32 s50, exec_lo
                                        ; implicit-def: $vgpr0
	v_cmpx_lt_i32_e64 v6, v33
	s_cbranch_execz .LBB4_441
; %bb.428:                              ;   in Loop: Header=BB4_137 Depth=2
	v_xad_u32 v0, v6, -1, s40
	s_and_not1_b32 vcc_lo, exec_lo, s11
	s_cbranch_vccnz .LBB4_438
; %bb.429:                              ;   in Loop: Header=BB4_137 Depth=2
	v_ashrrev_i32_e32 v5, 31, v4
	s_delay_alu instid0(VALU_DEP_1) | instskip(NEXT) | instid1(VALU_DEP_1)
	v_lshlrev_b64 v[5:6], 2, v[4:5]
	v_add_co_u32 v5, vcc_lo, s14, v5
	s_delay_alu instid0(VALU_DEP_2)
	v_add_co_ci_u32_e32 v6, vcc_lo, s21, v6, vcc_lo
	global_load_b32 v5, v[5:6], off
	s_and_not1_b32 vcc_lo, exec_lo, s51
	s_cbranch_vccz .LBB4_439
	s_branch .LBB4_440
.LBB4_430:                              ;   in Loop: Header=BB4_137 Depth=2
	s_and_not1_saveexec_b32 s28, s28
	s_cbranch_execz .LBB4_443
.LBB4_431:                              ;   in Loop: Header=BB4_137 Depth=2
	s_mov_b32 s51, exec_lo
	s_mov_b32 s50, exec_lo
	v_mbcnt_lo_u32_b32 v0, s51, 0
                                        ; implicit-def: $vgpr5
	s_delay_alu instid0(VALU_DEP_1)
	v_cmpx_eq_u32_e32 0, v0
	s_cbranch_execz .LBB4_433
; %bb.432:                              ;   in Loop: Header=BB4_137 Depth=2
	s_bcnt1_i32_b32 s51, s51
	s_waitcnt vmcnt(0)
	v_mov_b32_e32 v5, s51
	global_atomic_add_u32 v5, v27, v5, s[8:9] offset:384 glc
.LBB4_433:                              ;   in Loop: Header=BB4_137 Depth=2
	s_or_b32 exec_lo, exec_lo, s50
	s_waitcnt vmcnt(0)
	v_readfirstlane_b32 s50, v5
	s_and_not1_b32 vcc_lo, exec_lo, s11
	s_delay_alu instid0(VALU_DEP_1)
	v_add_nc_u32_e32 v0, s50, v0
	s_cbranch_vccnz .LBB4_435
; %bb.434:                              ;   in Loop: Header=BB4_137 Depth=2
	v_ashrrev_i32_e32 v5, 31, v4
	s_delay_alu instid0(VALU_DEP_1) | instskip(NEXT) | instid1(VALU_DEP_1)
	v_lshlrev_b64 v[5:6], 2, v[4:5]
	v_add_co_u32 v5, vcc_lo, s14, v5
	s_delay_alu instid0(VALU_DEP_2)
	v_add_co_ci_u32_e32 v6, vcc_lo, s21, v6, vcc_lo
	global_load_b32 v5, v[5:6], off
	s_cbranch_execz .LBB4_436
	s_branch .LBB4_437
.LBB4_435:                              ;   in Loop: Header=BB4_137 Depth=2
                                        ; implicit-def: $vgpr5
.LBB4_436:                              ;   in Loop: Header=BB4_137 Depth=2
	s_waitcnt vmcnt(0)
	v_add_nc_u32_e32 v5, s12, v1
.LBB4_437:                              ;   in Loop: Header=BB4_137 Depth=2
	s_or_b32 s29, s29, exec_lo
	s_or_b32 exec_lo, exec_lo, s28
	s_and_saveexec_b32 s28, s29
	s_cbranch_execnz .LBB4_444
	s_branch .LBB4_445
.LBB4_438:                              ;   in Loop: Header=BB4_137 Depth=2
                                        ; implicit-def: $vgpr5
.LBB4_439:                              ;   in Loop: Header=BB4_137 Depth=2
	s_waitcnt vmcnt(0)
	v_add_nc_u32_e32 v5, s12, v1
.LBB4_440:                              ;   in Loop: Header=BB4_137 Depth=2
	s_mov_b32 s51, exec_lo
.LBB4_441:                              ;   in Loop: Header=BB4_137 Depth=2
	s_or_b32 exec_lo, exec_lo, s50
	s_delay_alu instid0(SALU_CYCLE_1)
	s_and_b32 s50, s51, exec_lo
.LBB4_442:                              ;   in Loop: Header=BB4_137 Depth=2
	s_or_b32 exec_lo, exec_lo, s29
	s_delay_alu instid0(SALU_CYCLE_1)
	s_and_b32 s29, s50, exec_lo
                                        ; implicit-def: $vgpr1
	s_and_not1_saveexec_b32 s28, s28
	s_cbranch_execnz .LBB4_431
.LBB4_443:                              ;   in Loop: Header=BB4_137 Depth=2
	s_or_b32 exec_lo, exec_lo, s28
	s_and_saveexec_b32 s28, s29
	s_cbranch_execz .LBB4_445
.LBB4_444:                              ;   in Loop: Header=BB4_137 Depth=2
	v_ashrrev_i32_e32 v1, 31, v0
	s_delay_alu instid0(VALU_DEP_1) | instskip(NEXT) | instid1(VALU_DEP_1)
	v_lshlrev_b64 v[0:1], 2, v[0:1]
	v_add_co_u32 v0, vcc_lo, s13, v0
	s_delay_alu instid0(VALU_DEP_2)
	v_add_co_ci_u32_e32 v1, vcc_lo, s15, v1, vcc_lo
	s_waitcnt vmcnt(0)
	global_store_b32 v[0:1], v5, off
.LBB4_445:                              ;   in Loop: Header=BB4_137 Depth=2
	s_or_b32 exec_lo, exec_lo, s28
	v_cmp_gt_i32_e32 vcc_lo, 0, v2
	v_add_nc_u32_e32 v1, 2, v4
	s_mov_b32 s29, 0
	s_mov_b32 s28, exec_lo
	v_cndmask_b32_e64 v0, 0x7fffffff, 0, vcc_lo
	s_waitcnt vmcnt(0)
	s_delay_alu instid0(VALU_DEP_1) | instskip(NEXT) | instid1(VALU_DEP_1)
	v_xor_b32_e32 v5, v0, v2
                                        ; implicit-def: $vgpr2
                                        ; implicit-def: $vgpr0
	v_cmpx_ge_u32_e64 v5, v32
	s_xor_b32 s28, exec_lo, s28
	s_cbranch_execz .LBB4_452
; %bb.446:                              ;   in Loop: Header=BB4_137 Depth=2
	s_mov_b32 s50, 0
	s_mov_b32 s29, exec_lo
                                        ; implicit-def: $vgpr2
                                        ; implicit-def: $vgpr0
	v_cmpx_eq_u32_e64 v5, v32
	s_cbranch_execz .LBB4_464
; %bb.447:                              ;   in Loop: Header=BB4_137 Depth=2
	s_mov_b32 s51, exec_lo
	s_mov_b32 s50, exec_lo
	v_mbcnt_lo_u32_b32 v0, s51, 0
                                        ; implicit-def: $vgpr2
	s_delay_alu instid0(VALU_DEP_1)
	v_cmpx_eq_u32_e32 0, v0
	s_cbranch_execz .LBB4_449
; %bb.448:                              ;   in Loop: Header=BB4_137 Depth=2
	s_bcnt1_i32_b32 s51, s51
	s_delay_alu instid0(SALU_CYCLE_1)
	v_mov_b32_e32 v2, s51
	global_atomic_add_u32 v2, v27, v2, s[8:9] offset:512 glc
.LBB4_449:                              ;   in Loop: Header=BB4_137 Depth=2
	s_or_b32 exec_lo, exec_lo, s50
	s_waitcnt vmcnt(0)
	v_readfirstlane_b32 s50, v2
	s_mov_b32 s51, 0
                                        ; implicit-def: $vgpr2
	s_delay_alu instid0(VALU_DEP_1) | instskip(SKIP_1) | instid1(VALU_DEP_1)
	v_add_nc_u32_e32 v5, s50, v0
	s_mov_b32 s50, exec_lo
                                        ; implicit-def: $vgpr0
	v_cmpx_lt_i32_e64 v5, v33
	s_cbranch_execz .LBB4_463
; %bb.450:                              ;   in Loop: Header=BB4_137 Depth=2
	v_xad_u32 v0, v5, -1, s40
	s_and_not1_b32 vcc_lo, exec_lo, s11
	s_cbranch_vccnz .LBB4_460
; %bb.451:                              ;   in Loop: Header=BB4_137 Depth=2
	v_ashrrev_i32_e32 v5, 31, v4
	s_delay_alu instid0(VALU_DEP_1) | instskip(NEXT) | instid1(VALU_DEP_1)
	v_lshlrev_b64 v[5:6], 2, v[4:5]
	v_add_co_u32 v5, vcc_lo, s34, v5
	s_delay_alu instid0(VALU_DEP_2)
	v_add_co_ci_u32_e32 v6, vcc_lo, s35, v6, vcc_lo
	global_load_b32 v2, v[5:6], off
	s_and_not1_b32 vcc_lo, exec_lo, s51
	s_cbranch_vccz .LBB4_461
	s_branch .LBB4_462
.LBB4_452:                              ;   in Loop: Header=BB4_137 Depth=2
	s_and_not1_saveexec_b32 s28, s28
	s_cbranch_execz .LBB4_465
.LBB4_453:                              ;   in Loop: Header=BB4_137 Depth=2
	s_mov_b32 s51, exec_lo
	s_mov_b32 s50, exec_lo
	v_mbcnt_lo_u32_b32 v0, s51, 0
                                        ; implicit-def: $vgpr2
	s_delay_alu instid0(VALU_DEP_1)
	v_cmpx_eq_u32_e32 0, v0
	s_cbranch_execz .LBB4_455
; %bb.454:                              ;   in Loop: Header=BB4_137 Depth=2
	s_bcnt1_i32_b32 s51, s51
	s_waitcnt vmcnt(0)
	v_mov_b32_e32 v2, s51
	global_atomic_add_u32 v2, v27, v2, s[8:9] offset:384 glc
.LBB4_455:                              ;   in Loop: Header=BB4_137 Depth=2
	s_or_b32 exec_lo, exec_lo, s50
	s_waitcnt vmcnt(0)
	v_readfirstlane_b32 s50, v2
	s_and_not1_b32 vcc_lo, exec_lo, s11
	s_delay_alu instid0(VALU_DEP_1)
	v_add_nc_u32_e32 v0, s50, v0
	s_cbranch_vccnz .LBB4_457
; %bb.456:                              ;   in Loop: Header=BB4_137 Depth=2
	v_ashrrev_i32_e32 v5, 31, v4
	s_delay_alu instid0(VALU_DEP_1) | instskip(NEXT) | instid1(VALU_DEP_1)
	v_lshlrev_b64 v[5:6], 2, v[4:5]
	v_add_co_u32 v5, vcc_lo, s34, v5
	s_delay_alu instid0(VALU_DEP_2)
	v_add_co_ci_u32_e32 v6, vcc_lo, s35, v6, vcc_lo
	global_load_b32 v2, v[5:6], off
	s_cbranch_execz .LBB4_458
	s_branch .LBB4_459
.LBB4_457:                              ;   in Loop: Header=BB4_137 Depth=2
                                        ; implicit-def: $vgpr2
.LBB4_458:                              ;   in Loop: Header=BB4_137 Depth=2
	s_waitcnt vmcnt(0)
	v_add_nc_u32_e32 v2, s12, v1
.LBB4_459:                              ;   in Loop: Header=BB4_137 Depth=2
	s_or_b32 s29, s29, exec_lo
	s_or_b32 exec_lo, exec_lo, s28
	s_and_saveexec_b32 s28, s29
	s_cbranch_execnz .LBB4_466
	s_branch .LBB4_467
.LBB4_460:                              ;   in Loop: Header=BB4_137 Depth=2
                                        ; implicit-def: $vgpr2
.LBB4_461:                              ;   in Loop: Header=BB4_137 Depth=2
	s_waitcnt vmcnt(0)
	v_add_nc_u32_e32 v2, s12, v1
.LBB4_462:                              ;   in Loop: Header=BB4_137 Depth=2
	s_mov_b32 s51, exec_lo
.LBB4_463:                              ;   in Loop: Header=BB4_137 Depth=2
	s_or_b32 exec_lo, exec_lo, s50
	s_delay_alu instid0(SALU_CYCLE_1)
	s_and_b32 s50, s51, exec_lo
.LBB4_464:                              ;   in Loop: Header=BB4_137 Depth=2
	s_or_b32 exec_lo, exec_lo, s29
	s_delay_alu instid0(SALU_CYCLE_1)
	s_and_b32 s29, s50, exec_lo
                                        ; implicit-def: $vgpr1
	s_and_not1_saveexec_b32 s28, s28
	s_cbranch_execnz .LBB4_453
.LBB4_465:                              ;   in Loop: Header=BB4_137 Depth=2
	s_or_b32 exec_lo, exec_lo, s28
	s_and_saveexec_b32 s28, s29
	s_cbranch_execz .LBB4_467
.LBB4_466:                              ;   in Loop: Header=BB4_137 Depth=2
	v_ashrrev_i32_e32 v1, 31, v0
	s_delay_alu instid0(VALU_DEP_1) | instskip(NEXT) | instid1(VALU_DEP_1)
	v_lshlrev_b64 v[0:1], 2, v[0:1]
	v_add_co_u32 v0, vcc_lo, s13, v0
	s_delay_alu instid0(VALU_DEP_2)
	v_add_co_ci_u32_e32 v1, vcc_lo, s15, v1, vcc_lo
	s_waitcnt vmcnt(0)
	global_store_b32 v[0:1], v2, off
.LBB4_467:                              ;   in Loop: Header=BB4_137 Depth=2
	s_or_b32 exec_lo, exec_lo, s28
	v_cmp_gt_i32_e32 vcc_lo, 0, v3
	v_add_nc_u32_e32 v1, 3, v4
	s_mov_b32 s29, 0
	s_mov_b32 s28, exec_lo
                                        ; implicit-def: $vgpr2
	v_cndmask_b32_e64 v0, 0x7fffffff, 0, vcc_lo
	s_delay_alu instid0(VALU_DEP_1) | instskip(NEXT) | instid1(VALU_DEP_1)
	v_xor_b32_e32 v3, v0, v3
                                        ; implicit-def: $vgpr0
	v_cmpx_ge_u32_e64 v3, v32
	s_xor_b32 s28, exec_lo, s28
	s_cbranch_execz .LBB4_474
; %bb.468:                              ;   in Loop: Header=BB4_137 Depth=2
	s_mov_b32 s50, 0
	s_mov_b32 s29, exec_lo
                                        ; implicit-def: $vgpr2
                                        ; implicit-def: $vgpr0
	v_cmpx_eq_u32_e64 v3, v32
	s_cbranch_execz .LBB4_486
; %bb.469:                              ;   in Loop: Header=BB4_137 Depth=2
	s_mov_b32 s51, exec_lo
	s_mov_b32 s50, exec_lo
	v_mbcnt_lo_u32_b32 v0, s51, 0
                                        ; implicit-def: $vgpr2
	s_delay_alu instid0(VALU_DEP_1)
	v_cmpx_eq_u32_e32 0, v0
	s_cbranch_execz .LBB4_471
; %bb.470:                              ;   in Loop: Header=BB4_137 Depth=2
	s_bcnt1_i32_b32 s51, s51
	s_waitcnt vmcnt(0)
	v_mov_b32_e32 v2, s51
	global_atomic_add_u32 v2, v27, v2, s[8:9] offset:512 glc
.LBB4_471:                              ;   in Loop: Header=BB4_137 Depth=2
	s_or_b32 exec_lo, exec_lo, s50
	s_waitcnt vmcnt(0)
	v_readfirstlane_b32 s50, v2
	s_mov_b32 s51, 0
                                        ; implicit-def: $vgpr2
	s_delay_alu instid0(VALU_DEP_1) | instskip(SKIP_1) | instid1(VALU_DEP_1)
	v_add_nc_u32_e32 v3, s50, v0
	s_mov_b32 s50, exec_lo
                                        ; implicit-def: $vgpr0
	v_cmpx_lt_i32_e64 v3, v33
	s_cbranch_execz .LBB4_485
; %bb.472:                              ;   in Loop: Header=BB4_137 Depth=2
	v_xad_u32 v0, v3, -1, s40
	s_and_not1_b32 vcc_lo, exec_lo, s11
	s_cbranch_vccnz .LBB4_482
; %bb.473:                              ;   in Loop: Header=BB4_137 Depth=2
	v_ashrrev_i32_e32 v5, 31, v4
	s_delay_alu instid0(VALU_DEP_1) | instskip(NEXT) | instid1(VALU_DEP_1)
	v_lshlrev_b64 v[2:3], 2, v[4:5]
	v_add_co_u32 v2, vcc_lo, s36, v2
	s_delay_alu instid0(VALU_DEP_2)
	v_add_co_ci_u32_e32 v3, vcc_lo, s37, v3, vcc_lo
	global_load_b32 v2, v[2:3], off
	s_and_not1_b32 vcc_lo, exec_lo, s51
	s_cbranch_vccz .LBB4_483
	s_branch .LBB4_484
.LBB4_474:                              ;   in Loop: Header=BB4_137 Depth=2
	s_and_not1_saveexec_b32 s28, s28
	s_cbranch_execz .LBB4_487
.LBB4_475:                              ;   in Loop: Header=BB4_137 Depth=2
	s_mov_b32 s51, exec_lo
	s_mov_b32 s50, exec_lo
	v_mbcnt_lo_u32_b32 v0, s51, 0
                                        ; implicit-def: $vgpr2
	s_delay_alu instid0(VALU_DEP_1)
	v_cmpx_eq_u32_e32 0, v0
	s_cbranch_execz .LBB4_477
; %bb.476:                              ;   in Loop: Header=BB4_137 Depth=2
	s_bcnt1_i32_b32 s51, s51
	s_waitcnt vmcnt(0)
	v_mov_b32_e32 v2, s51
	global_atomic_add_u32 v2, v27, v2, s[8:9] offset:384 glc
.LBB4_477:                              ;   in Loop: Header=BB4_137 Depth=2
	s_or_b32 exec_lo, exec_lo, s50
	s_waitcnt vmcnt(0)
	v_readfirstlane_b32 s50, v2
	s_and_not1_b32 vcc_lo, exec_lo, s11
	s_delay_alu instid0(VALU_DEP_1)
	v_add_nc_u32_e32 v0, s50, v0
	s_cbranch_vccnz .LBB4_479
; %bb.478:                              ;   in Loop: Header=BB4_137 Depth=2
	v_ashrrev_i32_e32 v5, 31, v4
	s_delay_alu instid0(VALU_DEP_1) | instskip(NEXT) | instid1(VALU_DEP_1)
	v_lshlrev_b64 v[2:3], 2, v[4:5]
	v_add_co_u32 v2, vcc_lo, s36, v2
	s_delay_alu instid0(VALU_DEP_2)
	v_add_co_ci_u32_e32 v3, vcc_lo, s37, v3, vcc_lo
	global_load_b32 v2, v[2:3], off
	s_cbranch_execz .LBB4_480
	s_branch .LBB4_481
.LBB4_479:                              ;   in Loop: Header=BB4_137 Depth=2
                                        ; implicit-def: $vgpr2
.LBB4_480:                              ;   in Loop: Header=BB4_137 Depth=2
	s_waitcnt vmcnt(0)
	v_add_nc_u32_e32 v2, s12, v1
.LBB4_481:                              ;   in Loop: Header=BB4_137 Depth=2
	s_or_b32 s29, s29, exec_lo
	s_or_b32 exec_lo, exec_lo, s28
	s_and_saveexec_b32 s28, s29
	s_cbranch_execz .LBB4_136
	s_branch .LBB4_488
.LBB4_482:                              ;   in Loop: Header=BB4_137 Depth=2
                                        ; implicit-def: $vgpr2
.LBB4_483:                              ;   in Loop: Header=BB4_137 Depth=2
	s_waitcnt vmcnt(0)
	v_add_nc_u32_e32 v2, s12, v1
.LBB4_484:                              ;   in Loop: Header=BB4_137 Depth=2
	s_mov_b32 s51, exec_lo
.LBB4_485:                              ;   in Loop: Header=BB4_137 Depth=2
	s_or_b32 exec_lo, exec_lo, s50
	s_delay_alu instid0(SALU_CYCLE_1)
	s_and_b32 s50, s51, exec_lo
.LBB4_486:                              ;   in Loop: Header=BB4_137 Depth=2
	s_or_b32 exec_lo, exec_lo, s29
	s_delay_alu instid0(SALU_CYCLE_1)
	s_and_b32 s29, s50, exec_lo
                                        ; implicit-def: $vgpr1
                                        ; implicit-def: $vgpr4
	s_and_not1_saveexec_b32 s28, s28
	s_cbranch_execnz .LBB4_475
.LBB4_487:                              ;   in Loop: Header=BB4_137 Depth=2
	s_or_b32 exec_lo, exec_lo, s28
	s_and_saveexec_b32 s28, s29
	s_cbranch_execz .LBB4_136
.LBB4_488:                              ;   in Loop: Header=BB4_137 Depth=2
	v_ashrrev_i32_e32 v1, 31, v0
	s_delay_alu instid0(VALU_DEP_1) | instskip(NEXT) | instid1(VALU_DEP_1)
	v_lshlrev_b64 v[0:1], 2, v[0:1]
	v_add_co_u32 v0, vcc_lo, s13, v0
	s_delay_alu instid0(VALU_DEP_2)
	v_add_co_ci_u32_e32 v1, vcc_lo, s15, v1, vcc_lo
	s_waitcnt vmcnt(0)
	global_store_b32 v[0:1], v2, off
	s_branch .LBB4_136
.LBB4_489:                              ;   in Loop: Header=BB4_20 Depth=1
	s_or_b32 exec_lo, exec_lo, s27
.LBB4_490:                              ;   in Loop: Header=BB4_20 Depth=1
	s_delay_alu instid0(SALU_CYCLE_1) | instskip(NEXT) | instid1(SALU_CYCLE_1)
	s_or_b32 exec_lo, exec_lo, s6
	s_mov_b32 s6, exec_lo
	v_cmpx_gt_i32_e64 s18, v34
	s_cbranch_execz .LBB4_581
; %bb.491:                              ;   in Loop: Header=BB4_20 Depth=1
	v_lshl_add_u32 v4, v34, 2, s20
	s_mov_b32 s27, 0
	s_branch .LBB4_493
.LBB4_492:                              ;   in Loop: Header=BB4_493 Depth=2
	s_or_b32 exec_lo, exec_lo, s28
	v_add_nc_u32_e32 v34, s10, v34
	v_add_nc_u32_e32 v4, s33, v4
	s_delay_alu instid0(VALU_DEP_2) | instskip(SKIP_1) | instid1(SALU_CYCLE_1)
	v_cmp_le_i32_e32 vcc_lo, s18, v34
	s_or_b32 s27, vcc_lo, s27
	s_and_not1_b32 exec_lo, exec_lo, s27
	s_cbranch_execz .LBB4_581
.LBB4_493:                              ;   Parent Loop BB4_20 Depth=1
                                        ; =>  This Inner Loop Header: Depth=2
	v_ashrrev_i32_e32 v35, 31, v34
	v_lshl_add_u32 v8, v34, 2, s20
	s_mov_b32 s29, 0
	s_mov_b32 s28, exec_lo
                                        ; implicit-def: $vgpr6
	s_delay_alu instid0(VALU_DEP_2) | instskip(NEXT) | instid1(VALU_DEP_1)
	v_lshlrev_b64 v[0:1], 4, v[34:35]
	v_add_co_u32 v0, vcc_lo, s30, v0
	s_delay_alu instid0(VALU_DEP_2) | instskip(SKIP_4) | instid1(VALU_DEP_1)
	v_add_co_ci_u32_e32 v1, vcc_lo, s31, v1, vcc_lo
	global_load_b128 v[0:3], v[0:1], off
	s_waitcnt vmcnt(0)
	v_cmp_gt_i32_e32 vcc_lo, 0, v0
	v_cndmask_b32_e64 v5, 0x7fffffff, 0, vcc_lo
	v_xor_b32_e32 v5, v5, v0
                                        ; implicit-def: $vgpr0
	s_waitcnt lgkmcnt(0)
	s_delay_alu instid0(VALU_DEP_1)
	v_cmpx_ge_u32_e64 v5, v32
	s_xor_b32 s28, exec_lo, s28
	s_cbranch_execz .LBB4_500
; %bb.494:                              ;   in Loop: Header=BB4_493 Depth=2
	s_mov_b32 s50, 0
	s_mov_b32 s29, exec_lo
                                        ; implicit-def: $vgpr0
                                        ; implicit-def: $vgpr6
	v_cmpx_eq_u32_e64 v5, v32
	s_cbranch_execz .LBB4_512
; %bb.495:                              ;   in Loop: Header=BB4_493 Depth=2
	s_mov_b32 s51, exec_lo
	s_mov_b32 s50, exec_lo
	v_mbcnt_lo_u32_b32 v0, s51, 0
                                        ; implicit-def: $vgpr5
	s_delay_alu instid0(VALU_DEP_1)
	v_cmpx_eq_u32_e32 0, v0
	s_cbranch_execz .LBB4_497
; %bb.496:                              ;   in Loop: Header=BB4_493 Depth=2
	s_bcnt1_i32_b32 s51, s51
	s_delay_alu instid0(SALU_CYCLE_1)
	v_mov_b32_e32 v5, s51
	global_atomic_add_u32 v5, v27, v5, s[8:9] offset:512 glc
.LBB4_497:                              ;   in Loop: Header=BB4_493 Depth=2
	s_or_b32 exec_lo, exec_lo, s50
	s_waitcnt vmcnt(0)
	v_readfirstlane_b32 s50, v5
	s_mov_b32 s51, 0
                                        ; implicit-def: $vgpr6
	s_delay_alu instid0(VALU_DEP_1) | instskip(SKIP_1) | instid1(VALU_DEP_1)
	v_add_nc_u32_e32 v5, s50, v0
	s_mov_b32 s50, exec_lo
                                        ; implicit-def: $vgpr0
	v_cmpx_lt_i32_e64 v5, v33
	s_xor_b32 s50, exec_lo, s50
	s_cbranch_execz .LBB4_511
; %bb.498:                              ;   in Loop: Header=BB4_493 Depth=2
	v_xad_u32 v6, v5, -1, s40
	s_and_not1_b32 vcc_lo, exec_lo, s11
	s_cbranch_vccnz .LBB4_508
; %bb.499:                              ;   in Loop: Header=BB4_493 Depth=2
	v_ashrrev_i32_e32 v5, 31, v4
	s_delay_alu instid0(VALU_DEP_1) | instskip(NEXT) | instid1(VALU_DEP_1)
	v_lshlrev_b64 v[9:10], 2, v[4:5]
	v_add_co_u32 v9, vcc_lo, s16, v9
	s_delay_alu instid0(VALU_DEP_2)
	v_add_co_ci_u32_e32 v10, vcc_lo, s17, v10, vcc_lo
	global_load_b32 v0, v[9:10], off
	s_and_not1_b32 vcc_lo, exec_lo, s51
	s_cbranch_vccz .LBB4_509
	s_branch .LBB4_510
.LBB4_500:                              ;   in Loop: Header=BB4_493 Depth=2
	s_and_not1_saveexec_b32 s28, s28
	s_cbranch_execz .LBB4_513
.LBB4_501:                              ;   in Loop: Header=BB4_493 Depth=2
	s_mov_b32 s51, exec_lo
	s_mov_b32 s50, exec_lo
	s_waitcnt vmcnt(0)
	v_mbcnt_lo_u32_b32 v0, s51, 0
                                        ; implicit-def: $vgpr5
	s_delay_alu instid0(VALU_DEP_1)
	v_cmpx_eq_u32_e32 0, v0
	s_cbranch_execz .LBB4_503
; %bb.502:                              ;   in Loop: Header=BB4_493 Depth=2
	s_bcnt1_i32_b32 s51, s51
	s_delay_alu instid0(SALU_CYCLE_1)
	v_mov_b32_e32 v5, s51
	global_atomic_add_u32 v5, v27, v5, s[8:9] offset:384 glc
.LBB4_503:                              ;   in Loop: Header=BB4_493 Depth=2
	s_or_b32 exec_lo, exec_lo, s50
	s_waitcnt vmcnt(0)
	v_readfirstlane_b32 s50, v5
	s_and_not1_b32 vcc_lo, exec_lo, s11
	s_delay_alu instid0(VALU_DEP_1)
	v_add_nc_u32_e32 v6, s50, v0
	s_cbranch_vccnz .LBB4_505
; %bb.504:                              ;   in Loop: Header=BB4_493 Depth=2
	v_ashrrev_i32_e32 v5, 31, v4
	s_delay_alu instid0(VALU_DEP_1) | instskip(NEXT) | instid1(VALU_DEP_1)
	v_lshlrev_b64 v[9:10], 2, v[4:5]
	v_add_co_u32 v9, vcc_lo, s16, v9
	s_delay_alu instid0(VALU_DEP_2)
	v_add_co_ci_u32_e32 v10, vcc_lo, s17, v10, vcc_lo
	global_load_b32 v0, v[9:10], off
	s_cbranch_execz .LBB4_506
	s_branch .LBB4_507
.LBB4_505:                              ;   in Loop: Header=BB4_493 Depth=2
                                        ; implicit-def: $vgpr0
.LBB4_506:                              ;   in Loop: Header=BB4_493 Depth=2
	s_waitcnt vmcnt(0)
	v_add_nc_u32_e32 v0, s12, v4
.LBB4_507:                              ;   in Loop: Header=BB4_493 Depth=2
	s_or_b32 s29, s29, exec_lo
	s_or_b32 exec_lo, exec_lo, s28
	s_and_saveexec_b32 s28, s29
	s_cbranch_execnz .LBB4_514
	s_branch .LBB4_515
.LBB4_508:                              ;   in Loop: Header=BB4_493 Depth=2
                                        ; implicit-def: $vgpr0
.LBB4_509:                              ;   in Loop: Header=BB4_493 Depth=2
	s_waitcnt vmcnt(0)
	v_add_nc_u32_e32 v0, s12, v8
.LBB4_510:                              ;   in Loop: Header=BB4_493 Depth=2
	s_mov_b32 s51, exec_lo
.LBB4_511:                              ;   in Loop: Header=BB4_493 Depth=2
	s_or_b32 exec_lo, exec_lo, s50
	s_delay_alu instid0(SALU_CYCLE_1)
	s_and_b32 s50, s51, exec_lo
.LBB4_512:                              ;   in Loop: Header=BB4_493 Depth=2
	s_or_b32 exec_lo, exec_lo, s29
	s_delay_alu instid0(SALU_CYCLE_1)
	s_and_b32 s29, s50, exec_lo
	s_and_not1_saveexec_b32 s28, s28
	s_cbranch_execnz .LBB4_501
.LBB4_513:                              ;   in Loop: Header=BB4_493 Depth=2
	s_or_b32 exec_lo, exec_lo, s28
	s_and_saveexec_b32 s28, s29
	s_cbranch_execz .LBB4_515
.LBB4_514:                              ;   in Loop: Header=BB4_493 Depth=2
	v_ashrrev_i32_e32 v7, 31, v6
	s_delay_alu instid0(VALU_DEP_1) | instskip(NEXT) | instid1(VALU_DEP_1)
	v_lshlrev_b64 v[5:6], 2, v[6:7]
	v_add_co_u32 v5, vcc_lo, s13, v5
	s_delay_alu instid0(VALU_DEP_2)
	v_add_co_ci_u32_e32 v6, vcc_lo, s15, v6, vcc_lo
	s_waitcnt vmcnt(0)
	global_store_b32 v[5:6], v0, off
.LBB4_515:                              ;   in Loop: Header=BB4_493 Depth=2
	s_or_b32 exec_lo, exec_lo, s28
	v_cmp_gt_i32_e32 vcc_lo, 0, v1
	s_mov_b32 s29, 0
	s_mov_b32 s28, exec_lo
                                        ; implicit-def: $vgpr5
	s_waitcnt vmcnt(0)
	v_cndmask_b32_e64 v0, 0x7fffffff, 0, vcc_lo
	s_delay_alu instid0(VALU_DEP_1) | instskip(NEXT) | instid1(VALU_DEP_1)
	v_xor_b32_e32 v1, v0, v1
                                        ; implicit-def: $vgpr0
	v_cmpx_ge_u32_e64 v1, v32
	s_xor_b32 s28, exec_lo, s28
	s_cbranch_execz .LBB4_522
; %bb.516:                              ;   in Loop: Header=BB4_493 Depth=2
	s_mov_b32 s50, 0
	s_mov_b32 s29, exec_lo
                                        ; implicit-def: $vgpr5
                                        ; implicit-def: $vgpr0
	v_cmpx_eq_u32_e64 v1, v32
	s_cbranch_execz .LBB4_534
; %bb.517:                              ;   in Loop: Header=BB4_493 Depth=2
	s_mov_b32 s51, exec_lo
	s_mov_b32 s50, exec_lo
	v_mbcnt_lo_u32_b32 v0, s51, 0
                                        ; implicit-def: $vgpr1
	s_delay_alu instid0(VALU_DEP_1)
	v_cmpx_eq_u32_e32 0, v0
	s_cbranch_execz .LBB4_519
; %bb.518:                              ;   in Loop: Header=BB4_493 Depth=2
	s_bcnt1_i32_b32 s51, s51
	s_delay_alu instid0(SALU_CYCLE_1)
	v_mov_b32_e32 v1, s51
	global_atomic_add_u32 v1, v27, v1, s[8:9] offset:512 glc
.LBB4_519:                              ;   in Loop: Header=BB4_493 Depth=2
	s_or_b32 exec_lo, exec_lo, s50
	s_waitcnt vmcnt(0)
	v_readfirstlane_b32 s50, v1
	s_mov_b32 s51, 0
                                        ; implicit-def: $vgpr5
	s_delay_alu instid0(VALU_DEP_1) | instskip(SKIP_1) | instid1(VALU_DEP_1)
	v_add_nc_u32_e32 v1, s50, v0
	s_mov_b32 s50, exec_lo
                                        ; implicit-def: $vgpr0
	v_cmpx_lt_i32_e64 v1, v33
	s_cbranch_execz .LBB4_533
; %bb.520:                              ;   in Loop: Header=BB4_493 Depth=2
	v_xad_u32 v0, v1, -1, s40
	s_and_not1_b32 vcc_lo, exec_lo, s11
	s_cbranch_vccnz .LBB4_530
; %bb.521:                              ;   in Loop: Header=BB4_493 Depth=2
	v_ashrrev_i32_e32 v5, 31, v4
	s_delay_alu instid0(VALU_DEP_1) | instskip(NEXT) | instid1(VALU_DEP_1)
	v_lshlrev_b64 v[5:6], 2, v[4:5]
	v_add_co_u32 v5, vcc_lo, s14, v5
	s_delay_alu instid0(VALU_DEP_2)
	v_add_co_ci_u32_e32 v6, vcc_lo, s21, v6, vcc_lo
	global_load_b32 v5, v[5:6], off
	s_and_not1_b32 vcc_lo, exec_lo, s51
	s_cbranch_vccz .LBB4_531
	s_branch .LBB4_532
.LBB4_522:                              ;   in Loop: Header=BB4_493 Depth=2
	s_and_not1_saveexec_b32 s28, s28
	s_cbranch_execz .LBB4_535
.LBB4_523:                              ;   in Loop: Header=BB4_493 Depth=2
	s_mov_b32 s51, exec_lo
	s_mov_b32 s50, exec_lo
	v_mbcnt_lo_u32_b32 v0, s51, 0
                                        ; implicit-def: $vgpr1
	s_delay_alu instid0(VALU_DEP_1)
	v_cmpx_eq_u32_e32 0, v0
	s_cbranch_execz .LBB4_525
; %bb.524:                              ;   in Loop: Header=BB4_493 Depth=2
	s_bcnt1_i32_b32 s51, s51
	s_delay_alu instid0(SALU_CYCLE_1)
	v_mov_b32_e32 v1, s51
	global_atomic_add_u32 v1, v27, v1, s[8:9] offset:384 glc
.LBB4_525:                              ;   in Loop: Header=BB4_493 Depth=2
	s_or_b32 exec_lo, exec_lo, s50
	s_waitcnt vmcnt(0)
	v_readfirstlane_b32 s50, v1
	s_and_not1_b32 vcc_lo, exec_lo, s11
	s_delay_alu instid0(VALU_DEP_1)
	v_add_nc_u32_e32 v0, s50, v0
	s_cbranch_vccnz .LBB4_527
; %bb.526:                              ;   in Loop: Header=BB4_493 Depth=2
	v_ashrrev_i32_e32 v5, 31, v4
	s_delay_alu instid0(VALU_DEP_1) | instskip(NEXT) | instid1(VALU_DEP_1)
	v_lshlrev_b64 v[5:6], 2, v[4:5]
	v_add_co_u32 v5, vcc_lo, s14, v5
	s_delay_alu instid0(VALU_DEP_2)
	v_add_co_ci_u32_e32 v6, vcc_lo, s21, v6, vcc_lo
	global_load_b32 v5, v[5:6], off
	s_cbranch_execz .LBB4_528
	s_branch .LBB4_529
.LBB4_527:                              ;   in Loop: Header=BB4_493 Depth=2
                                        ; implicit-def: $vgpr5
.LBB4_528:                              ;   in Loop: Header=BB4_493 Depth=2
	s_waitcnt vmcnt(0)
	v_add3_u32 v5, s12, v4, 1
.LBB4_529:                              ;   in Loop: Header=BB4_493 Depth=2
	s_or_b32 s29, s29, exec_lo
	s_or_b32 exec_lo, exec_lo, s28
	s_and_saveexec_b32 s28, s29
	s_cbranch_execnz .LBB4_536
	s_branch .LBB4_537
.LBB4_530:                              ;   in Loop: Header=BB4_493 Depth=2
                                        ; implicit-def: $vgpr5
.LBB4_531:                              ;   in Loop: Header=BB4_493 Depth=2
	s_waitcnt vmcnt(0)
	v_add3_u32 v5, v8, s12, 1
.LBB4_532:                              ;   in Loop: Header=BB4_493 Depth=2
	s_mov_b32 s51, exec_lo
.LBB4_533:                              ;   in Loop: Header=BB4_493 Depth=2
	s_or_b32 exec_lo, exec_lo, s50
	s_delay_alu instid0(SALU_CYCLE_1)
	s_and_b32 s50, s51, exec_lo
.LBB4_534:                              ;   in Loop: Header=BB4_493 Depth=2
	s_or_b32 exec_lo, exec_lo, s29
	s_delay_alu instid0(SALU_CYCLE_1)
	s_and_b32 s29, s50, exec_lo
	s_and_not1_saveexec_b32 s28, s28
	s_cbranch_execnz .LBB4_523
.LBB4_535:                              ;   in Loop: Header=BB4_493 Depth=2
	s_or_b32 exec_lo, exec_lo, s28
	s_and_saveexec_b32 s28, s29
	s_cbranch_execz .LBB4_537
.LBB4_536:                              ;   in Loop: Header=BB4_493 Depth=2
	v_ashrrev_i32_e32 v1, 31, v0
	s_delay_alu instid0(VALU_DEP_1) | instskip(NEXT) | instid1(VALU_DEP_1)
	v_lshlrev_b64 v[0:1], 2, v[0:1]
	v_add_co_u32 v0, vcc_lo, s13, v0
	s_delay_alu instid0(VALU_DEP_2)
	v_add_co_ci_u32_e32 v1, vcc_lo, s15, v1, vcc_lo
	s_waitcnt vmcnt(0)
	global_store_b32 v[0:1], v5, off
.LBB4_537:                              ;   in Loop: Header=BB4_493 Depth=2
	s_or_b32 exec_lo, exec_lo, s28
	v_cmp_gt_i32_e32 vcc_lo, 0, v2
	s_mov_b32 s29, 0
	s_mov_b32 s28, exec_lo
	v_cndmask_b32_e64 v0, 0x7fffffff, 0, vcc_lo
	s_delay_alu instid0(VALU_DEP_1) | instskip(NEXT) | instid1(VALU_DEP_1)
	v_xor_b32_e32 v1, v0, v2
                                        ; implicit-def: $vgpr2
                                        ; implicit-def: $vgpr0
	v_cmpx_ge_u32_e64 v1, v32
	s_xor_b32 s28, exec_lo, s28
	s_cbranch_execz .LBB4_544
; %bb.538:                              ;   in Loop: Header=BB4_493 Depth=2
	s_mov_b32 s50, 0
	s_mov_b32 s29, exec_lo
                                        ; implicit-def: $vgpr2
                                        ; implicit-def: $vgpr0
	v_cmpx_eq_u32_e64 v1, v32
	s_cbranch_execz .LBB4_556
; %bb.539:                              ;   in Loop: Header=BB4_493 Depth=2
	s_mov_b32 s51, exec_lo
	s_mov_b32 s50, exec_lo
	v_mbcnt_lo_u32_b32 v0, s51, 0
                                        ; implicit-def: $vgpr1
	s_delay_alu instid0(VALU_DEP_1)
	v_cmpx_eq_u32_e32 0, v0
	s_cbranch_execz .LBB4_541
; %bb.540:                              ;   in Loop: Header=BB4_493 Depth=2
	s_bcnt1_i32_b32 s51, s51
	s_delay_alu instid0(SALU_CYCLE_1)
	v_mov_b32_e32 v1, s51
	global_atomic_add_u32 v1, v27, v1, s[8:9] offset:512 glc
.LBB4_541:                              ;   in Loop: Header=BB4_493 Depth=2
	s_or_b32 exec_lo, exec_lo, s50
	s_waitcnt vmcnt(0)
	v_readfirstlane_b32 s50, v1
	s_mov_b32 s51, 0
                                        ; implicit-def: $vgpr2
	s_delay_alu instid0(VALU_DEP_1) | instskip(SKIP_1) | instid1(VALU_DEP_1)
	v_add_nc_u32_e32 v1, s50, v0
	s_mov_b32 s50, exec_lo
                                        ; implicit-def: $vgpr0
	v_cmpx_lt_i32_e64 v1, v33
	s_cbranch_execz .LBB4_555
; %bb.542:                              ;   in Loop: Header=BB4_493 Depth=2
	v_xad_u32 v0, v1, -1, s40
	s_and_not1_b32 vcc_lo, exec_lo, s11
	s_cbranch_vccnz .LBB4_552
; %bb.543:                              ;   in Loop: Header=BB4_493 Depth=2
	v_ashrrev_i32_e32 v5, 31, v4
	s_delay_alu instid0(VALU_DEP_1) | instskip(NEXT) | instid1(VALU_DEP_1)
	v_lshlrev_b64 v[1:2], 2, v[4:5]
	v_add_co_u32 v1, vcc_lo, s34, v1
	s_delay_alu instid0(VALU_DEP_2)
	v_add_co_ci_u32_e32 v2, vcc_lo, s35, v2, vcc_lo
	global_load_b32 v2, v[1:2], off
	s_and_not1_b32 vcc_lo, exec_lo, s51
	s_cbranch_vccz .LBB4_553
	s_branch .LBB4_554
.LBB4_544:                              ;   in Loop: Header=BB4_493 Depth=2
	s_and_not1_saveexec_b32 s28, s28
	s_cbranch_execz .LBB4_557
.LBB4_545:                              ;   in Loop: Header=BB4_493 Depth=2
	s_mov_b32 s51, exec_lo
	s_mov_b32 s50, exec_lo
	v_mbcnt_lo_u32_b32 v0, s51, 0
                                        ; implicit-def: $vgpr1
	s_delay_alu instid0(VALU_DEP_1)
	v_cmpx_eq_u32_e32 0, v0
	s_cbranch_execz .LBB4_547
; %bb.546:                              ;   in Loop: Header=BB4_493 Depth=2
	s_bcnt1_i32_b32 s51, s51
	s_delay_alu instid0(SALU_CYCLE_1)
	v_mov_b32_e32 v1, s51
	global_atomic_add_u32 v1, v27, v1, s[8:9] offset:384 glc
.LBB4_547:                              ;   in Loop: Header=BB4_493 Depth=2
	s_or_b32 exec_lo, exec_lo, s50
	s_waitcnt vmcnt(0)
	v_readfirstlane_b32 s50, v1
	s_and_not1_b32 vcc_lo, exec_lo, s11
	s_delay_alu instid0(VALU_DEP_1)
	v_add_nc_u32_e32 v0, s50, v0
	s_cbranch_vccnz .LBB4_549
; %bb.548:                              ;   in Loop: Header=BB4_493 Depth=2
	v_ashrrev_i32_e32 v5, 31, v4
	s_delay_alu instid0(VALU_DEP_1) | instskip(NEXT) | instid1(VALU_DEP_1)
	v_lshlrev_b64 v[1:2], 2, v[4:5]
	v_add_co_u32 v1, vcc_lo, s34, v1
	s_delay_alu instid0(VALU_DEP_2)
	v_add_co_ci_u32_e32 v2, vcc_lo, s35, v2, vcc_lo
	global_load_b32 v2, v[1:2], off
	s_cbranch_execz .LBB4_550
	s_branch .LBB4_551
.LBB4_549:                              ;   in Loop: Header=BB4_493 Depth=2
                                        ; implicit-def: $vgpr2
.LBB4_550:                              ;   in Loop: Header=BB4_493 Depth=2
	s_waitcnt vmcnt(0)
	v_add3_u32 v2, s12, v4, 2
.LBB4_551:                              ;   in Loop: Header=BB4_493 Depth=2
	s_or_b32 s29, s29, exec_lo
	s_or_b32 exec_lo, exec_lo, s28
	s_and_saveexec_b32 s28, s29
	s_cbranch_execnz .LBB4_558
	s_branch .LBB4_559
.LBB4_552:                              ;   in Loop: Header=BB4_493 Depth=2
                                        ; implicit-def: $vgpr2
.LBB4_553:                              ;   in Loop: Header=BB4_493 Depth=2
	s_waitcnt vmcnt(0)
	v_add3_u32 v2, v8, s12, 2
.LBB4_554:                              ;   in Loop: Header=BB4_493 Depth=2
	s_mov_b32 s51, exec_lo
.LBB4_555:                              ;   in Loop: Header=BB4_493 Depth=2
	s_or_b32 exec_lo, exec_lo, s50
	s_delay_alu instid0(SALU_CYCLE_1)
	s_and_b32 s50, s51, exec_lo
.LBB4_556:                              ;   in Loop: Header=BB4_493 Depth=2
	s_or_b32 exec_lo, exec_lo, s29
	s_delay_alu instid0(SALU_CYCLE_1)
	s_and_b32 s29, s50, exec_lo
	s_and_not1_saveexec_b32 s28, s28
	s_cbranch_execnz .LBB4_545
.LBB4_557:                              ;   in Loop: Header=BB4_493 Depth=2
	s_or_b32 exec_lo, exec_lo, s28
	s_and_saveexec_b32 s28, s29
	s_cbranch_execz .LBB4_559
.LBB4_558:                              ;   in Loop: Header=BB4_493 Depth=2
	v_ashrrev_i32_e32 v1, 31, v0
	s_delay_alu instid0(VALU_DEP_1) | instskip(NEXT) | instid1(VALU_DEP_1)
	v_lshlrev_b64 v[0:1], 2, v[0:1]
	v_add_co_u32 v0, vcc_lo, s13, v0
	s_delay_alu instid0(VALU_DEP_2)
	v_add_co_ci_u32_e32 v1, vcc_lo, s15, v1, vcc_lo
	s_waitcnt vmcnt(0)
	global_store_b32 v[0:1], v2, off
.LBB4_559:                              ;   in Loop: Header=BB4_493 Depth=2
	s_or_b32 exec_lo, exec_lo, s28
	v_cmp_gt_i32_e32 vcc_lo, 0, v3
	s_mov_b32 s29, 0
	s_mov_b32 s28, exec_lo
                                        ; implicit-def: $vgpr2
	v_cndmask_b32_e64 v0, 0x7fffffff, 0, vcc_lo
	s_delay_alu instid0(VALU_DEP_1) | instskip(NEXT) | instid1(VALU_DEP_1)
	v_xor_b32_e32 v1, v0, v3
                                        ; implicit-def: $vgpr0
	v_cmpx_ge_u32_e64 v1, v32
	s_xor_b32 s28, exec_lo, s28
	s_cbranch_execz .LBB4_566
; %bb.560:                              ;   in Loop: Header=BB4_493 Depth=2
	s_mov_b32 s50, 0
	s_mov_b32 s29, exec_lo
                                        ; implicit-def: $vgpr2
                                        ; implicit-def: $vgpr0
	v_cmpx_eq_u32_e64 v1, v32
	s_cbranch_execz .LBB4_578
; %bb.561:                              ;   in Loop: Header=BB4_493 Depth=2
	s_mov_b32 s51, exec_lo
	s_mov_b32 s50, exec_lo
	v_mbcnt_lo_u32_b32 v0, s51, 0
                                        ; implicit-def: $vgpr1
	s_delay_alu instid0(VALU_DEP_1)
	v_cmpx_eq_u32_e32 0, v0
	s_cbranch_execz .LBB4_563
; %bb.562:                              ;   in Loop: Header=BB4_493 Depth=2
	s_bcnt1_i32_b32 s51, s51
	s_delay_alu instid0(SALU_CYCLE_1)
	v_mov_b32_e32 v1, s51
	global_atomic_add_u32 v1, v27, v1, s[8:9] offset:512 glc
.LBB4_563:                              ;   in Loop: Header=BB4_493 Depth=2
	s_or_b32 exec_lo, exec_lo, s50
	s_waitcnt vmcnt(0)
	v_readfirstlane_b32 s50, v1
	s_mov_b32 s51, 0
                                        ; implicit-def: $vgpr2
	s_delay_alu instid0(VALU_DEP_1) | instskip(SKIP_1) | instid1(VALU_DEP_1)
	v_add_nc_u32_e32 v1, s50, v0
	s_mov_b32 s50, exec_lo
                                        ; implicit-def: $vgpr0
	v_cmpx_lt_i32_e64 v1, v33
	s_cbranch_execz .LBB4_577
; %bb.564:                              ;   in Loop: Header=BB4_493 Depth=2
	v_xad_u32 v0, v1, -1, s40
	s_and_not1_b32 vcc_lo, exec_lo, s11
	s_cbranch_vccnz .LBB4_574
; %bb.565:                              ;   in Loop: Header=BB4_493 Depth=2
	v_ashrrev_i32_e32 v5, 31, v4
	s_delay_alu instid0(VALU_DEP_1) | instskip(NEXT) | instid1(VALU_DEP_1)
	v_lshlrev_b64 v[1:2], 2, v[4:5]
	v_add_co_u32 v1, vcc_lo, s36, v1
	s_delay_alu instid0(VALU_DEP_2)
	v_add_co_ci_u32_e32 v2, vcc_lo, s37, v2, vcc_lo
	global_load_b32 v2, v[1:2], off
	s_and_not1_b32 vcc_lo, exec_lo, s51
	s_cbranch_vccz .LBB4_575
	s_branch .LBB4_576
.LBB4_566:                              ;   in Loop: Header=BB4_493 Depth=2
	s_and_not1_saveexec_b32 s28, s28
	s_cbranch_execz .LBB4_579
.LBB4_567:                              ;   in Loop: Header=BB4_493 Depth=2
	s_mov_b32 s51, exec_lo
	s_mov_b32 s50, exec_lo
	v_mbcnt_lo_u32_b32 v0, s51, 0
                                        ; implicit-def: $vgpr1
	s_delay_alu instid0(VALU_DEP_1)
	v_cmpx_eq_u32_e32 0, v0
	s_cbranch_execz .LBB4_569
; %bb.568:                              ;   in Loop: Header=BB4_493 Depth=2
	s_bcnt1_i32_b32 s51, s51
	s_delay_alu instid0(SALU_CYCLE_1)
	v_mov_b32_e32 v1, s51
	global_atomic_add_u32 v1, v27, v1, s[8:9] offset:384 glc
.LBB4_569:                              ;   in Loop: Header=BB4_493 Depth=2
	s_or_b32 exec_lo, exec_lo, s50
	s_waitcnt vmcnt(0)
	v_readfirstlane_b32 s50, v1
	s_and_not1_b32 vcc_lo, exec_lo, s11
	s_delay_alu instid0(VALU_DEP_1)
	v_add_nc_u32_e32 v0, s50, v0
	s_cbranch_vccnz .LBB4_571
; %bb.570:                              ;   in Loop: Header=BB4_493 Depth=2
	v_ashrrev_i32_e32 v5, 31, v4
	s_delay_alu instid0(VALU_DEP_1) | instskip(NEXT) | instid1(VALU_DEP_1)
	v_lshlrev_b64 v[1:2], 2, v[4:5]
	v_add_co_u32 v1, vcc_lo, s36, v1
	s_delay_alu instid0(VALU_DEP_2)
	v_add_co_ci_u32_e32 v2, vcc_lo, s37, v2, vcc_lo
	global_load_b32 v2, v[1:2], off
	s_cbranch_execz .LBB4_572
	s_branch .LBB4_573
.LBB4_571:                              ;   in Loop: Header=BB4_493 Depth=2
                                        ; implicit-def: $vgpr2
.LBB4_572:                              ;   in Loop: Header=BB4_493 Depth=2
	s_waitcnt vmcnt(0)
	v_add3_u32 v2, s12, v4, 3
.LBB4_573:                              ;   in Loop: Header=BB4_493 Depth=2
	s_or_b32 s29, s29, exec_lo
	s_or_b32 exec_lo, exec_lo, s28
	s_and_saveexec_b32 s28, s29
	s_cbranch_execz .LBB4_492
	s_branch .LBB4_580
.LBB4_574:                              ;   in Loop: Header=BB4_493 Depth=2
                                        ; implicit-def: $vgpr2
.LBB4_575:                              ;   in Loop: Header=BB4_493 Depth=2
	s_waitcnt vmcnt(0)
	v_add3_u32 v2, v8, s12, 3
.LBB4_576:                              ;   in Loop: Header=BB4_493 Depth=2
	s_mov_b32 s51, exec_lo
.LBB4_577:                              ;   in Loop: Header=BB4_493 Depth=2
	s_or_b32 exec_lo, exec_lo, s50
	s_delay_alu instid0(SALU_CYCLE_1)
	s_and_b32 s50, s51, exec_lo
.LBB4_578:                              ;   in Loop: Header=BB4_493 Depth=2
	s_or_b32 exec_lo, exec_lo, s29
	s_delay_alu instid0(SALU_CYCLE_1)
	s_and_b32 s29, s50, exec_lo
	s_and_not1_saveexec_b32 s28, s28
	s_cbranch_execnz .LBB4_567
.LBB4_579:                              ;   in Loop: Header=BB4_493 Depth=2
	s_or_b32 exec_lo, exec_lo, s28
	s_and_saveexec_b32 s28, s29
	s_cbranch_execz .LBB4_492
.LBB4_580:                              ;   in Loop: Header=BB4_493 Depth=2
	v_ashrrev_i32_e32 v1, 31, v0
	s_delay_alu instid0(VALU_DEP_1) | instskip(NEXT) | instid1(VALU_DEP_1)
	v_lshlrev_b64 v[0:1], 2, v[0:1]
	v_add_co_u32 v0, vcc_lo, s13, v0
	s_delay_alu instid0(VALU_DEP_2)
	v_add_co_ci_u32_e32 v1, vcc_lo, s15, v1, vcc_lo
	s_waitcnt vmcnt(0)
	global_store_b32 v[0:1], v2, off
	s_branch .LBB4_492
.LBB4_581:                              ;   in Loop: Header=BB4_20 Depth=1
	s_or_b32 exec_lo, exec_lo, s6
	s_and_saveexec_b32 s6, s1
	s_cbranch_execz .LBB4_598
; %bb.582:                              ;   in Loop: Header=BB4_20 Depth=1
	global_load_b32 v0, v[16:17], off
	s_mov_b32 s29, 0
	s_mov_b32 s28, 0
	s_mov_b32 s27, exec_lo
                                        ; implicit-def: $vgpr2
	s_waitcnt vmcnt(0)
	v_cmp_gt_i32_e32 vcc_lo, 0, v0
	v_cndmask_b32_e64 v1, 0x7fffffff, 0, vcc_lo
	s_delay_alu instid0(VALU_DEP_1) | instskip(SKIP_1) | instid1(VALU_DEP_1)
	v_xor_b32_e32 v1, v1, v0
                                        ; implicit-def: $vgpr0
	s_waitcnt lgkmcnt(0)
	v_cmpx_ge_u32_e64 v1, v32
	s_xor_b32 s27, exec_lo, s27
	s_cbranch_execz .LBB4_592
; %bb.583:                              ;   in Loop: Header=BB4_20 Depth=1
	s_mov_b32 s50, 0
	s_mov_b32 s28, exec_lo
                                        ; implicit-def: $vgpr0
	v_cmpx_eq_u32_e64 v1, v32
	s_cbranch_execz .LBB4_589
; %bb.584:                              ;   in Loop: Header=BB4_20 Depth=1
	s_mov_b32 s50, exec_lo
	s_mov_b32 s29, exec_lo
	v_mbcnt_lo_u32_b32 v0, s50, 0
                                        ; implicit-def: $vgpr1
	s_delay_alu instid0(VALU_DEP_1)
	v_cmpx_eq_u32_e32 0, v0
	s_cbranch_execz .LBB4_586
; %bb.585:                              ;   in Loop: Header=BB4_20 Depth=1
	s_bcnt1_i32_b32 s50, s50
	s_delay_alu instid0(SALU_CYCLE_1)
	v_mov_b32_e32 v1, s50
	global_atomic_add_u32 v1, v27, v1, s[8:9] offset:512 glc
.LBB4_586:                              ;   in Loop: Header=BB4_20 Depth=1
	s_or_b32 exec_lo, exec_lo, s29
	s_waitcnt vmcnt(0)
	v_readfirstlane_b32 s29, v1
	s_mov_b32 s50, 0
	s_mov_b32 s51, exec_lo
	s_delay_alu instid0(VALU_DEP_1) | instskip(SKIP_1) | instid1(VALU_DEP_1)
	v_add_nc_u32_e32 v1, s29, v0
	s_mov_b32 s29, 0
                                        ; implicit-def: $vgpr0
	v_cmpx_lt_i32_e64 v1, v33
	s_xor_b32 s51, exec_lo, s51
; %bb.587:                              ;   in Loop: Header=BB4_20 Depth=1
	v_xad_u32 v0, v1, -1, s40
	s_and_b32 s50, s48, exec_lo
	s_and_b32 s29, s11, exec_lo
; %bb.588:                              ;   in Loop: Header=BB4_20 Depth=1
	s_or_b32 exec_lo, exec_lo, s51
	s_delay_alu instid0(SALU_CYCLE_1)
	s_and_b32 s50, s50, exec_lo
	s_and_b32 s29, s29, exec_lo
.LBB4_589:                              ;   in Loop: Header=BB4_20 Depth=1
	s_or_b32 exec_lo, exec_lo, s28
	v_mov_b32_e32 v2, v42
	s_and_b32 s28, s50, exec_lo
	s_and_b32 s29, s29, exec_lo
	s_and_not1_saveexec_b32 s27, s27
	s_cbranch_execnz .LBB4_593
.LBB4_590:                              ;   in Loop: Header=BB4_20 Depth=1
	s_or_b32 exec_lo, exec_lo, s27
	s_and_saveexec_b32 s27, s29
	s_cbranch_execz .LBB4_596
.LBB4_591:                              ;   in Loop: Header=BB4_20 Depth=1
	global_load_b32 v2, v[18:19], off
	s_or_b32 s28, s28, exec_lo
	s_or_b32 exec_lo, exec_lo, s27
	s_delay_alu instid0(SALU_CYCLE_1)
	s_and_b32 exec_lo, exec_lo, s28
	s_cbranch_execnz .LBB4_597
	s_branch .LBB4_598
.LBB4_592:                              ;   in Loop: Header=BB4_20 Depth=1
	s_and_not1_saveexec_b32 s27, s27
	s_cbranch_execz .LBB4_590
.LBB4_593:                              ;   in Loop: Header=BB4_20 Depth=1
	s_mov_b32 s51, exec_lo
	s_mov_b32 s50, exec_lo
	v_mbcnt_lo_u32_b32 v0, s51, 0
                                        ; implicit-def: $vgpr1
	s_delay_alu instid0(VALU_DEP_1)
	v_cmpx_eq_u32_e32 0, v0
	s_cbranch_execz .LBB4_595
; %bb.594:                              ;   in Loop: Header=BB4_20 Depth=1
	s_bcnt1_i32_b32 s51, s51
	s_delay_alu instid0(SALU_CYCLE_1)
	v_mov_b32_e32 v1, s51
	global_atomic_add_u32 v1, v27, v1, s[8:9] offset:384 glc
.LBB4_595:                              ;   in Loop: Header=BB4_20 Depth=1
	s_or_b32 exec_lo, exec_lo, s50
	s_waitcnt vmcnt(0)
	v_readfirstlane_b32 s50, v1
	v_mov_b32_e32 v2, v42
	s_and_not1_b32 s28, s28, exec_lo
	s_and_b32 s51, s48, exec_lo
	s_and_not1_b32 s29, s29, exec_lo
	v_add_nc_u32_e32 v0, s50, v0
	s_and_b32 s50, s11, exec_lo
	s_or_b32 s28, s28, s51
	s_or_b32 s29, s29, s50
	s_or_b32 exec_lo, exec_lo, s27
	s_and_saveexec_b32 s27, s29
	s_cbranch_execnz .LBB4_591
.LBB4_596:                              ;   in Loop: Header=BB4_20 Depth=1
	s_or_b32 exec_lo, exec_lo, s27
	s_delay_alu instid0(SALU_CYCLE_1)
	s_and_b32 exec_lo, exec_lo, s28
	s_cbranch_execz .LBB4_598
.LBB4_597:                              ;   in Loop: Header=BB4_20 Depth=1
	v_ashrrev_i32_e32 v1, 31, v0
	s_delay_alu instid0(VALU_DEP_1) | instskip(NEXT) | instid1(VALU_DEP_1)
	v_lshlrev_b64 v[0:1], 2, v[0:1]
	v_add_co_u32 v0, vcc_lo, s13, v0
	s_delay_alu instid0(VALU_DEP_2)
	v_add_co_ci_u32_e32 v1, vcc_lo, s15, v1, vcc_lo
	s_waitcnt vmcnt(0)
	global_store_b32 v[0:1], v2, off
.LBB4_598:                              ;   in Loop: Header=BB4_20 Depth=1
	s_or_b32 exec_lo, exec_lo, s6
	s_and_saveexec_b32 s6, s0
	s_cbranch_execz .LBB4_615
; %bb.599:                              ;   in Loop: Header=BB4_20 Depth=1
	global_load_b32 v0, v[12:13], off
	s_mov_b32 s29, 0
	s_mov_b32 s28, 0
	s_mov_b32 s27, exec_lo
                                        ; implicit-def: $vgpr2
	s_waitcnt vmcnt(0)
	v_cmp_gt_i32_e32 vcc_lo, 0, v0
	v_cndmask_b32_e64 v1, 0x7fffffff, 0, vcc_lo
	s_delay_alu instid0(VALU_DEP_1) | instskip(SKIP_1) | instid1(VALU_DEP_1)
	v_xor_b32_e32 v1, v1, v0
                                        ; implicit-def: $vgpr0
	s_waitcnt lgkmcnt(0)
	v_cmpx_ge_u32_e64 v1, v32
	s_xor_b32 s27, exec_lo, s27
	s_cbranch_execz .LBB4_609
; %bb.600:                              ;   in Loop: Header=BB4_20 Depth=1
	s_mov_b32 s50, 0
	s_mov_b32 s28, exec_lo
                                        ; implicit-def: $vgpr0
	v_cmpx_eq_u32_e64 v1, v32
	s_cbranch_execz .LBB4_606
; %bb.601:                              ;   in Loop: Header=BB4_20 Depth=1
	s_mov_b32 s50, exec_lo
	s_mov_b32 s29, exec_lo
	v_mbcnt_lo_u32_b32 v0, s50, 0
                                        ; implicit-def: $vgpr1
	s_delay_alu instid0(VALU_DEP_1)
	v_cmpx_eq_u32_e32 0, v0
	s_cbranch_execz .LBB4_603
; %bb.602:                              ;   in Loop: Header=BB4_20 Depth=1
	s_bcnt1_i32_b32 s50, s50
	s_delay_alu instid0(SALU_CYCLE_1)
	v_mov_b32_e32 v1, s50
	global_atomic_add_u32 v1, v27, v1, s[8:9] offset:512 glc
.LBB4_603:                              ;   in Loop: Header=BB4_20 Depth=1
	s_or_b32 exec_lo, exec_lo, s29
	s_waitcnt vmcnt(0)
	v_readfirstlane_b32 s29, v1
	s_mov_b32 s50, 0
	s_mov_b32 s51, exec_lo
	s_delay_alu instid0(VALU_DEP_1) | instskip(SKIP_1) | instid1(VALU_DEP_1)
	v_add_nc_u32_e32 v1, s29, v0
	s_mov_b32 s29, 0
                                        ; implicit-def: $vgpr0
	v_cmpx_lt_i32_e64 v1, v33
	s_xor_b32 s51, exec_lo, s51
; %bb.604:                              ;   in Loop: Header=BB4_20 Depth=1
	v_xad_u32 v0, v1, -1, s40
	s_and_b32 s50, s48, exec_lo
	s_and_b32 s29, s11, exec_lo
; %bb.605:                              ;   in Loop: Header=BB4_20 Depth=1
	s_or_b32 exec_lo, exec_lo, s51
	s_delay_alu instid0(SALU_CYCLE_1)
	s_and_b32 s50, s50, exec_lo
	s_and_b32 s29, s29, exec_lo
.LBB4_606:                              ;   in Loop: Header=BB4_20 Depth=1
	s_or_b32 exec_lo, exec_lo, s28
	v_mov_b32_e32 v2, v41
	s_and_b32 s28, s50, exec_lo
	s_and_b32 s29, s29, exec_lo
	s_and_not1_saveexec_b32 s27, s27
	s_cbranch_execnz .LBB4_610
.LBB4_607:                              ;   in Loop: Header=BB4_20 Depth=1
	s_or_b32 exec_lo, exec_lo, s27
	s_and_saveexec_b32 s27, s29
	s_cbranch_execz .LBB4_613
.LBB4_608:                              ;   in Loop: Header=BB4_20 Depth=1
	global_load_b32 v2, v[14:15], off
	s_or_b32 s28, s28, exec_lo
	s_or_b32 exec_lo, exec_lo, s27
	s_delay_alu instid0(SALU_CYCLE_1)
	s_and_b32 exec_lo, exec_lo, s28
	s_cbranch_execnz .LBB4_614
	s_branch .LBB4_615
.LBB4_609:                              ;   in Loop: Header=BB4_20 Depth=1
	s_and_not1_saveexec_b32 s27, s27
	s_cbranch_execz .LBB4_607
.LBB4_610:                              ;   in Loop: Header=BB4_20 Depth=1
	s_mov_b32 s51, exec_lo
	s_mov_b32 s50, exec_lo
	v_mbcnt_lo_u32_b32 v0, s51, 0
                                        ; implicit-def: $vgpr1
	s_delay_alu instid0(VALU_DEP_1)
	v_cmpx_eq_u32_e32 0, v0
	s_cbranch_execz .LBB4_612
; %bb.611:                              ;   in Loop: Header=BB4_20 Depth=1
	s_bcnt1_i32_b32 s51, s51
	s_delay_alu instid0(SALU_CYCLE_1)
	v_mov_b32_e32 v1, s51
	global_atomic_add_u32 v1, v27, v1, s[8:9] offset:384 glc
.LBB4_612:                              ;   in Loop: Header=BB4_20 Depth=1
	s_or_b32 exec_lo, exec_lo, s50
	s_waitcnt vmcnt(0)
	v_readfirstlane_b32 s50, v1
	v_mov_b32_e32 v2, v41
	s_and_not1_b32 s28, s28, exec_lo
	s_and_b32 s51, s48, exec_lo
	s_and_not1_b32 s29, s29, exec_lo
	v_add_nc_u32_e32 v0, s50, v0
	s_and_b32 s50, s11, exec_lo
	s_or_b32 s28, s28, s51
	s_or_b32 s29, s29, s50
	s_or_b32 exec_lo, exec_lo, s27
	s_and_saveexec_b32 s27, s29
	s_cbranch_execnz .LBB4_608
.LBB4_613:                              ;   in Loop: Header=BB4_20 Depth=1
	s_or_b32 exec_lo, exec_lo, s27
	s_delay_alu instid0(SALU_CYCLE_1)
	s_and_b32 exec_lo, exec_lo, s28
	s_cbranch_execz .LBB4_615
.LBB4_614:                              ;   in Loop: Header=BB4_20 Depth=1
	v_ashrrev_i32_e32 v1, 31, v0
	s_delay_alu instid0(VALU_DEP_1) | instskip(NEXT) | instid1(VALU_DEP_1)
	v_lshlrev_b64 v[0:1], 2, v[0:1]
	v_add_co_u32 v0, vcc_lo, s13, v0
	s_delay_alu instid0(VALU_DEP_2)
	v_add_co_ci_u32_e32 v1, vcc_lo, s15, v1, vcc_lo
	s_waitcnt vmcnt(0)
	global_store_b32 v[0:1], v2, off
.LBB4_615:                              ;   in Loop: Header=BB4_20 Depth=1
	s_or_b32 exec_lo, exec_lo, s6
.LBB4_616:                              ;   in Loop: Header=BB4_20 Depth=1
	s_add_i32 s7, s7, 1
	v_add_co_u32 v30, vcc_lo, 0x1000, v30
	s_cmp_eq_u32 s7, 4
	v_add_co_ci_u32_e32 v31, vcc_lo, 0, v31, vcc_lo
	s_mov_b32 s6, -1
	s_cselect_b32 s27, -1, 0
	s_branch .LBB4_19
.LBB4_617:
	s_and_not1_b32 vcc_lo, exec_lo, s6
	s_cbranch_vccz .LBB4_799
; %bb.618:
	v_mov_b32_e32 v25, 0
	s_add_i32 s2, s26, 32
	ds_load_b32 v26, v25 offset:8576
	s_and_saveexec_b32 s4, s3
	s_cbranch_execz .LBB4_750
; %bb.619:
	s_lshl_b32 s5, -1, s2
	s_mov_b32 s3, 0
	s_branch .LBB4_623
.LBB4_620:                              ;   in Loop: Header=BB4_623 Depth=1
	s_waitcnt vmcnt(0)
	v_add3_u32 v1, v4, s12, 3
.LBB4_621:                              ;   in Loop: Header=BB4_623 Depth=1
	v_add_nc_u32_e32 v2, s7, v0
	s_delay_alu instid0(VALU_DEP_1) | instskip(NEXT) | instid1(VALU_DEP_1)
	v_ashrrev_i32_e32 v3, 31, v2
	v_lshlrev_b64 v[2:3], 2, v[2:3]
	s_delay_alu instid0(VALU_DEP_1) | instskip(NEXT) | instid1(VALU_DEP_2)
	v_add_co_u32 v2, vcc_lo, s13, v2
	v_add_co_ci_u32_e32 v3, vcc_lo, s15, v3, vcc_lo
	s_waitcnt vmcnt(0)
	global_store_b32 v[2:3], v1, off
.LBB4_622:                              ;   in Loop: Header=BB4_623 Depth=1
	s_or_b32 exec_lo, exec_lo, s6
	v_add_nc_u32_e32 v20, s33, v20
	s_delay_alu instid0(VALU_DEP_1) | instskip(SKIP_1) | instid1(VALU_DEP_2)
	v_ashrrev_i32_e32 v21, 31, v20
	v_add_co_u32 v22, vcc_lo, s39, v20
	v_add_co_ci_u32_e32 v23, vcc_lo, s38, v21, vcc_lo
	s_delay_alu instid0(VALU_DEP_1) | instskip(SKIP_1) | instid1(SALU_CYCLE_1)
	v_cmp_le_u64_e32 vcc_lo, s[18:19], v[22:23]
	s_or_b32 s3, vcc_lo, s3
	s_and_not1_b32 exec_lo, exec_lo, s3
	s_cbranch_execz .LBB4_749
.LBB4_623:                              ; =>This Inner Loop Header: Depth=1
	v_lshlrev_b64 v[0:1], 4, v[20:21]
	s_mov_b32 s6, exec_lo
	s_delay_alu instid0(VALU_DEP_1) | instskip(SKIP_1) | instid1(VALU_DEP_2)
	v_add_co_u32 v4, vcc_lo, s30, v0
	s_waitcnt vmcnt(0)
	v_add_co_ci_u32_e32 v5, vcc_lo, s31, v1, vcc_lo
	s_delay_alu instid0(VALU_DEP_2)
	v_add_co_u32 v8, vcc_lo, v4, s22
	global_load_b128 v[0:3], v[4:5], off
	v_add_co_ci_u32_e32 v9, vcc_lo, s23, v5, vcc_lo
	global_load_b128 v[4:7], v[8:9], off
	s_waitcnt vmcnt(1)
	v_cmp_gt_i32_e32 vcc_lo, 0, v0
	v_cndmask_b32_e64 v10, 0x7fffffff, 0, vcc_lo
	s_delay_alu instid0(VALU_DEP_1) | instskip(SKIP_1) | instid1(VALU_DEP_2)
	v_xor_b32_e32 v0, v10, v0
	v_lshl_add_u32 v10, v20, 2, s20
	v_and_b32_e32 v0, s5, v0
	s_waitcnt lgkmcnt(0)
	s_delay_alu instid0(VALU_DEP_1)
	v_cmpx_le_u32_e64 v0, v26
	s_cbranch_execz .LBB4_631
; %bb.624:                              ;   in Loop: Header=BB4_623 Depth=1
	s_mov_b32 s24, exec_lo
	s_mov_b32 s7, exec_lo
	v_mbcnt_lo_u32_b32 v0, s24, 0
                                        ; implicit-def: $vgpr11
	s_delay_alu instid0(VALU_DEP_1)
	v_cmpx_eq_u32_e32 0, v0
	s_cbranch_execz .LBB4_626
; %bb.625:                              ;   in Loop: Header=BB4_623 Depth=1
	s_bcnt1_i32_b32 s24, s24
	s_delay_alu instid0(SALU_CYCLE_1)
	v_mov_b32_e32 v11, s24
	global_atomic_add_u32 v11, v25, v11, s[8:9] offset:384 glc
.LBB4_626:                              ;   in Loop: Header=BB4_623 Depth=1
	s_or_b32 exec_lo, exec_lo, s7
	s_waitcnt vmcnt(0)
	v_readfirstlane_b32 s7, v11
	s_and_not1_b32 vcc_lo, exec_lo, s11
	s_cbranch_vccnz .LBB4_628
; %bb.627:                              ;   in Loop: Header=BB4_623 Depth=1
	v_ashrrev_i32_e32 v11, 31, v10
	s_delay_alu instid0(VALU_DEP_1) | instskip(NEXT) | instid1(VALU_DEP_1)
	v_lshlrev_b64 v[27:28], 2, v[10:11]
	v_add_co_u32 v27, vcc_lo, s16, v27
	s_delay_alu instid0(VALU_DEP_2)
	v_add_co_ci_u32_e32 v28, vcc_lo, s17, v28, vcc_lo
	global_load_b32 v11, v[27:28], off
	s_cbranch_execz .LBB4_629
	s_branch .LBB4_630
.LBB4_628:                              ;   in Loop: Header=BB4_623 Depth=1
                                        ; implicit-def: $vgpr11
.LBB4_629:                              ;   in Loop: Header=BB4_623 Depth=1
	s_waitcnt vmcnt(0)
	v_add_nc_u32_e32 v11, s12, v10
.LBB4_630:                              ;   in Loop: Header=BB4_623 Depth=1
	v_add_nc_u32_e32 v27, s7, v0
	s_delay_alu instid0(VALU_DEP_1) | instskip(NEXT) | instid1(VALU_DEP_1)
	v_ashrrev_i32_e32 v28, 31, v27
	v_lshlrev_b64 v[27:28], 2, v[27:28]
	s_delay_alu instid0(VALU_DEP_1) | instskip(NEXT) | instid1(VALU_DEP_2)
	v_add_co_u32 v27, vcc_lo, s13, v27
	v_add_co_ci_u32_e32 v28, vcc_lo, s15, v28, vcc_lo
	s_waitcnt vmcnt(0)
	global_store_b32 v[27:28], v11, off
.LBB4_631:                              ;   in Loop: Header=BB4_623 Depth=1
	s_or_b32 exec_lo, exec_lo, s6
	v_cmp_gt_i32_e32 vcc_lo, 0, v1
	s_mov_b32 s6, exec_lo
	v_cndmask_b32_e64 v0, 0x7fffffff, 0, vcc_lo
	s_delay_alu instid0(VALU_DEP_1) | instskip(NEXT) | instid1(VALU_DEP_1)
	v_xor_b32_e32 v0, v0, v1
	v_and_b32_e32 v0, s5, v0
	s_delay_alu instid0(VALU_DEP_1)
	v_cmpx_le_u32_e64 v0, v26
	s_cbranch_execz .LBB4_639
; %bb.632:                              ;   in Loop: Header=BB4_623 Depth=1
	s_mov_b32 s24, exec_lo
	s_mov_b32 s7, exec_lo
	v_mbcnt_lo_u32_b32 v0, s24, 0
                                        ; implicit-def: $vgpr1
	s_delay_alu instid0(VALU_DEP_1)
	v_cmpx_eq_u32_e32 0, v0
	s_cbranch_execz .LBB4_634
; %bb.633:                              ;   in Loop: Header=BB4_623 Depth=1
	s_bcnt1_i32_b32 s24, s24
	s_delay_alu instid0(SALU_CYCLE_1)
	v_mov_b32_e32 v1, s24
	global_atomic_add_u32 v1, v25, v1, s[8:9] offset:384 glc
.LBB4_634:                              ;   in Loop: Header=BB4_623 Depth=1
	s_or_b32 exec_lo, exec_lo, s7
	s_waitcnt vmcnt(0)
	v_readfirstlane_b32 s7, v1
	s_and_not1_b32 vcc_lo, exec_lo, s11
	s_cbranch_vccnz .LBB4_636
; %bb.635:                              ;   in Loop: Header=BB4_623 Depth=1
	v_ashrrev_i32_e32 v11, 31, v10
	s_delay_alu instid0(VALU_DEP_1) | instskip(NEXT) | instid1(VALU_DEP_1)
	v_lshlrev_b64 v[27:28], 2, v[10:11]
	v_add_co_u32 v27, vcc_lo, s14, v27
	s_delay_alu instid0(VALU_DEP_2)
	v_add_co_ci_u32_e32 v28, vcc_lo, s21, v28, vcc_lo
	global_load_b32 v1, v[27:28], off
	s_cbranch_execz .LBB4_637
	s_branch .LBB4_638
.LBB4_636:                              ;   in Loop: Header=BB4_623 Depth=1
                                        ; implicit-def: $vgpr1
.LBB4_637:                              ;   in Loop: Header=BB4_623 Depth=1
	s_waitcnt vmcnt(0)
	v_add3_u32 v1, v10, s12, 1
.LBB4_638:                              ;   in Loop: Header=BB4_623 Depth=1
	v_add_nc_u32_e32 v27, s7, v0
	s_delay_alu instid0(VALU_DEP_1) | instskip(NEXT) | instid1(VALU_DEP_1)
	v_ashrrev_i32_e32 v28, 31, v27
	v_lshlrev_b64 v[27:28], 2, v[27:28]
	s_delay_alu instid0(VALU_DEP_1) | instskip(NEXT) | instid1(VALU_DEP_2)
	v_add_co_u32 v27, vcc_lo, s13, v27
	v_add_co_ci_u32_e32 v28, vcc_lo, s15, v28, vcc_lo
	s_waitcnt vmcnt(0)
	global_store_b32 v[27:28], v1, off
.LBB4_639:                              ;   in Loop: Header=BB4_623 Depth=1
	s_or_b32 exec_lo, exec_lo, s6
	v_cmp_gt_i32_e32 vcc_lo, 0, v2
	s_mov_b32 s6, exec_lo
	v_cndmask_b32_e64 v0, 0x7fffffff, 0, vcc_lo
	s_delay_alu instid0(VALU_DEP_1) | instskip(NEXT) | instid1(VALU_DEP_1)
	v_xor_b32_e32 v0, v0, v2
	v_and_b32_e32 v0, s5, v0
	s_delay_alu instid0(VALU_DEP_1)
	v_cmpx_le_u32_e64 v0, v26
	s_cbranch_execz .LBB4_647
; %bb.640:                              ;   in Loop: Header=BB4_623 Depth=1
	s_mov_b32 s24, exec_lo
	s_mov_b32 s7, exec_lo
	v_mbcnt_lo_u32_b32 v0, s24, 0
                                        ; implicit-def: $vgpr1
	s_delay_alu instid0(VALU_DEP_1)
	v_cmpx_eq_u32_e32 0, v0
	s_cbranch_execz .LBB4_642
; %bb.641:                              ;   in Loop: Header=BB4_623 Depth=1
	s_bcnt1_i32_b32 s24, s24
	s_delay_alu instid0(SALU_CYCLE_1)
	v_mov_b32_e32 v1, s24
	global_atomic_add_u32 v1, v25, v1, s[8:9] offset:384 glc
.LBB4_642:                              ;   in Loop: Header=BB4_623 Depth=1
	s_or_b32 exec_lo, exec_lo, s7
	s_waitcnt vmcnt(0)
	v_readfirstlane_b32 s7, v1
	s_and_not1_b32 vcc_lo, exec_lo, s11
	s_cbranch_vccnz .LBB4_644
; %bb.643:                              ;   in Loop: Header=BB4_623 Depth=1
	v_ashrrev_i32_e32 v11, 31, v10
	s_delay_alu instid0(VALU_DEP_1) | instskip(NEXT) | instid1(VALU_DEP_1)
	v_lshlrev_b64 v[1:2], 2, v[10:11]
	v_add_co_u32 v1, vcc_lo, s34, v1
	s_delay_alu instid0(VALU_DEP_2)
	v_add_co_ci_u32_e32 v2, vcc_lo, s35, v2, vcc_lo
	global_load_b32 v1, v[1:2], off
	s_cbranch_execz .LBB4_645
	s_branch .LBB4_646
.LBB4_644:                              ;   in Loop: Header=BB4_623 Depth=1
                                        ; implicit-def: $vgpr1
.LBB4_645:                              ;   in Loop: Header=BB4_623 Depth=1
	s_waitcnt vmcnt(0)
	v_add3_u32 v1, v10, s12, 2
.LBB4_646:                              ;   in Loop: Header=BB4_623 Depth=1
	v_add_nc_u32_e32 v27, s7, v0
	s_delay_alu instid0(VALU_DEP_1) | instskip(NEXT) | instid1(VALU_DEP_1)
	v_ashrrev_i32_e32 v28, 31, v27
	v_lshlrev_b64 v[27:28], 2, v[27:28]
	s_delay_alu instid0(VALU_DEP_1) | instskip(NEXT) | instid1(VALU_DEP_2)
	v_add_co_u32 v27, vcc_lo, s13, v27
	v_add_co_ci_u32_e32 v28, vcc_lo, s15, v28, vcc_lo
	s_waitcnt vmcnt(0)
	global_store_b32 v[27:28], v1, off
.LBB4_647:                              ;   in Loop: Header=BB4_623 Depth=1
	;; [unrolled: 55-line block ×3, first 2 shown]
	s_or_b32 exec_lo, exec_lo, s6
	v_lshlrev_b64 v[0:1], 4, v[22:23]
	v_add_co_u32 v2, vcc_lo, v8, s22
	v_add_co_ci_u32_e32 v3, vcc_lo, s23, v9, vcc_lo
	s_mov_b32 s6, exec_lo
	s_delay_alu instid0(VALU_DEP_3) | instskip(NEXT) | instid1(VALU_DEP_4)
	v_add_co_u32 v0, vcc_lo, s30, v0
	v_add_co_ci_u32_e32 v1, vcc_lo, s31, v1, vcc_lo
	s_waitcnt vmcnt(0)
	v_cmp_gt_i32_e32 vcc_lo, 0, v4
	s_clause 0x1
	global_load_b128 v[8:11], v[2:3], off
	global_load_b128 v[0:3], v[0:1], off
	v_cndmask_b32_e64 v21, 0x7fffffff, 0, vcc_lo
	s_delay_alu instid0(VALU_DEP_1) | instskip(SKIP_1) | instid1(VALU_DEP_2)
	v_xor_b32_e32 v21, v21, v4
	v_add_co_u32 v4, null, v20, s10
	v_and_b32_e32 v21, s5, v21
	s_delay_alu instid0(VALU_DEP_2) | instskip(NEXT) | instid1(VALU_DEP_2)
	v_lshl_add_u32 v23, v4, 2, s20
	v_cmpx_le_u32_e64 v21, v26
	s_cbranch_execz .LBB4_663
; %bb.656:                              ;   in Loop: Header=BB4_623 Depth=1
	s_mov_b32 s24, exec_lo
	s_mov_b32 s7, exec_lo
	v_mbcnt_lo_u32_b32 v21, s24, 0
                                        ; implicit-def: $vgpr24
	s_delay_alu instid0(VALU_DEP_1)
	v_cmpx_eq_u32_e32 0, v21
	s_cbranch_execz .LBB4_658
; %bb.657:                              ;   in Loop: Header=BB4_623 Depth=1
	s_bcnt1_i32_b32 s24, s24
	s_delay_alu instid0(SALU_CYCLE_1)
	v_mov_b32_e32 v24, s24
	global_atomic_add_u32 v24, v25, v24, s[8:9] offset:384 glc
.LBB4_658:                              ;   in Loop: Header=BB4_623 Depth=1
	s_or_b32 exec_lo, exec_lo, s7
	s_waitcnt vmcnt(0)
	v_readfirstlane_b32 s7, v24
	s_and_not1_b32 vcc_lo, exec_lo, s11
	s_cbranch_vccnz .LBB4_660
; %bb.659:                              ;   in Loop: Header=BB4_623 Depth=1
	v_ashrrev_i32_e32 v24, 31, v23
	s_delay_alu instid0(VALU_DEP_1) | instskip(NEXT) | instid1(VALU_DEP_1)
	v_lshlrev_b64 v[27:28], 2, v[23:24]
	v_add_co_u32 v27, vcc_lo, s16, v27
	s_delay_alu instid0(VALU_DEP_2)
	v_add_co_ci_u32_e32 v28, vcc_lo, s17, v28, vcc_lo
	global_load_b32 v24, v[27:28], off
	s_cbranch_execz .LBB4_661
	s_branch .LBB4_662
.LBB4_660:                              ;   in Loop: Header=BB4_623 Depth=1
                                        ; implicit-def: $vgpr24
.LBB4_661:                              ;   in Loop: Header=BB4_623 Depth=1
	s_waitcnt vmcnt(0)
	v_add_nc_u32_e32 v24, s12, v23
.LBB4_662:                              ;   in Loop: Header=BB4_623 Depth=1
	v_add_nc_u32_e32 v27, s7, v21
	s_delay_alu instid0(VALU_DEP_1) | instskip(NEXT) | instid1(VALU_DEP_1)
	v_ashrrev_i32_e32 v28, 31, v27
	v_lshlrev_b64 v[27:28], 2, v[27:28]
	s_delay_alu instid0(VALU_DEP_1) | instskip(NEXT) | instid1(VALU_DEP_2)
	v_add_co_u32 v27, vcc_lo, s13, v27
	v_add_co_ci_u32_e32 v28, vcc_lo, s15, v28, vcc_lo
	s_waitcnt vmcnt(0)
	global_store_b32 v[27:28], v24, off
.LBB4_663:                              ;   in Loop: Header=BB4_623 Depth=1
	s_or_b32 exec_lo, exec_lo, s6
	v_cmp_gt_i32_e32 vcc_lo, 0, v5
	s_mov_b32 s6, exec_lo
	v_cndmask_b32_e64 v21, 0x7fffffff, 0, vcc_lo
	s_delay_alu instid0(VALU_DEP_1) | instskip(NEXT) | instid1(VALU_DEP_1)
	v_xor_b32_e32 v5, v21, v5
	v_and_b32_e32 v5, s5, v5
	s_delay_alu instid0(VALU_DEP_1)
	v_cmpx_le_u32_e64 v5, v26
	s_cbranch_execz .LBB4_671
; %bb.664:                              ;   in Loop: Header=BB4_623 Depth=1
	s_mov_b32 s24, exec_lo
	s_mov_b32 s7, exec_lo
	v_mbcnt_lo_u32_b32 v5, s24, 0
                                        ; implicit-def: $vgpr21
	s_delay_alu instid0(VALU_DEP_1)
	v_cmpx_eq_u32_e32 0, v5
	s_cbranch_execz .LBB4_666
; %bb.665:                              ;   in Loop: Header=BB4_623 Depth=1
	s_bcnt1_i32_b32 s24, s24
	s_delay_alu instid0(SALU_CYCLE_1)
	v_mov_b32_e32 v21, s24
	global_atomic_add_u32 v21, v25, v21, s[8:9] offset:384 glc
.LBB4_666:                              ;   in Loop: Header=BB4_623 Depth=1
	s_or_b32 exec_lo, exec_lo, s7
	s_waitcnt vmcnt(0)
	v_readfirstlane_b32 s7, v21
	s_and_not1_b32 vcc_lo, exec_lo, s11
	s_cbranch_vccnz .LBB4_668
; %bb.667:                              ;   in Loop: Header=BB4_623 Depth=1
	v_ashrrev_i32_e32 v24, 31, v23
	s_delay_alu instid0(VALU_DEP_1) | instskip(NEXT) | instid1(VALU_DEP_1)
	v_lshlrev_b64 v[27:28], 2, v[23:24]
	v_add_co_u32 v27, vcc_lo, s14, v27
	s_delay_alu instid0(VALU_DEP_2)
	v_add_co_ci_u32_e32 v28, vcc_lo, s21, v28, vcc_lo
	global_load_b32 v21, v[27:28], off
	s_cbranch_execz .LBB4_669
	s_branch .LBB4_670
.LBB4_668:                              ;   in Loop: Header=BB4_623 Depth=1
                                        ; implicit-def: $vgpr21
.LBB4_669:                              ;   in Loop: Header=BB4_623 Depth=1
	s_waitcnt vmcnt(0)
	v_add3_u32 v21, v23, s12, 1
.LBB4_670:                              ;   in Loop: Header=BB4_623 Depth=1
	v_add_nc_u32_e32 v27, s7, v5
	s_delay_alu instid0(VALU_DEP_1) | instskip(NEXT) | instid1(VALU_DEP_1)
	v_ashrrev_i32_e32 v28, 31, v27
	v_lshlrev_b64 v[27:28], 2, v[27:28]
	s_delay_alu instid0(VALU_DEP_1) | instskip(NEXT) | instid1(VALU_DEP_2)
	v_add_co_u32 v27, vcc_lo, s13, v27
	v_add_co_ci_u32_e32 v28, vcc_lo, s15, v28, vcc_lo
	s_waitcnt vmcnt(0)
	global_store_b32 v[27:28], v21, off
.LBB4_671:                              ;   in Loop: Header=BB4_623 Depth=1
	s_or_b32 exec_lo, exec_lo, s6
	v_cmp_gt_i32_e32 vcc_lo, 0, v6
	s_mov_b32 s6, exec_lo
	v_cndmask_b32_e64 v5, 0x7fffffff, 0, vcc_lo
	s_delay_alu instid0(VALU_DEP_1) | instskip(NEXT) | instid1(VALU_DEP_1)
	v_xor_b32_e32 v5, v5, v6
	v_and_b32_e32 v5, s5, v5
	s_delay_alu instid0(VALU_DEP_1)
	v_cmpx_le_u32_e64 v5, v26
	s_cbranch_execz .LBB4_679
; %bb.672:                              ;   in Loop: Header=BB4_623 Depth=1
	s_mov_b32 s24, exec_lo
	s_mov_b32 s7, exec_lo
	v_mbcnt_lo_u32_b32 v5, s24, 0
                                        ; implicit-def: $vgpr6
	s_delay_alu instid0(VALU_DEP_1)
	v_cmpx_eq_u32_e32 0, v5
	s_cbranch_execz .LBB4_674
; %bb.673:                              ;   in Loop: Header=BB4_623 Depth=1
	s_bcnt1_i32_b32 s24, s24
	s_delay_alu instid0(SALU_CYCLE_1)
	v_mov_b32_e32 v6, s24
	global_atomic_add_u32 v6, v25, v6, s[8:9] offset:384 glc
.LBB4_674:                              ;   in Loop: Header=BB4_623 Depth=1
	s_or_b32 exec_lo, exec_lo, s7
	s_waitcnt vmcnt(0)
	v_readfirstlane_b32 s7, v6
	s_and_not1_b32 vcc_lo, exec_lo, s11
	s_cbranch_vccnz .LBB4_676
; %bb.675:                              ;   in Loop: Header=BB4_623 Depth=1
	v_ashrrev_i32_e32 v24, 31, v23
	s_delay_alu instid0(VALU_DEP_1) | instskip(NEXT) | instid1(VALU_DEP_1)
	v_lshlrev_b64 v[27:28], 2, v[23:24]
	v_add_co_u32 v27, vcc_lo, s34, v27
	s_delay_alu instid0(VALU_DEP_2)
	v_add_co_ci_u32_e32 v28, vcc_lo, s35, v28, vcc_lo
	global_load_b32 v6, v[27:28], off
	s_cbranch_execz .LBB4_677
	s_branch .LBB4_678
.LBB4_676:                              ;   in Loop: Header=BB4_623 Depth=1
                                        ; implicit-def: $vgpr6
.LBB4_677:                              ;   in Loop: Header=BB4_623 Depth=1
	s_waitcnt vmcnt(0)
	v_add3_u32 v6, v23, s12, 2
.LBB4_678:                              ;   in Loop: Header=BB4_623 Depth=1
	v_add_nc_u32_e32 v27, s7, v5
	s_delay_alu instid0(VALU_DEP_1) | instskip(NEXT) | instid1(VALU_DEP_1)
	v_ashrrev_i32_e32 v28, 31, v27
	v_lshlrev_b64 v[27:28], 2, v[27:28]
	s_delay_alu instid0(VALU_DEP_1) | instskip(NEXT) | instid1(VALU_DEP_2)
	v_add_co_u32 v27, vcc_lo, s13, v27
	v_add_co_ci_u32_e32 v28, vcc_lo, s15, v28, vcc_lo
	s_waitcnt vmcnt(0)
	global_store_b32 v[27:28], v6, off
.LBB4_679:                              ;   in Loop: Header=BB4_623 Depth=1
	s_or_b32 exec_lo, exec_lo, s6
	v_cmp_gt_i32_e32 vcc_lo, 0, v7
	s_mov_b32 s6, exec_lo
	v_cndmask_b32_e64 v5, 0x7fffffff, 0, vcc_lo
	s_delay_alu instid0(VALU_DEP_1) | instskip(NEXT) | instid1(VALU_DEP_1)
	v_xor_b32_e32 v5, v5, v7
	v_and_b32_e32 v5, s5, v5
	s_delay_alu instid0(VALU_DEP_1)
	v_cmpx_le_u32_e64 v5, v26
	s_cbranch_execz .LBB4_687
; %bb.680:                              ;   in Loop: Header=BB4_623 Depth=1
	s_mov_b32 s24, exec_lo
	s_mov_b32 s7, exec_lo
	v_mbcnt_lo_u32_b32 v5, s24, 0
                                        ; implicit-def: $vgpr6
	s_delay_alu instid0(VALU_DEP_1)
	v_cmpx_eq_u32_e32 0, v5
	s_cbranch_execz .LBB4_682
; %bb.681:                              ;   in Loop: Header=BB4_623 Depth=1
	s_bcnt1_i32_b32 s24, s24
	s_delay_alu instid0(SALU_CYCLE_1)
	v_mov_b32_e32 v6, s24
	global_atomic_add_u32 v6, v25, v6, s[8:9] offset:384 glc
.LBB4_682:                              ;   in Loop: Header=BB4_623 Depth=1
	s_or_b32 exec_lo, exec_lo, s7
	s_waitcnt vmcnt(0)
	v_readfirstlane_b32 s7, v6
	s_and_not1_b32 vcc_lo, exec_lo, s11
	s_cbranch_vccnz .LBB4_684
; %bb.683:                              ;   in Loop: Header=BB4_623 Depth=1
	v_ashrrev_i32_e32 v24, 31, v23
	s_delay_alu instid0(VALU_DEP_1) | instskip(NEXT) | instid1(VALU_DEP_1)
	v_lshlrev_b64 v[6:7], 2, v[23:24]
	v_add_co_u32 v6, vcc_lo, s36, v6
	s_delay_alu instid0(VALU_DEP_2)
	v_add_co_ci_u32_e32 v7, vcc_lo, s37, v7, vcc_lo
	global_load_b32 v6, v[6:7], off
	s_cbranch_execz .LBB4_685
	s_branch .LBB4_686
.LBB4_684:                              ;   in Loop: Header=BB4_623 Depth=1
                                        ; implicit-def: $vgpr6
.LBB4_685:                              ;   in Loop: Header=BB4_623 Depth=1
	s_waitcnt vmcnt(0)
	v_add3_u32 v6, v23, s12, 3
.LBB4_686:                              ;   in Loop: Header=BB4_623 Depth=1
	v_add_nc_u32_e32 v23, s7, v5
	s_delay_alu instid0(VALU_DEP_1) | instskip(NEXT) | instid1(VALU_DEP_1)
	v_ashrrev_i32_e32 v24, 31, v23
	v_lshlrev_b64 v[23:24], 2, v[23:24]
	s_delay_alu instid0(VALU_DEP_1) | instskip(NEXT) | instid1(VALU_DEP_2)
	v_add_co_u32 v23, vcc_lo, s13, v23
	v_add_co_ci_u32_e32 v24, vcc_lo, s15, v24, vcc_lo
	s_waitcnt vmcnt(0)
	global_store_b32 v[23:24], v6, off
.LBB4_687:                              ;   in Loop: Header=BB4_623 Depth=1
	s_or_b32 exec_lo, exec_lo, s6
	s_waitcnt vmcnt(1)
	v_cmp_gt_i32_e32 vcc_lo, 0, v8
	v_add_nc_u32_e32 v4, s10, v4
	s_mov_b32 s6, exec_lo
	v_cndmask_b32_e64 v5, 0x7fffffff, 0, vcc_lo
	s_delay_alu instid0(VALU_DEP_2) | instskip(NEXT) | instid1(VALU_DEP_2)
	v_lshl_add_u32 v4, v4, 2, s20
	v_xor_b32_e32 v5, v5, v8
	s_delay_alu instid0(VALU_DEP_1) | instskip(NEXT) | instid1(VALU_DEP_1)
	v_and_b32_e32 v5, s5, v5
	v_cmpx_le_u32_e64 v5, v26
	s_cbranch_execz .LBB4_695
; %bb.688:                              ;   in Loop: Header=BB4_623 Depth=1
	s_mov_b32 s24, exec_lo
	s_mov_b32 s7, exec_lo
	v_mbcnt_lo_u32_b32 v6, s24, 0
                                        ; implicit-def: $vgpr5
	s_delay_alu instid0(VALU_DEP_1)
	v_cmpx_eq_u32_e32 0, v6
	s_cbranch_execz .LBB4_690
; %bb.689:                              ;   in Loop: Header=BB4_623 Depth=1
	s_bcnt1_i32_b32 s24, s24
	s_delay_alu instid0(SALU_CYCLE_1)
	v_mov_b32_e32 v5, s24
	global_atomic_add_u32 v5, v25, v5, s[8:9] offset:384 glc
.LBB4_690:                              ;   in Loop: Header=BB4_623 Depth=1
	s_or_b32 exec_lo, exec_lo, s7
	s_waitcnt vmcnt(0)
	v_readfirstlane_b32 s7, v5
	s_and_not1_b32 vcc_lo, exec_lo, s11
	s_cbranch_vccnz .LBB4_692
; %bb.691:                              ;   in Loop: Header=BB4_623 Depth=1
	v_ashrrev_i32_e32 v5, 31, v4
	s_delay_alu instid0(VALU_DEP_1) | instskip(NEXT) | instid1(VALU_DEP_1)
	v_lshlrev_b64 v[7:8], 2, v[4:5]
	v_add_co_u32 v7, vcc_lo, s16, v7
	s_delay_alu instid0(VALU_DEP_2)
	v_add_co_ci_u32_e32 v8, vcc_lo, s17, v8, vcc_lo
	global_load_b32 v5, v[7:8], off
	s_cbranch_execz .LBB4_693
	s_branch .LBB4_694
.LBB4_692:                              ;   in Loop: Header=BB4_623 Depth=1
                                        ; implicit-def: $vgpr5
.LBB4_693:                              ;   in Loop: Header=BB4_623 Depth=1
	s_waitcnt vmcnt(0)
	v_add_nc_u32_e32 v5, s12, v4
.LBB4_694:                              ;   in Loop: Header=BB4_623 Depth=1
	v_add_nc_u32_e32 v6, s7, v6
	s_delay_alu instid0(VALU_DEP_1) | instskip(NEXT) | instid1(VALU_DEP_1)
	v_ashrrev_i32_e32 v7, 31, v6
	v_lshlrev_b64 v[6:7], 2, v[6:7]
	s_delay_alu instid0(VALU_DEP_1) | instskip(NEXT) | instid1(VALU_DEP_2)
	v_add_co_u32 v6, vcc_lo, s13, v6
	v_add_co_ci_u32_e32 v7, vcc_lo, s15, v7, vcc_lo
	s_waitcnt vmcnt(0)
	global_store_b32 v[6:7], v5, off
.LBB4_695:                              ;   in Loop: Header=BB4_623 Depth=1
	s_or_b32 exec_lo, exec_lo, s6
	v_cmp_gt_i32_e32 vcc_lo, 0, v9
	s_mov_b32 s6, exec_lo
	v_cndmask_b32_e64 v5, 0x7fffffff, 0, vcc_lo
	s_delay_alu instid0(VALU_DEP_1) | instskip(NEXT) | instid1(VALU_DEP_1)
	v_xor_b32_e32 v5, v5, v9
	v_and_b32_e32 v5, s5, v5
	s_delay_alu instid0(VALU_DEP_1)
	v_cmpx_le_u32_e64 v5, v26
	s_cbranch_execz .LBB4_703
; %bb.696:                              ;   in Loop: Header=BB4_623 Depth=1
	s_mov_b32 s24, exec_lo
	s_mov_b32 s7, exec_lo
	v_mbcnt_lo_u32_b32 v6, s24, 0
                                        ; implicit-def: $vgpr5
	s_delay_alu instid0(VALU_DEP_1)
	v_cmpx_eq_u32_e32 0, v6
	s_cbranch_execz .LBB4_698
; %bb.697:                              ;   in Loop: Header=BB4_623 Depth=1
	s_bcnt1_i32_b32 s24, s24
	s_delay_alu instid0(SALU_CYCLE_1)
	v_mov_b32_e32 v5, s24
	global_atomic_add_u32 v5, v25, v5, s[8:9] offset:384 glc
.LBB4_698:                              ;   in Loop: Header=BB4_623 Depth=1
	s_or_b32 exec_lo, exec_lo, s7
	s_waitcnt vmcnt(0)
	v_readfirstlane_b32 s7, v5
	s_and_not1_b32 vcc_lo, exec_lo, s11
	s_cbranch_vccnz .LBB4_700
; %bb.699:                              ;   in Loop: Header=BB4_623 Depth=1
	v_ashrrev_i32_e32 v5, 31, v4
	s_delay_alu instid0(VALU_DEP_1) | instskip(NEXT) | instid1(VALU_DEP_1)
	v_lshlrev_b64 v[7:8], 2, v[4:5]
	v_add_co_u32 v7, vcc_lo, s14, v7
	s_delay_alu instid0(VALU_DEP_2)
	v_add_co_ci_u32_e32 v8, vcc_lo, s21, v8, vcc_lo
	global_load_b32 v5, v[7:8], off
	s_cbranch_execz .LBB4_701
	s_branch .LBB4_702
.LBB4_700:                              ;   in Loop: Header=BB4_623 Depth=1
                                        ; implicit-def: $vgpr5
.LBB4_701:                              ;   in Loop: Header=BB4_623 Depth=1
	s_waitcnt vmcnt(0)
	v_add3_u32 v5, v4, s12, 1
.LBB4_702:                              ;   in Loop: Header=BB4_623 Depth=1
	v_add_nc_u32_e32 v6, s7, v6
	s_delay_alu instid0(VALU_DEP_1) | instskip(NEXT) | instid1(VALU_DEP_1)
	v_ashrrev_i32_e32 v7, 31, v6
	v_lshlrev_b64 v[6:7], 2, v[6:7]
	s_delay_alu instid0(VALU_DEP_1) | instskip(NEXT) | instid1(VALU_DEP_2)
	v_add_co_u32 v6, vcc_lo, s13, v6
	v_add_co_ci_u32_e32 v7, vcc_lo, s15, v7, vcc_lo
	s_waitcnt vmcnt(0)
	global_store_b32 v[6:7], v5, off
.LBB4_703:                              ;   in Loop: Header=BB4_623 Depth=1
	s_or_b32 exec_lo, exec_lo, s6
	v_cmp_gt_i32_e32 vcc_lo, 0, v10
	s_mov_b32 s6, exec_lo
	v_cndmask_b32_e64 v5, 0x7fffffff, 0, vcc_lo
	s_delay_alu instid0(VALU_DEP_1) | instskip(NEXT) | instid1(VALU_DEP_1)
	v_xor_b32_e32 v5, v5, v10
	v_and_b32_e32 v5, s5, v5
	s_delay_alu instid0(VALU_DEP_1)
	v_cmpx_le_u32_e64 v5, v26
	s_cbranch_execz .LBB4_711
; %bb.704:                              ;   in Loop: Header=BB4_623 Depth=1
	s_mov_b32 s24, exec_lo
	s_mov_b32 s7, exec_lo
	v_mbcnt_lo_u32_b32 v6, s24, 0
                                        ; implicit-def: $vgpr5
	s_delay_alu instid0(VALU_DEP_1)
	v_cmpx_eq_u32_e32 0, v6
	s_cbranch_execz .LBB4_706
; %bb.705:                              ;   in Loop: Header=BB4_623 Depth=1
	s_bcnt1_i32_b32 s24, s24
	s_delay_alu instid0(SALU_CYCLE_1)
	v_mov_b32_e32 v5, s24
	global_atomic_add_u32 v5, v25, v5, s[8:9] offset:384 glc
.LBB4_706:                              ;   in Loop: Header=BB4_623 Depth=1
	s_or_b32 exec_lo, exec_lo, s7
	s_waitcnt vmcnt(0)
	v_readfirstlane_b32 s7, v5
	s_and_not1_b32 vcc_lo, exec_lo, s11
	s_cbranch_vccnz .LBB4_708
; %bb.707:                              ;   in Loop: Header=BB4_623 Depth=1
	v_ashrrev_i32_e32 v5, 31, v4
	s_delay_alu instid0(VALU_DEP_1) | instskip(NEXT) | instid1(VALU_DEP_1)
	v_lshlrev_b64 v[7:8], 2, v[4:5]
	v_add_co_u32 v7, vcc_lo, s34, v7
	s_delay_alu instid0(VALU_DEP_2)
	v_add_co_ci_u32_e32 v8, vcc_lo, s35, v8, vcc_lo
	global_load_b32 v5, v[7:8], off
	s_cbranch_execz .LBB4_709
	s_branch .LBB4_710
.LBB4_708:                              ;   in Loop: Header=BB4_623 Depth=1
                                        ; implicit-def: $vgpr5
.LBB4_709:                              ;   in Loop: Header=BB4_623 Depth=1
	s_waitcnt vmcnt(0)
	v_add3_u32 v5, v4, s12, 2
.LBB4_710:                              ;   in Loop: Header=BB4_623 Depth=1
	v_add_nc_u32_e32 v6, s7, v6
	s_delay_alu instid0(VALU_DEP_1) | instskip(NEXT) | instid1(VALU_DEP_1)
	v_ashrrev_i32_e32 v7, 31, v6
	v_lshlrev_b64 v[6:7], 2, v[6:7]
	s_delay_alu instid0(VALU_DEP_1) | instskip(NEXT) | instid1(VALU_DEP_2)
	v_add_co_u32 v6, vcc_lo, s13, v6
	v_add_co_ci_u32_e32 v7, vcc_lo, s15, v7, vcc_lo
	s_waitcnt vmcnt(0)
	global_store_b32 v[6:7], v5, off
.LBB4_711:                              ;   in Loop: Header=BB4_623 Depth=1
	;; [unrolled: 55-line block ×3, first 2 shown]
	s_or_b32 exec_lo, exec_lo, s6
	s_waitcnt vmcnt(0)
	v_cmp_gt_i32_e32 vcc_lo, 0, v0
	s_mov_b32 s6, exec_lo
	v_cndmask_b32_e64 v4, 0x7fffffff, 0, vcc_lo
	s_delay_alu instid0(VALU_DEP_1) | instskip(SKIP_1) | instid1(VALU_DEP_2)
	v_xor_b32_e32 v0, v4, v0
	v_lshl_add_u32 v4, v22, 2, s20
	v_and_b32_e32 v0, s5, v0
	s_delay_alu instid0(VALU_DEP_1)
	v_cmpx_le_u32_e64 v0, v26
	s_cbranch_execz .LBB4_727
; %bb.720:                              ;   in Loop: Header=BB4_623 Depth=1
	s_mov_b32 s24, exec_lo
	s_mov_b32 s7, exec_lo
	v_mbcnt_lo_u32_b32 v0, s24, 0
                                        ; implicit-def: $vgpr5
	s_delay_alu instid0(VALU_DEP_1)
	v_cmpx_eq_u32_e32 0, v0
	s_cbranch_execz .LBB4_722
; %bb.721:                              ;   in Loop: Header=BB4_623 Depth=1
	s_bcnt1_i32_b32 s24, s24
	s_delay_alu instid0(SALU_CYCLE_1)
	v_mov_b32_e32 v5, s24
	global_atomic_add_u32 v5, v25, v5, s[8:9] offset:384 glc
.LBB4_722:                              ;   in Loop: Header=BB4_623 Depth=1
	s_or_b32 exec_lo, exec_lo, s7
	s_waitcnt vmcnt(0)
	v_readfirstlane_b32 s7, v5
	s_and_not1_b32 vcc_lo, exec_lo, s11
	s_cbranch_vccnz .LBB4_724
; %bb.723:                              ;   in Loop: Header=BB4_623 Depth=1
	v_ashrrev_i32_e32 v5, 31, v4
	s_delay_alu instid0(VALU_DEP_1) | instskip(NEXT) | instid1(VALU_DEP_1)
	v_lshlrev_b64 v[5:6], 2, v[4:5]
	v_add_co_u32 v5, vcc_lo, s16, v5
	s_delay_alu instid0(VALU_DEP_2)
	v_add_co_ci_u32_e32 v6, vcc_lo, s17, v6, vcc_lo
	global_load_b32 v5, v[5:6], off
	s_cbranch_execz .LBB4_725
	s_branch .LBB4_726
.LBB4_724:                              ;   in Loop: Header=BB4_623 Depth=1
                                        ; implicit-def: $vgpr5
.LBB4_725:                              ;   in Loop: Header=BB4_623 Depth=1
	s_waitcnt vmcnt(0)
	v_add_nc_u32_e32 v5, s12, v4
.LBB4_726:                              ;   in Loop: Header=BB4_623 Depth=1
	v_add_nc_u32_e32 v6, s7, v0
	s_delay_alu instid0(VALU_DEP_1) | instskip(NEXT) | instid1(VALU_DEP_1)
	v_ashrrev_i32_e32 v7, 31, v6
	v_lshlrev_b64 v[6:7], 2, v[6:7]
	s_delay_alu instid0(VALU_DEP_1) | instskip(NEXT) | instid1(VALU_DEP_2)
	v_add_co_u32 v6, vcc_lo, s13, v6
	v_add_co_ci_u32_e32 v7, vcc_lo, s15, v7, vcc_lo
	s_waitcnt vmcnt(0)
	global_store_b32 v[6:7], v5, off
.LBB4_727:                              ;   in Loop: Header=BB4_623 Depth=1
	s_or_b32 exec_lo, exec_lo, s6
	v_cmp_gt_i32_e32 vcc_lo, 0, v1
	s_mov_b32 s6, exec_lo
	v_cndmask_b32_e64 v0, 0x7fffffff, 0, vcc_lo
	s_delay_alu instid0(VALU_DEP_1) | instskip(NEXT) | instid1(VALU_DEP_1)
	v_xor_b32_e32 v0, v0, v1
	v_and_b32_e32 v0, s5, v0
	s_delay_alu instid0(VALU_DEP_1)
	v_cmpx_le_u32_e64 v0, v26
	s_cbranch_execz .LBB4_735
; %bb.728:                              ;   in Loop: Header=BB4_623 Depth=1
	s_mov_b32 s24, exec_lo
	s_mov_b32 s7, exec_lo
	v_mbcnt_lo_u32_b32 v0, s24, 0
                                        ; implicit-def: $vgpr1
	s_delay_alu instid0(VALU_DEP_1)
	v_cmpx_eq_u32_e32 0, v0
	s_cbranch_execz .LBB4_730
; %bb.729:                              ;   in Loop: Header=BB4_623 Depth=1
	s_bcnt1_i32_b32 s24, s24
	s_delay_alu instid0(SALU_CYCLE_1)
	v_mov_b32_e32 v1, s24
	global_atomic_add_u32 v1, v25, v1, s[8:9] offset:384 glc
.LBB4_730:                              ;   in Loop: Header=BB4_623 Depth=1
	s_or_b32 exec_lo, exec_lo, s7
	s_waitcnt vmcnt(0)
	v_readfirstlane_b32 s7, v1
	s_and_not1_b32 vcc_lo, exec_lo, s11
	s_cbranch_vccnz .LBB4_732
; %bb.731:                              ;   in Loop: Header=BB4_623 Depth=1
	v_ashrrev_i32_e32 v5, 31, v4
	s_delay_alu instid0(VALU_DEP_1) | instskip(NEXT) | instid1(VALU_DEP_1)
	v_lshlrev_b64 v[5:6], 2, v[4:5]
	v_add_co_u32 v5, vcc_lo, s14, v5
	s_delay_alu instid0(VALU_DEP_2)
	v_add_co_ci_u32_e32 v6, vcc_lo, s21, v6, vcc_lo
	global_load_b32 v1, v[5:6], off
	s_cbranch_execz .LBB4_733
	s_branch .LBB4_734
.LBB4_732:                              ;   in Loop: Header=BB4_623 Depth=1
                                        ; implicit-def: $vgpr1
.LBB4_733:                              ;   in Loop: Header=BB4_623 Depth=1
	s_waitcnt vmcnt(0)
	v_add3_u32 v1, v4, s12, 1
.LBB4_734:                              ;   in Loop: Header=BB4_623 Depth=1
	v_add_nc_u32_e32 v5, s7, v0
	s_delay_alu instid0(VALU_DEP_1) | instskip(NEXT) | instid1(VALU_DEP_1)
	v_ashrrev_i32_e32 v6, 31, v5
	v_lshlrev_b64 v[5:6], 2, v[5:6]
	s_delay_alu instid0(VALU_DEP_1) | instskip(NEXT) | instid1(VALU_DEP_2)
	v_add_co_u32 v5, vcc_lo, s13, v5
	v_add_co_ci_u32_e32 v6, vcc_lo, s15, v6, vcc_lo
	s_waitcnt vmcnt(0)
	global_store_b32 v[5:6], v1, off
.LBB4_735:                              ;   in Loop: Header=BB4_623 Depth=1
	s_or_b32 exec_lo, exec_lo, s6
	v_cmp_gt_i32_e32 vcc_lo, 0, v2
	s_mov_b32 s6, exec_lo
	v_cndmask_b32_e64 v0, 0x7fffffff, 0, vcc_lo
	s_delay_alu instid0(VALU_DEP_1) | instskip(NEXT) | instid1(VALU_DEP_1)
	v_xor_b32_e32 v0, v0, v2
	v_and_b32_e32 v0, s5, v0
	s_delay_alu instid0(VALU_DEP_1)
	v_cmpx_le_u32_e64 v0, v26
	s_cbranch_execz .LBB4_743
; %bb.736:                              ;   in Loop: Header=BB4_623 Depth=1
	s_mov_b32 s24, exec_lo
	s_mov_b32 s7, exec_lo
	v_mbcnt_lo_u32_b32 v0, s24, 0
                                        ; implicit-def: $vgpr1
	s_delay_alu instid0(VALU_DEP_1)
	v_cmpx_eq_u32_e32 0, v0
	s_cbranch_execz .LBB4_738
; %bb.737:                              ;   in Loop: Header=BB4_623 Depth=1
	s_bcnt1_i32_b32 s24, s24
	s_delay_alu instid0(SALU_CYCLE_1)
	v_mov_b32_e32 v1, s24
	global_atomic_add_u32 v1, v25, v1, s[8:9] offset:384 glc
.LBB4_738:                              ;   in Loop: Header=BB4_623 Depth=1
	s_or_b32 exec_lo, exec_lo, s7
	s_waitcnt vmcnt(0)
	v_readfirstlane_b32 s7, v1
	s_and_not1_b32 vcc_lo, exec_lo, s11
	s_cbranch_vccnz .LBB4_740
; %bb.739:                              ;   in Loop: Header=BB4_623 Depth=1
	v_ashrrev_i32_e32 v5, 31, v4
	s_delay_alu instid0(VALU_DEP_1) | instskip(NEXT) | instid1(VALU_DEP_1)
	v_lshlrev_b64 v[1:2], 2, v[4:5]
	v_add_co_u32 v1, vcc_lo, s34, v1
	s_delay_alu instid0(VALU_DEP_2)
	v_add_co_ci_u32_e32 v2, vcc_lo, s35, v2, vcc_lo
	global_load_b32 v1, v[1:2], off
	s_cbranch_execz .LBB4_741
	s_branch .LBB4_742
.LBB4_740:                              ;   in Loop: Header=BB4_623 Depth=1
                                        ; implicit-def: $vgpr1
.LBB4_741:                              ;   in Loop: Header=BB4_623 Depth=1
	s_waitcnt vmcnt(0)
	v_add3_u32 v1, v4, s12, 2
.LBB4_742:                              ;   in Loop: Header=BB4_623 Depth=1
	v_add_nc_u32_e32 v5, s7, v0
	s_delay_alu instid0(VALU_DEP_1) | instskip(NEXT) | instid1(VALU_DEP_1)
	v_ashrrev_i32_e32 v6, 31, v5
	v_lshlrev_b64 v[5:6], 2, v[5:6]
	s_delay_alu instid0(VALU_DEP_1) | instskip(NEXT) | instid1(VALU_DEP_2)
	v_add_co_u32 v5, vcc_lo, s13, v5
	v_add_co_ci_u32_e32 v6, vcc_lo, s15, v6, vcc_lo
	s_waitcnt vmcnt(0)
	global_store_b32 v[5:6], v1, off
.LBB4_743:                              ;   in Loop: Header=BB4_623 Depth=1
	s_or_b32 exec_lo, exec_lo, s6
	v_cmp_gt_i32_e32 vcc_lo, 0, v3
	s_mov_b32 s6, exec_lo
	v_cndmask_b32_e64 v0, 0x7fffffff, 0, vcc_lo
	s_delay_alu instid0(VALU_DEP_1) | instskip(NEXT) | instid1(VALU_DEP_1)
	v_xor_b32_e32 v0, v0, v3
	v_and_b32_e32 v0, s5, v0
	s_delay_alu instid0(VALU_DEP_1)
	v_cmpx_le_u32_e64 v0, v26
	s_cbranch_execz .LBB4_622
; %bb.744:                              ;   in Loop: Header=BB4_623 Depth=1
	s_mov_b32 s24, exec_lo
	s_mov_b32 s7, exec_lo
	v_mbcnt_lo_u32_b32 v0, s24, 0
                                        ; implicit-def: $vgpr1
	s_delay_alu instid0(VALU_DEP_1)
	v_cmpx_eq_u32_e32 0, v0
	s_cbranch_execz .LBB4_746
; %bb.745:                              ;   in Loop: Header=BB4_623 Depth=1
	s_bcnt1_i32_b32 s24, s24
	s_delay_alu instid0(SALU_CYCLE_1)
	v_mov_b32_e32 v1, s24
	global_atomic_add_u32 v1, v25, v1, s[8:9] offset:384 glc
.LBB4_746:                              ;   in Loop: Header=BB4_623 Depth=1
	s_or_b32 exec_lo, exec_lo, s7
	s_waitcnt vmcnt(0)
	v_readfirstlane_b32 s7, v1
	s_and_not1_b32 vcc_lo, exec_lo, s11
	s_cbranch_vccnz .LBB4_748
; %bb.747:                              ;   in Loop: Header=BB4_623 Depth=1
	v_ashrrev_i32_e32 v5, 31, v4
	s_delay_alu instid0(VALU_DEP_1) | instskip(NEXT) | instid1(VALU_DEP_1)
	v_lshlrev_b64 v[1:2], 2, v[4:5]
	v_add_co_u32 v1, vcc_lo, s36, v1
	s_delay_alu instid0(VALU_DEP_2)
	v_add_co_ci_u32_e32 v2, vcc_lo, s37, v2, vcc_lo
	global_load_b32 v1, v[1:2], off
	s_cbranch_execnz .LBB4_621
	s_branch .LBB4_620
.LBB4_748:                              ;   in Loop: Header=BB4_623 Depth=1
                                        ; implicit-def: $vgpr1
	s_branch .LBB4_620
.LBB4_749:
	s_or_b32 exec_lo, exec_lo, s3
	v_mov_b32_e32 v24, v20
.LBB4_750:
	s_or_b32 exec_lo, exec_lo, s4
	s_delay_alu instid0(SALU_CYCLE_1) | instskip(NEXT) | instid1(VALU_DEP_1)
	s_mov_b32 s3, exec_lo
	v_cmpx_gt_i32_e64 s18, v24
	s_cbranch_execz .LBB4_785
; %bb.751:
	v_lshl_add_u32 v4, v24, 2, s20
	v_mov_b32_e32 v6, 0
	s_lshl_b32 s4, -1, s2
	s_mov_b32 s5, 0
	s_branch .LBB4_755
.LBB4_752:                              ;   in Loop: Header=BB4_755 Depth=1
	s_waitcnt vmcnt(0)
	v_add3_u32 v1, s12, v4, 3
.LBB4_753:                              ;   in Loop: Header=BB4_755 Depth=1
	v_add_nc_u32_e32 v2, s7, v0
	s_delay_alu instid0(VALU_DEP_1) | instskip(NEXT) | instid1(VALU_DEP_1)
	v_ashrrev_i32_e32 v3, 31, v2
	v_lshlrev_b64 v[2:3], 2, v[2:3]
	s_delay_alu instid0(VALU_DEP_1) | instskip(NEXT) | instid1(VALU_DEP_2)
	v_add_co_u32 v2, vcc_lo, s13, v2
	v_add_co_ci_u32_e32 v3, vcc_lo, s15, v3, vcc_lo
	s_waitcnt vmcnt(0)
	global_store_b32 v[2:3], v1, off
.LBB4_754:                              ;   in Loop: Header=BB4_755 Depth=1
	s_or_b32 exec_lo, exec_lo, s6
	v_add_nc_u32_e32 v24, s10, v24
	v_add_nc_u32_e32 v4, s33, v4
	s_delay_alu instid0(VALU_DEP_2) | instskip(SKIP_1) | instid1(SALU_CYCLE_1)
	v_cmp_le_i32_e32 vcc_lo, s18, v24
	s_or_b32 s5, vcc_lo, s5
	s_and_not1_b32 exec_lo, exec_lo, s5
	s_cbranch_execz .LBB4_785
.LBB4_755:                              ; =>This Inner Loop Header: Depth=1
	v_ashrrev_i32_e32 v25, 31, v24
	s_mov_b32 s6, exec_lo
	s_delay_alu instid0(VALU_DEP_1) | instskip(NEXT) | instid1(VALU_DEP_1)
	v_lshlrev_b64 v[0:1], 4, v[24:25]
	v_add_co_u32 v0, vcc_lo, s30, v0
	s_delay_alu instid0(VALU_DEP_2) | instskip(SKIP_4) | instid1(VALU_DEP_1)
	v_add_co_ci_u32_e32 v1, vcc_lo, s31, v1, vcc_lo
	global_load_b128 v[0:3], v[0:1], off
	s_waitcnt vmcnt(0)
	v_cmp_gt_i32_e32 vcc_lo, 0, v0
	v_cndmask_b32_e64 v5, 0x7fffffff, 0, vcc_lo
	v_xor_b32_e32 v0, v5, v0
	s_delay_alu instid0(VALU_DEP_1) | instskip(SKIP_1) | instid1(VALU_DEP_1)
	v_and_b32_e32 v0, s4, v0
	s_waitcnt lgkmcnt(0)
	v_cmpx_le_u32_e64 v0, v26
	s_cbranch_execz .LBB4_763
; %bb.756:                              ;   in Loop: Header=BB4_755 Depth=1
	s_mov_b32 s19, exec_lo
	s_mov_b32 s7, exec_lo
	v_mbcnt_lo_u32_b32 v0, s19, 0
                                        ; implicit-def: $vgpr5
	s_delay_alu instid0(VALU_DEP_1)
	v_cmpx_eq_u32_e32 0, v0
	s_cbranch_execz .LBB4_758
; %bb.757:                              ;   in Loop: Header=BB4_755 Depth=1
	s_bcnt1_i32_b32 s19, s19
	s_delay_alu instid0(SALU_CYCLE_1)
	v_mov_b32_e32 v5, s19
	global_atomic_add_u32 v5, v6, v5, s[8:9] offset:384 glc
.LBB4_758:                              ;   in Loop: Header=BB4_755 Depth=1
	s_or_b32 exec_lo, exec_lo, s7
	s_waitcnt vmcnt(0)
	v_readfirstlane_b32 s7, v5
	s_and_not1_b32 vcc_lo, exec_lo, s11
	s_cbranch_vccnz .LBB4_760
; %bb.759:                              ;   in Loop: Header=BB4_755 Depth=1
	v_ashrrev_i32_e32 v5, 31, v4
	s_delay_alu instid0(VALU_DEP_1) | instskip(NEXT) | instid1(VALU_DEP_1)
	v_lshlrev_b64 v[7:8], 2, v[4:5]
	v_add_co_u32 v7, vcc_lo, s16, v7
	s_delay_alu instid0(VALU_DEP_2)
	v_add_co_ci_u32_e32 v8, vcc_lo, s17, v8, vcc_lo
	global_load_b32 v5, v[7:8], off
	s_cbranch_execz .LBB4_761
	s_branch .LBB4_762
.LBB4_760:                              ;   in Loop: Header=BB4_755 Depth=1
                                        ; implicit-def: $vgpr5
.LBB4_761:                              ;   in Loop: Header=BB4_755 Depth=1
	s_waitcnt vmcnt(0)
	v_add_nc_u32_e32 v5, s12, v4
.LBB4_762:                              ;   in Loop: Header=BB4_755 Depth=1
	v_add_nc_u32_e32 v7, s7, v0
	s_delay_alu instid0(VALU_DEP_1) | instskip(NEXT) | instid1(VALU_DEP_1)
	v_ashrrev_i32_e32 v8, 31, v7
	v_lshlrev_b64 v[7:8], 2, v[7:8]
	s_delay_alu instid0(VALU_DEP_1) | instskip(NEXT) | instid1(VALU_DEP_2)
	v_add_co_u32 v7, vcc_lo, s13, v7
	v_add_co_ci_u32_e32 v8, vcc_lo, s15, v8, vcc_lo
	s_waitcnt vmcnt(0)
	global_store_b32 v[7:8], v5, off
.LBB4_763:                              ;   in Loop: Header=BB4_755 Depth=1
	s_or_b32 exec_lo, exec_lo, s6
	v_cmp_gt_i32_e32 vcc_lo, 0, v1
	s_mov_b32 s6, exec_lo
	v_cndmask_b32_e64 v0, 0x7fffffff, 0, vcc_lo
	s_delay_alu instid0(VALU_DEP_1) | instskip(NEXT) | instid1(VALU_DEP_1)
	v_xor_b32_e32 v0, v0, v1
	v_and_b32_e32 v0, s4, v0
	s_delay_alu instid0(VALU_DEP_1)
	v_cmpx_le_u32_e64 v0, v26
	s_cbranch_execz .LBB4_771
; %bb.764:                              ;   in Loop: Header=BB4_755 Depth=1
	s_mov_b32 s19, exec_lo
	s_mov_b32 s7, exec_lo
	v_mbcnt_lo_u32_b32 v0, s19, 0
                                        ; implicit-def: $vgpr1
	s_delay_alu instid0(VALU_DEP_1)
	v_cmpx_eq_u32_e32 0, v0
	s_cbranch_execz .LBB4_766
; %bb.765:                              ;   in Loop: Header=BB4_755 Depth=1
	s_bcnt1_i32_b32 s19, s19
	s_delay_alu instid0(SALU_CYCLE_1)
	v_mov_b32_e32 v1, s19
	global_atomic_add_u32 v1, v6, v1, s[8:9] offset:384 glc
.LBB4_766:                              ;   in Loop: Header=BB4_755 Depth=1
	s_or_b32 exec_lo, exec_lo, s7
	s_waitcnt vmcnt(0)
	v_readfirstlane_b32 s7, v1
	s_and_not1_b32 vcc_lo, exec_lo, s11
	s_cbranch_vccnz .LBB4_768
; %bb.767:                              ;   in Loop: Header=BB4_755 Depth=1
	v_ashrrev_i32_e32 v5, 31, v4
	s_delay_alu instid0(VALU_DEP_1) | instskip(NEXT) | instid1(VALU_DEP_1)
	v_lshlrev_b64 v[7:8], 2, v[4:5]
	v_add_co_u32 v7, vcc_lo, s14, v7
	s_delay_alu instid0(VALU_DEP_2)
	v_add_co_ci_u32_e32 v8, vcc_lo, s21, v8, vcc_lo
	global_load_b32 v1, v[7:8], off
	s_cbranch_execz .LBB4_769
	s_branch .LBB4_770
.LBB4_768:                              ;   in Loop: Header=BB4_755 Depth=1
                                        ; implicit-def: $vgpr1
.LBB4_769:                              ;   in Loop: Header=BB4_755 Depth=1
	s_waitcnt vmcnt(0)
	v_add3_u32 v1, s12, v4, 1
.LBB4_770:                              ;   in Loop: Header=BB4_755 Depth=1
	v_add_nc_u32_e32 v7, s7, v0
	s_delay_alu instid0(VALU_DEP_1) | instskip(NEXT) | instid1(VALU_DEP_1)
	v_ashrrev_i32_e32 v8, 31, v7
	v_lshlrev_b64 v[7:8], 2, v[7:8]
	s_delay_alu instid0(VALU_DEP_1) | instskip(NEXT) | instid1(VALU_DEP_2)
	v_add_co_u32 v7, vcc_lo, s13, v7
	v_add_co_ci_u32_e32 v8, vcc_lo, s15, v8, vcc_lo
	s_waitcnt vmcnt(0)
	global_store_b32 v[7:8], v1, off
.LBB4_771:                              ;   in Loop: Header=BB4_755 Depth=1
	s_or_b32 exec_lo, exec_lo, s6
	v_cmp_gt_i32_e32 vcc_lo, 0, v2
	s_mov_b32 s6, exec_lo
	v_cndmask_b32_e64 v0, 0x7fffffff, 0, vcc_lo
	s_delay_alu instid0(VALU_DEP_1) | instskip(NEXT) | instid1(VALU_DEP_1)
	v_xor_b32_e32 v0, v0, v2
	v_and_b32_e32 v0, s4, v0
	s_delay_alu instid0(VALU_DEP_1)
	v_cmpx_le_u32_e64 v0, v26
	s_cbranch_execz .LBB4_779
; %bb.772:                              ;   in Loop: Header=BB4_755 Depth=1
	s_mov_b32 s19, exec_lo
	s_mov_b32 s7, exec_lo
	v_mbcnt_lo_u32_b32 v0, s19, 0
                                        ; implicit-def: $vgpr1
	s_delay_alu instid0(VALU_DEP_1)
	v_cmpx_eq_u32_e32 0, v0
	s_cbranch_execz .LBB4_774
; %bb.773:                              ;   in Loop: Header=BB4_755 Depth=1
	s_bcnt1_i32_b32 s19, s19
	s_delay_alu instid0(SALU_CYCLE_1)
	v_mov_b32_e32 v1, s19
	global_atomic_add_u32 v1, v6, v1, s[8:9] offset:384 glc
.LBB4_774:                              ;   in Loop: Header=BB4_755 Depth=1
	s_or_b32 exec_lo, exec_lo, s7
	s_waitcnt vmcnt(0)
	v_readfirstlane_b32 s7, v1
	s_and_not1_b32 vcc_lo, exec_lo, s11
	s_cbranch_vccnz .LBB4_776
; %bb.775:                              ;   in Loop: Header=BB4_755 Depth=1
	v_ashrrev_i32_e32 v5, 31, v4
	s_delay_alu instid0(VALU_DEP_1) | instskip(NEXT) | instid1(VALU_DEP_1)
	v_lshlrev_b64 v[1:2], 2, v[4:5]
	v_add_co_u32 v1, vcc_lo, s34, v1
	s_delay_alu instid0(VALU_DEP_2)
	v_add_co_ci_u32_e32 v2, vcc_lo, s35, v2, vcc_lo
	global_load_b32 v1, v[1:2], off
	s_cbranch_execz .LBB4_777
	s_branch .LBB4_778
.LBB4_776:                              ;   in Loop: Header=BB4_755 Depth=1
                                        ; implicit-def: $vgpr1
.LBB4_777:                              ;   in Loop: Header=BB4_755 Depth=1
	s_waitcnt vmcnt(0)
	v_add3_u32 v1, s12, v4, 2
.LBB4_778:                              ;   in Loop: Header=BB4_755 Depth=1
	v_add_nc_u32_e32 v7, s7, v0
	s_delay_alu instid0(VALU_DEP_1) | instskip(NEXT) | instid1(VALU_DEP_1)
	v_ashrrev_i32_e32 v8, 31, v7
	v_lshlrev_b64 v[7:8], 2, v[7:8]
	s_delay_alu instid0(VALU_DEP_1) | instskip(NEXT) | instid1(VALU_DEP_2)
	v_add_co_u32 v7, vcc_lo, s13, v7
	v_add_co_ci_u32_e32 v8, vcc_lo, s15, v8, vcc_lo
	s_waitcnt vmcnt(0)
	global_store_b32 v[7:8], v1, off
.LBB4_779:                              ;   in Loop: Header=BB4_755 Depth=1
	s_or_b32 exec_lo, exec_lo, s6
	v_cmp_gt_i32_e32 vcc_lo, 0, v3
	s_mov_b32 s6, exec_lo
	v_cndmask_b32_e64 v0, 0x7fffffff, 0, vcc_lo
	s_delay_alu instid0(VALU_DEP_1) | instskip(NEXT) | instid1(VALU_DEP_1)
	v_xor_b32_e32 v0, v0, v3
	v_and_b32_e32 v0, s4, v0
	s_delay_alu instid0(VALU_DEP_1)
	v_cmpx_le_u32_e64 v0, v26
	s_cbranch_execz .LBB4_754
; %bb.780:                              ;   in Loop: Header=BB4_755 Depth=1
	s_mov_b32 s19, exec_lo
	s_mov_b32 s7, exec_lo
	v_mbcnt_lo_u32_b32 v0, s19, 0
                                        ; implicit-def: $vgpr1
	s_delay_alu instid0(VALU_DEP_1)
	v_cmpx_eq_u32_e32 0, v0
	s_cbranch_execz .LBB4_782
; %bb.781:                              ;   in Loop: Header=BB4_755 Depth=1
	s_bcnt1_i32_b32 s19, s19
	s_delay_alu instid0(SALU_CYCLE_1)
	v_mov_b32_e32 v1, s19
	global_atomic_add_u32 v1, v6, v1, s[8:9] offset:384 glc
.LBB4_782:                              ;   in Loop: Header=BB4_755 Depth=1
	s_or_b32 exec_lo, exec_lo, s7
	s_waitcnt vmcnt(0)
	v_readfirstlane_b32 s7, v1
	s_and_not1_b32 vcc_lo, exec_lo, s11
	s_cbranch_vccnz .LBB4_784
; %bb.783:                              ;   in Loop: Header=BB4_755 Depth=1
	v_ashrrev_i32_e32 v5, 31, v4
	s_delay_alu instid0(VALU_DEP_1) | instskip(NEXT) | instid1(VALU_DEP_1)
	v_lshlrev_b64 v[1:2], 2, v[4:5]
	v_add_co_u32 v1, vcc_lo, s36, v1
	s_delay_alu instid0(VALU_DEP_2)
	v_add_co_ci_u32_e32 v2, vcc_lo, s37, v2, vcc_lo
	global_load_b32 v1, v[1:2], off
	s_cbranch_execnz .LBB4_753
	s_branch .LBB4_752
.LBB4_784:                              ;   in Loop: Header=BB4_755 Depth=1
                                        ; implicit-def: $vgpr1
	s_branch .LBB4_752
.LBB4_785:
	s_or_b32 exec_lo, exec_lo, s3
	s_and_saveexec_b32 s3, s1
	s_cbranch_execz .LBB4_792
; %bb.786:
	global_load_b32 v0, v[16:17], off
	s_lshl_b32 s1, -1, s2
	s_waitcnt vmcnt(0)
	v_cmp_gt_i32_e32 vcc_lo, 0, v0
	v_cndmask_b32_e64 v1, 0x7fffffff, 0, vcc_lo
	s_delay_alu instid0(VALU_DEP_1) | instskip(NEXT) | instid1(VALU_DEP_1)
	v_xor_b32_e32 v0, v1, v0
	v_and_b32_e32 v0, s1, v0
	s_waitcnt lgkmcnt(0)
	s_delay_alu instid0(VALU_DEP_1)
	v_cmp_le_u32_e32 vcc_lo, v0, v26
	s_and_b32 exec_lo, exec_lo, vcc_lo
	s_cbranch_execz .LBB4_792
; %bb.787:
	s_mov_b32 s4, exec_lo
	s_mov_b32 s1, exec_lo
	v_mbcnt_lo_u32_b32 v0, s4, 0
                                        ; implicit-def: $vgpr1
	s_delay_alu instid0(VALU_DEP_1)
	v_cmpx_eq_u32_e32 0, v0
	s_cbranch_execz .LBB4_789
; %bb.788:
	s_bcnt1_i32_b32 s4, s4
	s_delay_alu instid0(SALU_CYCLE_1)
	v_dual_mov_b32 v1, 0 :: v_dual_mov_b32 v2, s4
	global_atomic_add_u32 v1, v1, v2, s[8:9] offset:384 glc
.LBB4_789:
	s_or_b32 exec_lo, exec_lo, s1
	s_waitcnt vmcnt(0)
	v_readfirstlane_b32 s1, v1
	s_and_not1_b32 vcc_lo, exec_lo, s11
	s_cbranch_vccnz .LBB4_791
; %bb.790:
	global_load_b32 v42, v[18:19], off
.LBB4_791:
	s_delay_alu instid0(VALU_DEP_1) | instskip(NEXT) | instid1(VALU_DEP_1)
	v_add_nc_u32_e32 v0, s1, v0
	v_ashrrev_i32_e32 v1, 31, v0
	s_delay_alu instid0(VALU_DEP_1) | instskip(NEXT) | instid1(VALU_DEP_1)
	v_lshlrev_b64 v[0:1], 2, v[0:1]
	v_add_co_u32 v0, vcc_lo, s13, v0
	s_delay_alu instid0(VALU_DEP_2)
	v_add_co_ci_u32_e32 v1, vcc_lo, s15, v1, vcc_lo
	s_waitcnt vmcnt(0)
	global_store_b32 v[0:1], v42, off
.LBB4_792:
	s_or_b32 exec_lo, exec_lo, s3
	s_and_saveexec_b32 s1, s0
	s_cbranch_execz .LBB4_799
; %bb.793:
	global_load_b32 v0, v[12:13], off
	s_lshl_b32 s0, -1, s2
	s_waitcnt vmcnt(0)
	v_cmp_gt_i32_e32 vcc_lo, 0, v0
	v_cndmask_b32_e64 v1, 0x7fffffff, 0, vcc_lo
	s_delay_alu instid0(VALU_DEP_1) | instskip(NEXT) | instid1(VALU_DEP_1)
	v_xor_b32_e32 v0, v1, v0
	v_and_b32_e32 v0, s0, v0
	s_waitcnt lgkmcnt(0)
	s_delay_alu instid0(VALU_DEP_1)
	v_cmp_le_u32_e32 vcc_lo, v0, v26
	s_and_b32 exec_lo, exec_lo, vcc_lo
	s_cbranch_execz .LBB4_799
; %bb.794:
	s_mov_b32 s1, exec_lo
	s_mov_b32 s0, exec_lo
	v_mbcnt_lo_u32_b32 v0, s1, 0
                                        ; implicit-def: $vgpr1
	s_delay_alu instid0(VALU_DEP_1)
	v_cmpx_eq_u32_e32 0, v0
	s_cbranch_execz .LBB4_796
; %bb.795:
	s_bcnt1_i32_b32 s1, s1
	s_delay_alu instid0(SALU_CYCLE_1)
	v_dual_mov_b32 v1, 0 :: v_dual_mov_b32 v2, s1
	global_atomic_add_u32 v1, v1, v2, s[8:9] offset:384 glc
.LBB4_796:
	s_or_b32 exec_lo, exec_lo, s0
	s_waitcnt vmcnt(0)
	v_readfirstlane_b32 s0, v1
	s_and_not1_b32 vcc_lo, exec_lo, s11
	s_cbranch_vccnz .LBB4_798
; %bb.797:
	global_load_b32 v41, v[14:15], off
.LBB4_798:
	s_delay_alu instid0(VALU_DEP_1) | instskip(NEXT) | instid1(VALU_DEP_1)
	v_add_nc_u32_e32 v0, s0, v0
	v_ashrrev_i32_e32 v1, 31, v0
	s_delay_alu instid0(VALU_DEP_1) | instskip(NEXT) | instid1(VALU_DEP_1)
	v_lshlrev_b64 v[0:1], 2, v[0:1]
	v_add_co_u32 v0, vcc_lo, s13, v0
	s_delay_alu instid0(VALU_DEP_2)
	v_add_co_ci_u32_e32 v1, vcc_lo, s15, v1, vcc_lo
	s_waitcnt vmcnt(0)
	global_store_b32 v[0:1], v41, off
.LBB4_799:
	s_nop 0
	s_sendmsg sendmsg(MSG_DEALLOC_VGPRS)
	s_endpgm
	.section	.rodata,"a",@progbits
	.p2align	6, 0x0
	.amdhsa_kernel _ZN5aiter2mb23radix_kernel_persistentIfiLi10ELi1024ELb0ELb0ELNS0_5PhaseE0EEEvPKT_PKT0_PS3_PS6_PNS0_7CounterIS3_S6_EESA_S6_S8_S8_S6_S6_b
		.amdhsa_group_segment_fixed_size 8592
		.amdhsa_private_segment_fixed_size 0
		.amdhsa_kernarg_size 344
		.amdhsa_user_sgpr_count 14
		.amdhsa_user_sgpr_dispatch_ptr 0
		.amdhsa_user_sgpr_queue_ptr 0
		.amdhsa_user_sgpr_kernarg_segment_ptr 1
		.amdhsa_user_sgpr_dispatch_id 0
		.amdhsa_user_sgpr_private_segment_size 0
		.amdhsa_wavefront_size32 1
		.amdhsa_uses_dynamic_stack 0
		.amdhsa_enable_private_segment 0
		.amdhsa_system_sgpr_workgroup_id_x 1
		.amdhsa_system_sgpr_workgroup_id_y 1
		.amdhsa_system_sgpr_workgroup_id_z 0
		.amdhsa_system_sgpr_workgroup_info 0
		.amdhsa_system_vgpr_workitem_id 2
		.amdhsa_next_free_vgpr 68
		.amdhsa_next_free_sgpr 52
		.amdhsa_reserve_vcc 1
		.amdhsa_float_round_mode_32 0
		.amdhsa_float_round_mode_16_64 0
		.amdhsa_float_denorm_mode_32 3
		.amdhsa_float_denorm_mode_16_64 3
		.amdhsa_dx10_clamp 1
		.amdhsa_ieee_mode 1
		.amdhsa_fp16_overflow 0
		.amdhsa_workgroup_processor_mode 1
		.amdhsa_memory_ordered 1
		.amdhsa_forward_progress 0
		.amdhsa_shared_vgpr_count 0
		.amdhsa_exception_fp_ieee_invalid_op 0
		.amdhsa_exception_fp_denorm_src 0
		.amdhsa_exception_fp_ieee_div_zero 0
		.amdhsa_exception_fp_ieee_overflow 0
		.amdhsa_exception_fp_ieee_underflow 0
		.amdhsa_exception_fp_ieee_inexact 0
		.amdhsa_exception_int_div_zero 0
	.end_amdhsa_kernel
	.section	.text._ZN5aiter2mb23radix_kernel_persistentIfiLi10ELi1024ELb0ELb0ELNS0_5PhaseE0EEEvPKT_PKT0_PS3_PS6_PNS0_7CounterIS3_S6_EESA_S6_S8_S8_S6_S6_b,"axG",@progbits,_ZN5aiter2mb23radix_kernel_persistentIfiLi10ELi1024ELb0ELb0ELNS0_5PhaseE0EEEvPKT_PKT0_PS3_PS6_PNS0_7CounterIS3_S6_EESA_S6_S8_S8_S6_S6_b,comdat
.Lfunc_end4:
	.size	_ZN5aiter2mb23radix_kernel_persistentIfiLi10ELi1024ELb0ELb0ELNS0_5PhaseE0EEEvPKT_PKT0_PS3_PS6_PNS0_7CounterIS3_S6_EESA_S6_S8_S8_S6_S6_b, .Lfunc_end4-_ZN5aiter2mb23radix_kernel_persistentIfiLi10ELi1024ELb0ELb0ELNS0_5PhaseE0EEEvPKT_PKT0_PS3_PS6_PNS0_7CounterIS3_S6_EESA_S6_S8_S8_S6_S6_b
                                        ; -- End function
	.section	.AMDGPU.csdata,"",@progbits
; Kernel info:
; codeLenInByte = 23668
; NumSgprs: 54
; NumVgprs: 68
; ScratchSize: 0
; MemoryBound: 0
; FloatMode: 240
; IeeeMode: 1
; LDSByteSize: 8592 bytes/workgroup (compile time only)
; SGPRBlocks: 6
; VGPRBlocks: 8
; NumSGPRsForWavesPerEU: 54
; NumVGPRsForWavesPerEU: 68
; Occupancy: 16
; WaveLimiterHint : 0
; COMPUTE_PGM_RSRC2:SCRATCH_EN: 0
; COMPUTE_PGM_RSRC2:USER_SGPR: 14
; COMPUTE_PGM_RSRC2:TRAP_HANDLER: 0
; COMPUTE_PGM_RSRC2:TGID_X_EN: 1
; COMPUTE_PGM_RSRC2:TGID_Y_EN: 1
; COMPUTE_PGM_RSRC2:TGID_Z_EN: 0
; COMPUTE_PGM_RSRC2:TIDIG_COMP_CNT: 2
	.text
	.p2align	2                               ; -- Begin function _ZN5aiter2ob11last_filterIfiLi12ELb1ELb0EEEvPKT_PKT0_PS2_PS5_S5_S5_PNS0_7CounterIS2_S5_EEbib
	.type	_ZN5aiter2ob11last_filterIfiLi12ELb1ELb0EEEvPKT_PKT0_PS2_PS5_S5_S5_PNS0_7CounterIS2_S5_EEbib,@function
_ZN5aiter2ob11last_filterIfiLi12ELb1ELb0EEEvPKT_PKT0_PS2_PS5_S5_S5_PNS0_7CounterIS2_S5_EEbib: ; @_ZN5aiter2ob11last_filterIfiLi12ELb1ELb0EEEvPKT_PKT0_PS2_PS5_S5_S5_PNS0_7CounterIS2_S5_EEbib
; %bb.0:
	s_waitcnt vmcnt(0) expcnt(0) lgkmcnt(0)
	v_dual_mov_b32 v11, 0 :: v_dual_and_b32 v24, 0x3ff, v31
	v_mad_u64_u32 v[12:13], null, v10, -12, 20
	s_mov_b32 s0, exec_lo
	ds_load_2addr_b32 v[22:23], v11 offset1:3
	v_max_i32_e32 v19, 0, v12
	v_cmpx_ne_u64_e32 0, v[2:3]
	s_xor_b32 s1, exec_lo, s0
	s_cbranch_execnz .LBB5_3
; %bb.1:
	s_and_not1_saveexec_b32 s0, s1
	s_cbranch_execnz .LBB5_137
.LBB5_2:
	s_or_b32 exec_lo, exec_lo, s0
	s_waitcnt vmcnt(0) lgkmcnt(0)
	s_setpc_b64 s[30:31]
.LBB5_3:
	s_load_b32 s0, s[8:9], 0x0
	v_and_b32_e32 v10, 0x3ff, v31
	s_waitcnt lgkmcnt(0)
	s_cmp_lt_u32 s12, s0
	s_cselect_b32 s0, 12, 18
	s_delay_alu instid0(SALU_CYCLE_1)
	s_add_u32 s2, s8, s0
	s_addc_u32 s3, s9, 0
	global_load_u16 v11, v11, s[2:3]
	s_mov_b32 s3, exec_lo
	s_waitcnt vmcnt(0)
	v_mul_lo_u32 v20, v11, 7
	v_readfirstlane_b32 s2, v11
	s_delay_alu instid0(VALU_DEP_2) | instskip(NEXT) | instid1(VALU_DEP_1)
	v_add_nc_u32_e32 v12, v10, v20
	v_cmpx_lt_i32_e64 v12, v8
	s_cbranch_execz .LBB5_119
; %bb.4:
	v_dual_mov_b32 v16, 0 :: v_dual_lshlrev_b32 v13, 2, v10
	v_lshlrev_b32_e64 v21, v19, -1
	s_lshl_b32 s4, s2, 3
	s_lshl_b32 s5, s2, 1
	s_delay_alu instid0(VALU_DEP_2)
	v_add_co_u32 v11, vcc_lo, v0, v13
	v_add_co_ci_u32_e32 v12, vcc_lo, 0, v1, vcc_lo
	v_add_co_u32 v13, vcc_lo, v2, v13
	v_add_co_ci_u32_e32 v14, vcc_lo, 0, v3, vcc_lo
	s_mul_i32 s6, s2, 3
	s_lshl_b32 s7, s2, 2
	s_mul_i32 s10, s2, 5
	s_mul_i32 s13, s2, 6
	s_mov_b32 s11, 0
	s_lshl_b32 s14, s2, 5
	s_branch .LBB5_6
.LBB5_5:                                ;   in Loop: Header=BB5_6 Depth=1
	s_or_b32 exec_lo, exec_lo, s0
	v_add_nc_u32_e32 v10, s4, v10
	v_add_co_u32 v11, vcc_lo, v11, s14
	v_add_co_ci_u32_e32 v12, vcc_lo, 0, v12, vcc_lo
	s_delay_alu instid0(VALU_DEP_3) | instskip(SKIP_1) | instid1(VALU_DEP_1)
	v_add_nc_u32_e32 v15, v20, v10
	v_add_co_u32 v13, s0, v13, s14
	v_add_co_ci_u32_e64 v14, s0, 0, v14, s0
	s_delay_alu instid0(VALU_DEP_3) | instskip(SKIP_1) | instid1(SALU_CYCLE_1)
	v_cmp_ge_i32_e32 vcc_lo, v15, v8
	s_or_b32 s11, vcc_lo, s11
	s_and_not1_b32 exec_lo, exec_lo, s11
	s_cbranch_execz .LBB5_118
.LBB5_6:                                ; =>This Inner Loop Header: Depth=1
	v_add_nc_u32_e32 v15, s5, v10
	v_add_co_u32 v17, vcc_lo, v11, s7
	v_add_co_ci_u32_e32 v18, vcc_lo, 0, v12, vcc_lo
	s_delay_alu instid0(VALU_DEP_3)
	v_lshlrev_b64 v[48:49], 2, v[15:16]
	v_add_nc_u32_e32 v15, s6, v10
	s_clause 0x1
	flat_load_b32 v37, v[11:12]
	flat_load_b32 v35, v[17:18]
	s_waitcnt vmcnt(2) lgkmcnt(2)
	v_add_nc_u32_e32 v24, v20, v10
	v_mov_b32_e32 v25, v16
	s_mov_b32 s15, 0
	v_lshlrev_b64 v[17:18], 2, v[15:16]
	v_add_nc_u32_e32 v15, s7, v10
	v_add_co_u32 v26, vcc_lo, v0, v48
	v_add_co_ci_u32_e32 v27, vcc_lo, v1, v49, vcc_lo
	s_delay_alu instid0(VALU_DEP_3) | instskip(SKIP_3) | instid1(VALU_DEP_3)
	v_lshlrev_b64 v[50:51], 2, v[15:16]
	v_add_nc_u32_e32 v15, s10, v10
	v_add_co_u32 v28, vcc_lo, v0, v17
	v_add_co_ci_u32_e32 v29, vcc_lo, v1, v18, vcc_lo
	v_lshlrev_b64 v[52:53], 2, v[15:16]
	v_add_nc_u32_e32 v15, s13, v10
	v_add_co_u32 v38, vcc_lo, v0, v50
	v_add_co_ci_u32_e32 v39, vcc_lo, v1, v51, vcc_lo
	s_delay_alu instid0(VALU_DEP_3) | instskip(SKIP_3) | instid1(VALU_DEP_4)
	v_lshlrev_b64 v[54:55], 2, v[15:16]
	v_add_co_u32 v64, vcc_lo, v0, v52
	v_lshlrev_b64 v[66:67], 2, v[24:25]
	v_add_co_ci_u32_e32 v65, vcc_lo, v1, v53, vcc_lo
	v_add_co_u32 v24, vcc_lo, v0, v54
	v_add_co_ci_u32_e32 v25, vcc_lo, v1, v55, vcc_lo
	s_delay_alu instid0(VALU_DEP_4)
	v_add_co_u32 v68, vcc_lo, v0, v66
	v_add_co_ci_u32_e32 v69, vcc_lo, v1, v67, vcc_lo
	v_add_co_u32 v70, vcc_lo, v13, s7
	v_add_co_ci_u32_e32 v71, vcc_lo, 0, v14, vcc_lo
	;; [unrolled: 2-line block ×7, first 2 shown]
	s_clause 0x5
	flat_load_b32 v33, v[26:27]
	flat_load_b32 v31, v[28:29]
	;; [unrolled: 1-line block ×6, first 2 shown]
	s_clause 0x1
	flat_load_b32 v38, v[13:14]
	flat_load_b32 v36, v[70:71]
	v_add_co_u32 v64, vcc_lo, v2, v66
	v_add_co_ci_u32_e32 v65, vcc_lo, v3, v67, vcc_lo
	s_clause 0x5
	flat_load_b32 v34, v[48:49]
	flat_load_b32 v32, v[17:18]
	;; [unrolled: 1-line block ×6, first 2 shown]
	s_mov_b32 s0, exec_lo
	s_waitcnt vmcnt(15) lgkmcnt(15)
	v_cmp_gt_i32_e32 vcc_lo, 0, v37
	v_cndmask_b32_e64 v17, 0x7fffffff, 0, vcc_lo
	s_delay_alu instid0(VALU_DEP_1) | instskip(NEXT) | instid1(VALU_DEP_1)
	v_xor_b32_e32 v17, v17, v37
	v_and_b32_e32 v18, v17, v21
                                        ; implicit-def: $vgpr17
	s_delay_alu instid0(VALU_DEP_1)
	v_cmpx_ge_u32_e64 v18, v23
	s_xor_b32 s0, exec_lo, s0
	s_cbranch_execnz .LBB5_37
; %bb.7:                                ;   in Loop: Header=BB5_6 Depth=1
	s_and_not1_saveexec_b32 s0, s0
	s_cbranch_execnz .LBB5_44
.LBB5_8:                                ;   in Loop: Header=BB5_6 Depth=1
	s_or_b32 exec_lo, exec_lo, s0
	s_and_saveexec_b32 s0, s15
	s_cbranch_execz .LBB5_10
.LBB5_9:                                ;   in Loop: Header=BB5_6 Depth=1
	v_ashrrev_i32_e32 v18, 31, v17
	s_delay_alu instid0(VALU_DEP_1) | instskip(NEXT) | instid1(VALU_DEP_1)
	v_lshlrev_b64 v[17:18], 2, v[17:18]
	v_add_co_u32 v48, vcc_lo, v4, v17
	s_delay_alu instid0(VALU_DEP_2)
	v_add_co_ci_u32_e32 v49, vcc_lo, v5, v18, vcc_lo
	v_add_co_u32 v17, vcc_lo, v6, v17
	v_add_co_ci_u32_e32 v18, vcc_lo, v7, v18, vcc_lo
	flat_store_b32 v[48:49], v37
	s_waitcnt vmcnt(7) lgkmcnt(8)
	flat_store_b32 v[17:18], v38
.LBB5_10:                               ;   in Loop: Header=BB5_6 Depth=1
	s_or_b32 exec_lo, exec_lo, s0
	s_waitcnt vmcnt(14) lgkmcnt(14)
	v_cmp_gt_i32_e32 vcc_lo, 0, v35
	s_mov_b32 s15, 0
	s_mov_b32 s0, exec_lo
	v_cndmask_b32_e64 v17, 0x7fffffff, 0, vcc_lo
	s_delay_alu instid0(VALU_DEP_1) | instskip(NEXT) | instid1(VALU_DEP_1)
	v_xor_b32_e32 v17, v17, v35
	v_and_b32_e32 v18, v17, v21
                                        ; implicit-def: $vgpr17
	s_delay_alu instid0(VALU_DEP_1)
	v_cmpx_ge_u32_e64 v18, v23
	s_xor_b32 s0, exec_lo, s0
	s_cbranch_execnz .LBB5_47
; %bb.11:                               ;   in Loop: Header=BB5_6 Depth=1
	s_and_not1_saveexec_b32 s0, s0
	s_cbranch_execnz .LBB5_54
.LBB5_12:                               ;   in Loop: Header=BB5_6 Depth=1
	s_or_b32 exec_lo, exec_lo, s0
	s_and_saveexec_b32 s0, s15
	s_cbranch_execz .LBB5_14
.LBB5_13:                               ;   in Loop: Header=BB5_6 Depth=1
	v_ashrrev_i32_e32 v18, 31, v17
	s_delay_alu instid0(VALU_DEP_1) | instskip(NEXT) | instid1(VALU_DEP_1)
	v_lshlrev_b64 v[17:18], 2, v[17:18]
	v_add_co_u32 v37, vcc_lo, v4, v17
	s_waitcnt vmcnt(7) lgkmcnt(7)
	s_delay_alu instid0(VALU_DEP_2)
	v_add_co_ci_u32_e32 v38, vcc_lo, v5, v18, vcc_lo
	v_add_co_u32 v17, vcc_lo, v6, v17
	v_add_co_ci_u32_e32 v18, vcc_lo, v7, v18, vcc_lo
	flat_store_b32 v[37:38], v35
	s_waitcnt vmcnt(6) lgkmcnt(7)
	flat_store_b32 v[17:18], v36
.LBB5_14:                               ;   in Loop: Header=BB5_6 Depth=1
	s_or_b32 exec_lo, exec_lo, s0
	s_waitcnt vmcnt(13) lgkmcnt(13)
	v_cmp_gt_i32_e32 vcc_lo, 0, v33
	s_mov_b32 s15, 0
	s_mov_b32 s0, exec_lo
	v_cndmask_b32_e64 v17, 0x7fffffff, 0, vcc_lo
	s_delay_alu instid0(VALU_DEP_1) | instskip(NEXT) | instid1(VALU_DEP_1)
	v_xor_b32_e32 v17, v17, v33
	v_and_b32_e32 v18, v17, v21
                                        ; implicit-def: $vgpr17
	s_delay_alu instid0(VALU_DEP_1)
	v_cmpx_ge_u32_e64 v18, v23
	s_xor_b32 s0, exec_lo, s0
	s_cbranch_execnz .LBB5_57
; %bb.15:                               ;   in Loop: Header=BB5_6 Depth=1
	s_and_not1_saveexec_b32 s0, s0
	s_cbranch_execnz .LBB5_64
.LBB5_16:                               ;   in Loop: Header=BB5_6 Depth=1
	s_or_b32 exec_lo, exec_lo, s0
	s_and_saveexec_b32 s0, s15
	s_cbranch_execz .LBB5_18
.LBB5_17:                               ;   in Loop: Header=BB5_6 Depth=1
	v_ashrrev_i32_e32 v18, 31, v17
	s_delay_alu instid0(VALU_DEP_1) | instskip(NEXT) | instid1(VALU_DEP_1)
	v_lshlrev_b64 v[17:18], 2, v[17:18]
	v_add_co_u32 v35, vcc_lo, v4, v17
	s_waitcnt vmcnt(6) lgkmcnt(6)
	s_delay_alu instid0(VALU_DEP_2)
	v_add_co_ci_u32_e32 v36, vcc_lo, v5, v18, vcc_lo
	v_add_co_u32 v17, vcc_lo, v6, v17
	v_add_co_ci_u32_e32 v18, vcc_lo, v7, v18, vcc_lo
	flat_store_b32 v[35:36], v33
	s_waitcnt vmcnt(5) lgkmcnt(6)
	flat_store_b32 v[17:18], v34
.LBB5_18:                               ;   in Loop: Header=BB5_6 Depth=1
	s_or_b32 exec_lo, exec_lo, s0
	s_waitcnt vmcnt(12) lgkmcnt(12)
	v_cmp_gt_i32_e32 vcc_lo, 0, v31
	s_mov_b32 s15, 0
	s_mov_b32 s0, exec_lo
	v_cndmask_b32_e64 v17, 0x7fffffff, 0, vcc_lo
	s_delay_alu instid0(VALU_DEP_1) | instskip(NEXT) | instid1(VALU_DEP_1)
	v_xor_b32_e32 v17, v17, v31
	v_and_b32_e32 v18, v17, v21
                                        ; implicit-def: $vgpr17
	s_delay_alu instid0(VALU_DEP_1)
	v_cmpx_ge_u32_e64 v18, v23
	s_xor_b32 s0, exec_lo, s0
	s_cbranch_execnz .LBB5_67
; %bb.19:                               ;   in Loop: Header=BB5_6 Depth=1
	s_and_not1_saveexec_b32 s0, s0
	s_cbranch_execnz .LBB5_74
.LBB5_20:                               ;   in Loop: Header=BB5_6 Depth=1
	s_or_b32 exec_lo, exec_lo, s0
	s_and_saveexec_b32 s0, s15
	s_cbranch_execz .LBB5_22
.LBB5_21:                               ;   in Loop: Header=BB5_6 Depth=1
	v_ashrrev_i32_e32 v18, 31, v17
	s_delay_alu instid0(VALU_DEP_1) | instskip(NEXT) | instid1(VALU_DEP_1)
	v_lshlrev_b64 v[17:18], 2, v[17:18]
	v_add_co_u32 v33, vcc_lo, v4, v17
	s_waitcnt vmcnt(5) lgkmcnt(5)
	s_delay_alu instid0(VALU_DEP_2)
	v_add_co_ci_u32_e32 v34, vcc_lo, v5, v18, vcc_lo
	v_add_co_u32 v17, vcc_lo, v6, v17
	v_add_co_ci_u32_e32 v18, vcc_lo, v7, v18, vcc_lo
	flat_store_b32 v[33:34], v31
	s_waitcnt vmcnt(4) lgkmcnt(5)
	flat_store_b32 v[17:18], v32
.LBB5_22:                               ;   in Loop: Header=BB5_6 Depth=1
	s_or_b32 exec_lo, exec_lo, s0
	s_waitcnt vmcnt(11) lgkmcnt(11)
	v_cmp_gt_i32_e32 vcc_lo, 0, v29
	s_mov_b32 s15, 0
	s_mov_b32 s0, exec_lo
	v_cndmask_b32_e64 v17, 0x7fffffff, 0, vcc_lo
	s_delay_alu instid0(VALU_DEP_1) | instskip(NEXT) | instid1(VALU_DEP_1)
	v_xor_b32_e32 v17, v17, v29
	v_and_b32_e32 v18, v17, v21
                                        ; implicit-def: $vgpr17
	s_delay_alu instid0(VALU_DEP_1)
	v_cmpx_ge_u32_e64 v18, v23
	s_xor_b32 s0, exec_lo, s0
	s_cbranch_execnz .LBB5_77
; %bb.23:                               ;   in Loop: Header=BB5_6 Depth=1
	s_and_not1_saveexec_b32 s0, s0
	s_cbranch_execnz .LBB5_84
.LBB5_24:                               ;   in Loop: Header=BB5_6 Depth=1
	s_or_b32 exec_lo, exec_lo, s0
	s_and_saveexec_b32 s0, s15
	s_cbranch_execz .LBB5_26
.LBB5_25:                               ;   in Loop: Header=BB5_6 Depth=1
	v_ashrrev_i32_e32 v18, 31, v17
	s_delay_alu instid0(VALU_DEP_1) | instskip(NEXT) | instid1(VALU_DEP_1)
	v_lshlrev_b64 v[17:18], 2, v[17:18]
	v_add_co_u32 v31, vcc_lo, v4, v17
	s_waitcnt vmcnt(4) lgkmcnt(4)
	s_delay_alu instid0(VALU_DEP_2)
	v_add_co_ci_u32_e32 v32, vcc_lo, v5, v18, vcc_lo
	v_add_co_u32 v17, vcc_lo, v6, v17
	v_add_co_ci_u32_e32 v18, vcc_lo, v7, v18, vcc_lo
	flat_store_b32 v[31:32], v29
	s_waitcnt vmcnt(3) lgkmcnt(4)
	flat_store_b32 v[17:18], v30
.LBB5_26:                               ;   in Loop: Header=BB5_6 Depth=1
	s_or_b32 exec_lo, exec_lo, s0
	s_waitcnt vmcnt(10) lgkmcnt(10)
	v_cmp_gt_i32_e32 vcc_lo, 0, v27
	s_mov_b32 s15, 0
	s_mov_b32 s0, exec_lo
	v_cndmask_b32_e64 v17, 0x7fffffff, 0, vcc_lo
	s_delay_alu instid0(VALU_DEP_1) | instskip(NEXT) | instid1(VALU_DEP_1)
	v_xor_b32_e32 v17, v17, v27
	v_and_b32_e32 v18, v17, v21
                                        ; implicit-def: $vgpr17
	s_delay_alu instid0(VALU_DEP_1)
	v_cmpx_ge_u32_e64 v18, v23
	s_xor_b32 s0, exec_lo, s0
	s_cbranch_execnz .LBB5_87
; %bb.27:                               ;   in Loop: Header=BB5_6 Depth=1
	s_and_not1_saveexec_b32 s0, s0
	s_cbranch_execnz .LBB5_94
.LBB5_28:                               ;   in Loop: Header=BB5_6 Depth=1
	s_or_b32 exec_lo, exec_lo, s0
	s_and_saveexec_b32 s0, s15
	s_cbranch_execz .LBB5_30
.LBB5_29:                               ;   in Loop: Header=BB5_6 Depth=1
	v_ashrrev_i32_e32 v18, 31, v17
	s_delay_alu instid0(VALU_DEP_1) | instskip(NEXT) | instid1(VALU_DEP_1)
	v_lshlrev_b64 v[17:18], 2, v[17:18]
	v_add_co_u32 v29, vcc_lo, v4, v17
	s_waitcnt vmcnt(3) lgkmcnt(3)
	s_delay_alu instid0(VALU_DEP_2)
	v_add_co_ci_u32_e32 v30, vcc_lo, v5, v18, vcc_lo
	v_add_co_u32 v17, vcc_lo, v6, v17
	v_add_co_ci_u32_e32 v18, vcc_lo, v7, v18, vcc_lo
	flat_store_b32 v[29:30], v27
	s_waitcnt vmcnt(2) lgkmcnt(3)
	flat_store_b32 v[17:18], v28
.LBB5_30:                               ;   in Loop: Header=BB5_6 Depth=1
	s_or_b32 exec_lo, exec_lo, s0
	s_waitcnt vmcnt(9) lgkmcnt(9)
	v_cmp_gt_i32_e32 vcc_lo, 0, v25
	s_mov_b32 s15, 0
	s_mov_b32 s0, exec_lo
	v_cndmask_b32_e64 v17, 0x7fffffff, 0, vcc_lo
	s_delay_alu instid0(VALU_DEP_1) | instskip(NEXT) | instid1(VALU_DEP_1)
	v_xor_b32_e32 v17, v17, v25
	v_and_b32_e32 v18, v17, v21
                                        ; implicit-def: $vgpr17
	s_delay_alu instid0(VALU_DEP_1)
	v_cmpx_ge_u32_e64 v18, v23
	s_xor_b32 s0, exec_lo, s0
	s_cbranch_execnz .LBB5_97
; %bb.31:                               ;   in Loop: Header=BB5_6 Depth=1
	s_and_not1_saveexec_b32 s0, s0
	s_cbranch_execnz .LBB5_104
.LBB5_32:                               ;   in Loop: Header=BB5_6 Depth=1
	s_or_b32 exec_lo, exec_lo, s0
	s_and_saveexec_b32 s0, s15
	s_cbranch_execz .LBB5_34
.LBB5_33:                               ;   in Loop: Header=BB5_6 Depth=1
	v_ashrrev_i32_e32 v18, 31, v17
	s_delay_alu instid0(VALU_DEP_1) | instskip(NEXT) | instid1(VALU_DEP_1)
	v_lshlrev_b64 v[17:18], 2, v[17:18]
	v_add_co_u32 v27, vcc_lo, v4, v17
	s_waitcnt vmcnt(2) lgkmcnt(2)
	s_delay_alu instid0(VALU_DEP_2)
	v_add_co_ci_u32_e32 v28, vcc_lo, v5, v18, vcc_lo
	v_add_co_u32 v17, vcc_lo, v6, v17
	v_add_co_ci_u32_e32 v18, vcc_lo, v7, v18, vcc_lo
	flat_store_b32 v[27:28], v25
	s_waitcnt vmcnt(1) lgkmcnt(2)
	flat_store_b32 v[17:18], v26
.LBB5_34:                               ;   in Loop: Header=BB5_6 Depth=1
	s_or_b32 exec_lo, exec_lo, s0
	s_waitcnt vmcnt(8) lgkmcnt(8)
	v_cmp_gt_i32_e32 vcc_lo, 0, v15
	s_mov_b32 s15, 0
	s_mov_b32 s0, exec_lo
	v_cndmask_b32_e64 v17, 0x7fffffff, 0, vcc_lo
	s_delay_alu instid0(VALU_DEP_1) | instskip(NEXT) | instid1(VALU_DEP_1)
	v_xor_b32_e32 v17, v17, v15
	v_and_b32_e32 v18, v17, v21
                                        ; implicit-def: $vgpr17
	s_delay_alu instid0(VALU_DEP_1)
	v_cmpx_ge_u32_e64 v18, v23
	s_xor_b32 s0, exec_lo, s0
	s_cbranch_execnz .LBB5_107
; %bb.35:                               ;   in Loop: Header=BB5_6 Depth=1
	s_and_not1_saveexec_b32 s0, s0
	s_cbranch_execnz .LBB5_114
.LBB5_36:                               ;   in Loop: Header=BB5_6 Depth=1
	s_or_b32 exec_lo, exec_lo, s0
	s_and_saveexec_b32 s0, s15
	s_cbranch_execz .LBB5_5
	s_branch .LBB5_117
.LBB5_37:                               ;   in Loop: Header=BB5_6 Depth=1
	s_mov_b32 s16, 0
	s_mov_b32 s15, exec_lo
                                        ; implicit-def: $vgpr17
	v_cmpx_eq_u32_e64 v18, v23
	s_cbranch_execz .LBB5_43
; %bb.38:                               ;   in Loop: Header=BB5_6 Depth=1
	s_mov_b32 s17, exec_lo
	s_mov_b32 s16, exec_lo
	v_mbcnt_lo_u32_b32 v17, s17, 0
                                        ; implicit-def: $vgpr18
	s_delay_alu instid0(VALU_DEP_1)
	v_cmpx_eq_u32_e32 0, v17
	s_cbranch_execz .LBB5_40
; %bb.39:                               ;   in Loop: Header=BB5_6 Depth=1
	s_bcnt1_i32_b32 s17, s17
	s_delay_alu instid0(SALU_CYCLE_1)
	v_mov_b32_e32 v18, s17
	ds_add_rtn_u32 v18, v16, v18 offset:512
.LBB5_40:                               ;   in Loop: Header=BB5_6 Depth=1
	s_or_b32 exec_lo, exec_lo, s16
	s_waitcnt lgkmcnt(0)
	v_readfirstlane_b32 s16, v18
	s_mov_b32 s17, exec_lo
	s_delay_alu instid0(VALU_DEP_1) | instskip(SKIP_1) | instid1(VALU_DEP_1)
	v_add_nc_u32_e32 v18, s16, v17
	s_mov_b32 s16, 0
                                        ; implicit-def: $vgpr17
	v_cmpx_lt_i32_e64 v18, v22
	s_xor_b32 s17, exec_lo, s17
; %bb.41:                               ;   in Loop: Header=BB5_6 Depth=1
	v_xad_u32 v17, v18, -1, v9
	s_mov_b32 s16, exec_lo
; %bb.42:                               ;   in Loop: Header=BB5_6 Depth=1
	s_or_b32 exec_lo, exec_lo, s17
	s_delay_alu instid0(SALU_CYCLE_1)
	s_and_b32 s16, s16, exec_lo
.LBB5_43:                               ;   in Loop: Header=BB5_6 Depth=1
	s_or_b32 exec_lo, exec_lo, s15
	s_delay_alu instid0(SALU_CYCLE_1)
	s_and_b32 s15, s16, exec_lo
	s_and_not1_saveexec_b32 s0, s0
	s_cbranch_execz .LBB5_8
.LBB5_44:                               ;   in Loop: Header=BB5_6 Depth=1
	s_mov_b32 s17, exec_lo
	s_mov_b32 s16, exec_lo
	v_mbcnt_lo_u32_b32 v17, s17, 0
                                        ; implicit-def: $vgpr18
	s_delay_alu instid0(VALU_DEP_1)
	v_cmpx_eq_u32_e32 0, v17
	s_cbranch_execz .LBB5_46
; %bb.45:                               ;   in Loop: Header=BB5_6 Depth=1
	s_bcnt1_i32_b32 s17, s17
	s_delay_alu instid0(SALU_CYCLE_1)
	v_mov_b32_e32 v18, s17
	ds_add_rtn_u32 v18, v16, v18 offset:384
.LBB5_46:                               ;   in Loop: Header=BB5_6 Depth=1
	s_or_b32 exec_lo, exec_lo, s16
	s_waitcnt lgkmcnt(0)
	v_readfirstlane_b32 s16, v18
	s_or_b32 s15, s15, exec_lo
	s_delay_alu instid0(VALU_DEP_1)
	v_add_nc_u32_e32 v17, s16, v17
	s_or_b32 exec_lo, exec_lo, s0
	s_and_saveexec_b32 s0, s15
	s_cbranch_execnz .LBB5_9
	s_branch .LBB5_10
.LBB5_47:                               ;   in Loop: Header=BB5_6 Depth=1
	s_mov_b32 s16, 0
	s_mov_b32 s15, exec_lo
                                        ; implicit-def: $vgpr17
	v_cmpx_eq_u32_e64 v18, v23
	s_cbranch_execz .LBB5_53
; %bb.48:                               ;   in Loop: Header=BB5_6 Depth=1
	s_mov_b32 s17, exec_lo
	s_mov_b32 s16, exec_lo
	v_mbcnt_lo_u32_b32 v17, s17, 0
                                        ; implicit-def: $vgpr18
	s_delay_alu instid0(VALU_DEP_1)
	v_cmpx_eq_u32_e32 0, v17
	s_cbranch_execz .LBB5_50
; %bb.49:                               ;   in Loop: Header=BB5_6 Depth=1
	s_bcnt1_i32_b32 s17, s17
	s_delay_alu instid0(SALU_CYCLE_1)
	v_mov_b32_e32 v18, s17
	ds_add_rtn_u32 v18, v16, v18 offset:512
.LBB5_50:                               ;   in Loop: Header=BB5_6 Depth=1
	s_or_b32 exec_lo, exec_lo, s16
	s_waitcnt lgkmcnt(0)
	v_readfirstlane_b32 s16, v18
	s_mov_b32 s17, exec_lo
	s_delay_alu instid0(VALU_DEP_1) | instskip(SKIP_1) | instid1(VALU_DEP_1)
	v_add_nc_u32_e32 v18, s16, v17
	s_mov_b32 s16, 0
                                        ; implicit-def: $vgpr17
	v_cmpx_lt_i32_e64 v18, v22
	s_xor_b32 s17, exec_lo, s17
; %bb.51:                               ;   in Loop: Header=BB5_6 Depth=1
	v_xad_u32 v17, v18, -1, v9
	s_mov_b32 s16, exec_lo
; %bb.52:                               ;   in Loop: Header=BB5_6 Depth=1
	s_or_b32 exec_lo, exec_lo, s17
	s_delay_alu instid0(SALU_CYCLE_1)
	s_and_b32 s16, s16, exec_lo
.LBB5_53:                               ;   in Loop: Header=BB5_6 Depth=1
	s_or_b32 exec_lo, exec_lo, s15
	s_delay_alu instid0(SALU_CYCLE_1)
	s_and_b32 s15, s16, exec_lo
	s_and_not1_saveexec_b32 s0, s0
	s_cbranch_execz .LBB5_12
.LBB5_54:                               ;   in Loop: Header=BB5_6 Depth=1
	s_mov_b32 s17, exec_lo
	s_mov_b32 s16, exec_lo
	v_mbcnt_lo_u32_b32 v17, s17, 0
                                        ; implicit-def: $vgpr18
	s_delay_alu instid0(VALU_DEP_1)
	v_cmpx_eq_u32_e32 0, v17
	s_cbranch_execz .LBB5_56
; %bb.55:                               ;   in Loop: Header=BB5_6 Depth=1
	s_bcnt1_i32_b32 s17, s17
	s_delay_alu instid0(SALU_CYCLE_1)
	v_mov_b32_e32 v18, s17
	ds_add_rtn_u32 v18, v16, v18 offset:384
.LBB5_56:                               ;   in Loop: Header=BB5_6 Depth=1
	s_or_b32 exec_lo, exec_lo, s16
	s_waitcnt lgkmcnt(0)
	v_readfirstlane_b32 s16, v18
	s_or_b32 s15, s15, exec_lo
	s_delay_alu instid0(VALU_DEP_1)
	v_add_nc_u32_e32 v17, s16, v17
	s_or_b32 exec_lo, exec_lo, s0
	s_and_saveexec_b32 s0, s15
	s_cbranch_execnz .LBB5_13
	s_branch .LBB5_14
.LBB5_57:                               ;   in Loop: Header=BB5_6 Depth=1
	s_mov_b32 s16, 0
	s_mov_b32 s15, exec_lo
                                        ; implicit-def: $vgpr17
	v_cmpx_eq_u32_e64 v18, v23
	s_cbranch_execz .LBB5_63
; %bb.58:                               ;   in Loop: Header=BB5_6 Depth=1
	s_mov_b32 s17, exec_lo
	s_mov_b32 s16, exec_lo
	v_mbcnt_lo_u32_b32 v17, s17, 0
                                        ; implicit-def: $vgpr18
	s_delay_alu instid0(VALU_DEP_1)
	v_cmpx_eq_u32_e32 0, v17
	s_cbranch_execz .LBB5_60
; %bb.59:                               ;   in Loop: Header=BB5_6 Depth=1
	s_bcnt1_i32_b32 s17, s17
	s_delay_alu instid0(SALU_CYCLE_1)
	v_mov_b32_e32 v18, s17
	ds_add_rtn_u32 v18, v16, v18 offset:512
.LBB5_60:                               ;   in Loop: Header=BB5_6 Depth=1
	s_or_b32 exec_lo, exec_lo, s16
	s_waitcnt lgkmcnt(0)
	v_readfirstlane_b32 s16, v18
	s_mov_b32 s17, exec_lo
	s_delay_alu instid0(VALU_DEP_1) | instskip(SKIP_1) | instid1(VALU_DEP_1)
	v_add_nc_u32_e32 v18, s16, v17
	s_mov_b32 s16, 0
                                        ; implicit-def: $vgpr17
	v_cmpx_lt_i32_e64 v18, v22
	s_xor_b32 s17, exec_lo, s17
; %bb.61:                               ;   in Loop: Header=BB5_6 Depth=1
	v_xad_u32 v17, v18, -1, v9
	s_mov_b32 s16, exec_lo
; %bb.62:                               ;   in Loop: Header=BB5_6 Depth=1
	s_or_b32 exec_lo, exec_lo, s17
	s_delay_alu instid0(SALU_CYCLE_1)
	s_and_b32 s16, s16, exec_lo
.LBB5_63:                               ;   in Loop: Header=BB5_6 Depth=1
	s_or_b32 exec_lo, exec_lo, s15
	s_delay_alu instid0(SALU_CYCLE_1)
	s_and_b32 s15, s16, exec_lo
	s_and_not1_saveexec_b32 s0, s0
	s_cbranch_execz .LBB5_16
.LBB5_64:                               ;   in Loop: Header=BB5_6 Depth=1
	s_mov_b32 s17, exec_lo
	s_mov_b32 s16, exec_lo
	v_mbcnt_lo_u32_b32 v17, s17, 0
                                        ; implicit-def: $vgpr18
	s_delay_alu instid0(VALU_DEP_1)
	v_cmpx_eq_u32_e32 0, v17
	s_cbranch_execz .LBB5_66
; %bb.65:                               ;   in Loop: Header=BB5_6 Depth=1
	s_bcnt1_i32_b32 s17, s17
	s_delay_alu instid0(SALU_CYCLE_1)
	v_mov_b32_e32 v18, s17
	ds_add_rtn_u32 v18, v16, v18 offset:384
.LBB5_66:                               ;   in Loop: Header=BB5_6 Depth=1
	s_or_b32 exec_lo, exec_lo, s16
	s_waitcnt lgkmcnt(0)
	v_readfirstlane_b32 s16, v18
	s_or_b32 s15, s15, exec_lo
	s_delay_alu instid0(VALU_DEP_1)
	v_add_nc_u32_e32 v17, s16, v17
	s_or_b32 exec_lo, exec_lo, s0
	s_and_saveexec_b32 s0, s15
	s_cbranch_execnz .LBB5_17
	s_branch .LBB5_18
.LBB5_67:                               ;   in Loop: Header=BB5_6 Depth=1
	s_mov_b32 s16, 0
	s_mov_b32 s15, exec_lo
                                        ; implicit-def: $vgpr17
	v_cmpx_eq_u32_e64 v18, v23
	s_cbranch_execz .LBB5_73
; %bb.68:                               ;   in Loop: Header=BB5_6 Depth=1
	s_mov_b32 s17, exec_lo
	s_mov_b32 s16, exec_lo
	v_mbcnt_lo_u32_b32 v17, s17, 0
                                        ; implicit-def: $vgpr18
	s_delay_alu instid0(VALU_DEP_1)
	v_cmpx_eq_u32_e32 0, v17
	s_cbranch_execz .LBB5_70
; %bb.69:                               ;   in Loop: Header=BB5_6 Depth=1
	s_bcnt1_i32_b32 s17, s17
	s_delay_alu instid0(SALU_CYCLE_1)
	v_mov_b32_e32 v18, s17
	ds_add_rtn_u32 v18, v16, v18 offset:512
.LBB5_70:                               ;   in Loop: Header=BB5_6 Depth=1
	s_or_b32 exec_lo, exec_lo, s16
	s_waitcnt lgkmcnt(0)
	v_readfirstlane_b32 s16, v18
	s_mov_b32 s17, exec_lo
	s_delay_alu instid0(VALU_DEP_1) | instskip(SKIP_1) | instid1(VALU_DEP_1)
	v_add_nc_u32_e32 v18, s16, v17
	s_mov_b32 s16, 0
                                        ; implicit-def: $vgpr17
	v_cmpx_lt_i32_e64 v18, v22
	s_xor_b32 s17, exec_lo, s17
; %bb.71:                               ;   in Loop: Header=BB5_6 Depth=1
	v_xad_u32 v17, v18, -1, v9
	s_mov_b32 s16, exec_lo
; %bb.72:                               ;   in Loop: Header=BB5_6 Depth=1
	s_or_b32 exec_lo, exec_lo, s17
	s_delay_alu instid0(SALU_CYCLE_1)
	s_and_b32 s16, s16, exec_lo
.LBB5_73:                               ;   in Loop: Header=BB5_6 Depth=1
	s_or_b32 exec_lo, exec_lo, s15
	s_delay_alu instid0(SALU_CYCLE_1)
	s_and_b32 s15, s16, exec_lo
	s_and_not1_saveexec_b32 s0, s0
	s_cbranch_execz .LBB5_20
.LBB5_74:                               ;   in Loop: Header=BB5_6 Depth=1
	s_mov_b32 s17, exec_lo
	s_mov_b32 s16, exec_lo
	v_mbcnt_lo_u32_b32 v17, s17, 0
                                        ; implicit-def: $vgpr18
	s_delay_alu instid0(VALU_DEP_1)
	v_cmpx_eq_u32_e32 0, v17
	s_cbranch_execz .LBB5_76
; %bb.75:                               ;   in Loop: Header=BB5_6 Depth=1
	s_bcnt1_i32_b32 s17, s17
	s_delay_alu instid0(SALU_CYCLE_1)
	v_mov_b32_e32 v18, s17
	ds_add_rtn_u32 v18, v16, v18 offset:384
.LBB5_76:                               ;   in Loop: Header=BB5_6 Depth=1
	s_or_b32 exec_lo, exec_lo, s16
	s_waitcnt lgkmcnt(0)
	v_readfirstlane_b32 s16, v18
	s_or_b32 s15, s15, exec_lo
	s_delay_alu instid0(VALU_DEP_1)
	v_add_nc_u32_e32 v17, s16, v17
	s_or_b32 exec_lo, exec_lo, s0
	s_and_saveexec_b32 s0, s15
	s_cbranch_execnz .LBB5_21
	s_branch .LBB5_22
.LBB5_77:                               ;   in Loop: Header=BB5_6 Depth=1
	s_mov_b32 s16, 0
	s_mov_b32 s15, exec_lo
                                        ; implicit-def: $vgpr17
	v_cmpx_eq_u32_e64 v18, v23
	s_cbranch_execz .LBB5_83
; %bb.78:                               ;   in Loop: Header=BB5_6 Depth=1
	s_mov_b32 s17, exec_lo
	s_mov_b32 s16, exec_lo
	v_mbcnt_lo_u32_b32 v17, s17, 0
                                        ; implicit-def: $vgpr18
	s_delay_alu instid0(VALU_DEP_1)
	v_cmpx_eq_u32_e32 0, v17
	s_cbranch_execz .LBB5_80
; %bb.79:                               ;   in Loop: Header=BB5_6 Depth=1
	s_bcnt1_i32_b32 s17, s17
	s_delay_alu instid0(SALU_CYCLE_1)
	v_mov_b32_e32 v18, s17
	ds_add_rtn_u32 v18, v16, v18 offset:512
.LBB5_80:                               ;   in Loop: Header=BB5_6 Depth=1
	s_or_b32 exec_lo, exec_lo, s16
	s_waitcnt lgkmcnt(0)
	v_readfirstlane_b32 s16, v18
	s_mov_b32 s17, exec_lo
	s_delay_alu instid0(VALU_DEP_1) | instskip(SKIP_1) | instid1(VALU_DEP_1)
	v_add_nc_u32_e32 v18, s16, v17
	s_mov_b32 s16, 0
                                        ; implicit-def: $vgpr17
	v_cmpx_lt_i32_e64 v18, v22
	s_xor_b32 s17, exec_lo, s17
; %bb.81:                               ;   in Loop: Header=BB5_6 Depth=1
	v_xad_u32 v17, v18, -1, v9
	s_mov_b32 s16, exec_lo
; %bb.82:                               ;   in Loop: Header=BB5_6 Depth=1
	s_or_b32 exec_lo, exec_lo, s17
	s_delay_alu instid0(SALU_CYCLE_1)
	s_and_b32 s16, s16, exec_lo
.LBB5_83:                               ;   in Loop: Header=BB5_6 Depth=1
	s_or_b32 exec_lo, exec_lo, s15
	s_delay_alu instid0(SALU_CYCLE_1)
	s_and_b32 s15, s16, exec_lo
	s_and_not1_saveexec_b32 s0, s0
	s_cbranch_execz .LBB5_24
.LBB5_84:                               ;   in Loop: Header=BB5_6 Depth=1
	s_mov_b32 s17, exec_lo
	s_mov_b32 s16, exec_lo
	v_mbcnt_lo_u32_b32 v17, s17, 0
                                        ; implicit-def: $vgpr18
	s_delay_alu instid0(VALU_DEP_1)
	v_cmpx_eq_u32_e32 0, v17
	s_cbranch_execz .LBB5_86
; %bb.85:                               ;   in Loop: Header=BB5_6 Depth=1
	s_bcnt1_i32_b32 s17, s17
	s_delay_alu instid0(SALU_CYCLE_1)
	v_mov_b32_e32 v18, s17
	ds_add_rtn_u32 v18, v16, v18 offset:384
.LBB5_86:                               ;   in Loop: Header=BB5_6 Depth=1
	s_or_b32 exec_lo, exec_lo, s16
	s_waitcnt lgkmcnt(0)
	v_readfirstlane_b32 s16, v18
	s_or_b32 s15, s15, exec_lo
	s_delay_alu instid0(VALU_DEP_1)
	v_add_nc_u32_e32 v17, s16, v17
	s_or_b32 exec_lo, exec_lo, s0
	s_and_saveexec_b32 s0, s15
	s_cbranch_execnz .LBB5_25
	s_branch .LBB5_26
.LBB5_87:                               ;   in Loop: Header=BB5_6 Depth=1
	s_mov_b32 s16, 0
	s_mov_b32 s15, exec_lo
                                        ; implicit-def: $vgpr17
	v_cmpx_eq_u32_e64 v18, v23
	s_cbranch_execz .LBB5_93
; %bb.88:                               ;   in Loop: Header=BB5_6 Depth=1
	s_mov_b32 s17, exec_lo
	s_mov_b32 s16, exec_lo
	v_mbcnt_lo_u32_b32 v17, s17, 0
                                        ; implicit-def: $vgpr18
	s_delay_alu instid0(VALU_DEP_1)
	v_cmpx_eq_u32_e32 0, v17
	s_cbranch_execz .LBB5_90
; %bb.89:                               ;   in Loop: Header=BB5_6 Depth=1
	s_bcnt1_i32_b32 s17, s17
	s_delay_alu instid0(SALU_CYCLE_1)
	v_mov_b32_e32 v18, s17
	ds_add_rtn_u32 v18, v16, v18 offset:512
.LBB5_90:                               ;   in Loop: Header=BB5_6 Depth=1
	s_or_b32 exec_lo, exec_lo, s16
	s_waitcnt lgkmcnt(0)
	v_readfirstlane_b32 s16, v18
	s_mov_b32 s17, exec_lo
	s_delay_alu instid0(VALU_DEP_1) | instskip(SKIP_1) | instid1(VALU_DEP_1)
	v_add_nc_u32_e32 v18, s16, v17
	s_mov_b32 s16, 0
                                        ; implicit-def: $vgpr17
	v_cmpx_lt_i32_e64 v18, v22
	s_xor_b32 s17, exec_lo, s17
; %bb.91:                               ;   in Loop: Header=BB5_6 Depth=1
	v_xad_u32 v17, v18, -1, v9
	s_mov_b32 s16, exec_lo
; %bb.92:                               ;   in Loop: Header=BB5_6 Depth=1
	s_or_b32 exec_lo, exec_lo, s17
	s_delay_alu instid0(SALU_CYCLE_1)
	s_and_b32 s16, s16, exec_lo
.LBB5_93:                               ;   in Loop: Header=BB5_6 Depth=1
	s_or_b32 exec_lo, exec_lo, s15
	s_delay_alu instid0(SALU_CYCLE_1)
	s_and_b32 s15, s16, exec_lo
	s_and_not1_saveexec_b32 s0, s0
	s_cbranch_execz .LBB5_28
.LBB5_94:                               ;   in Loop: Header=BB5_6 Depth=1
	s_mov_b32 s17, exec_lo
	s_mov_b32 s16, exec_lo
	v_mbcnt_lo_u32_b32 v17, s17, 0
                                        ; implicit-def: $vgpr18
	s_delay_alu instid0(VALU_DEP_1)
	v_cmpx_eq_u32_e32 0, v17
	s_cbranch_execz .LBB5_96
; %bb.95:                               ;   in Loop: Header=BB5_6 Depth=1
	s_bcnt1_i32_b32 s17, s17
	s_delay_alu instid0(SALU_CYCLE_1)
	v_mov_b32_e32 v18, s17
	ds_add_rtn_u32 v18, v16, v18 offset:384
.LBB5_96:                               ;   in Loop: Header=BB5_6 Depth=1
	s_or_b32 exec_lo, exec_lo, s16
	s_waitcnt lgkmcnt(0)
	v_readfirstlane_b32 s16, v18
	s_or_b32 s15, s15, exec_lo
	s_delay_alu instid0(VALU_DEP_1)
	v_add_nc_u32_e32 v17, s16, v17
	s_or_b32 exec_lo, exec_lo, s0
	s_and_saveexec_b32 s0, s15
	s_cbranch_execnz .LBB5_29
	s_branch .LBB5_30
.LBB5_97:                               ;   in Loop: Header=BB5_6 Depth=1
	s_mov_b32 s16, 0
	s_mov_b32 s15, exec_lo
                                        ; implicit-def: $vgpr17
	v_cmpx_eq_u32_e64 v18, v23
	s_cbranch_execz .LBB5_103
; %bb.98:                               ;   in Loop: Header=BB5_6 Depth=1
	s_mov_b32 s17, exec_lo
	s_mov_b32 s16, exec_lo
	v_mbcnt_lo_u32_b32 v17, s17, 0
                                        ; implicit-def: $vgpr18
	s_delay_alu instid0(VALU_DEP_1)
	v_cmpx_eq_u32_e32 0, v17
	s_cbranch_execz .LBB5_100
; %bb.99:                               ;   in Loop: Header=BB5_6 Depth=1
	s_bcnt1_i32_b32 s17, s17
	s_delay_alu instid0(SALU_CYCLE_1)
	v_mov_b32_e32 v18, s17
	ds_add_rtn_u32 v18, v16, v18 offset:512
.LBB5_100:                              ;   in Loop: Header=BB5_6 Depth=1
	s_or_b32 exec_lo, exec_lo, s16
	s_waitcnt lgkmcnt(0)
	v_readfirstlane_b32 s16, v18
	s_mov_b32 s17, exec_lo
	s_delay_alu instid0(VALU_DEP_1) | instskip(SKIP_1) | instid1(VALU_DEP_1)
	v_add_nc_u32_e32 v18, s16, v17
	s_mov_b32 s16, 0
                                        ; implicit-def: $vgpr17
	v_cmpx_lt_i32_e64 v18, v22
	s_xor_b32 s17, exec_lo, s17
; %bb.101:                              ;   in Loop: Header=BB5_6 Depth=1
	v_xad_u32 v17, v18, -1, v9
	s_mov_b32 s16, exec_lo
; %bb.102:                              ;   in Loop: Header=BB5_6 Depth=1
	s_or_b32 exec_lo, exec_lo, s17
	s_delay_alu instid0(SALU_CYCLE_1)
	s_and_b32 s16, s16, exec_lo
.LBB5_103:                              ;   in Loop: Header=BB5_6 Depth=1
	s_or_b32 exec_lo, exec_lo, s15
	s_delay_alu instid0(SALU_CYCLE_1)
	s_and_b32 s15, s16, exec_lo
	s_and_not1_saveexec_b32 s0, s0
	s_cbranch_execz .LBB5_32
.LBB5_104:                              ;   in Loop: Header=BB5_6 Depth=1
	s_mov_b32 s17, exec_lo
	s_mov_b32 s16, exec_lo
	v_mbcnt_lo_u32_b32 v17, s17, 0
                                        ; implicit-def: $vgpr18
	s_delay_alu instid0(VALU_DEP_1)
	v_cmpx_eq_u32_e32 0, v17
	s_cbranch_execz .LBB5_106
; %bb.105:                              ;   in Loop: Header=BB5_6 Depth=1
	s_bcnt1_i32_b32 s17, s17
	s_delay_alu instid0(SALU_CYCLE_1)
	v_mov_b32_e32 v18, s17
	ds_add_rtn_u32 v18, v16, v18 offset:384
.LBB5_106:                              ;   in Loop: Header=BB5_6 Depth=1
	s_or_b32 exec_lo, exec_lo, s16
	s_waitcnt lgkmcnt(0)
	v_readfirstlane_b32 s16, v18
	s_or_b32 s15, s15, exec_lo
	s_delay_alu instid0(VALU_DEP_1)
	v_add_nc_u32_e32 v17, s16, v17
	s_or_b32 exec_lo, exec_lo, s0
	s_and_saveexec_b32 s0, s15
	s_cbranch_execnz .LBB5_33
	s_branch .LBB5_34
.LBB5_107:                              ;   in Loop: Header=BB5_6 Depth=1
	s_mov_b32 s16, 0
	s_mov_b32 s15, exec_lo
                                        ; implicit-def: $vgpr17
	v_cmpx_eq_u32_e64 v18, v23
	s_cbranch_execz .LBB5_113
; %bb.108:                              ;   in Loop: Header=BB5_6 Depth=1
	s_mov_b32 s17, exec_lo
	s_mov_b32 s16, exec_lo
	v_mbcnt_lo_u32_b32 v17, s17, 0
                                        ; implicit-def: $vgpr18
	s_delay_alu instid0(VALU_DEP_1)
	v_cmpx_eq_u32_e32 0, v17
	s_cbranch_execz .LBB5_110
; %bb.109:                              ;   in Loop: Header=BB5_6 Depth=1
	s_bcnt1_i32_b32 s17, s17
	s_delay_alu instid0(SALU_CYCLE_1)
	v_mov_b32_e32 v18, s17
	ds_add_rtn_u32 v18, v16, v18 offset:512
.LBB5_110:                              ;   in Loop: Header=BB5_6 Depth=1
	s_or_b32 exec_lo, exec_lo, s16
	s_waitcnt lgkmcnt(0)
	v_readfirstlane_b32 s16, v18
	s_mov_b32 s17, exec_lo
	s_delay_alu instid0(VALU_DEP_1) | instskip(SKIP_1) | instid1(VALU_DEP_1)
	v_add_nc_u32_e32 v18, s16, v17
	s_mov_b32 s16, 0
                                        ; implicit-def: $vgpr17
	v_cmpx_lt_i32_e64 v18, v22
	s_xor_b32 s17, exec_lo, s17
; %bb.111:                              ;   in Loop: Header=BB5_6 Depth=1
	v_xad_u32 v17, v18, -1, v9
	s_mov_b32 s16, exec_lo
; %bb.112:                              ;   in Loop: Header=BB5_6 Depth=1
	s_or_b32 exec_lo, exec_lo, s17
	s_delay_alu instid0(SALU_CYCLE_1)
	s_and_b32 s16, s16, exec_lo
.LBB5_113:                              ;   in Loop: Header=BB5_6 Depth=1
	s_or_b32 exec_lo, exec_lo, s15
	s_delay_alu instid0(SALU_CYCLE_1)
	s_and_b32 s15, s16, exec_lo
	s_and_not1_saveexec_b32 s0, s0
	s_cbranch_execz .LBB5_36
.LBB5_114:                              ;   in Loop: Header=BB5_6 Depth=1
	s_mov_b32 s17, exec_lo
	s_mov_b32 s16, exec_lo
	v_mbcnt_lo_u32_b32 v17, s17, 0
                                        ; implicit-def: $vgpr18
	s_delay_alu instid0(VALU_DEP_1)
	v_cmpx_eq_u32_e32 0, v17
	s_cbranch_execz .LBB5_116
; %bb.115:                              ;   in Loop: Header=BB5_6 Depth=1
	s_bcnt1_i32_b32 s17, s17
	s_delay_alu instid0(SALU_CYCLE_1)
	v_mov_b32_e32 v18, s17
	ds_add_rtn_u32 v18, v16, v18 offset:384
.LBB5_116:                              ;   in Loop: Header=BB5_6 Depth=1
	s_or_b32 exec_lo, exec_lo, s16
	s_waitcnt lgkmcnt(0)
	v_readfirstlane_b32 s16, v18
	s_or_b32 s15, s15, exec_lo
	s_delay_alu instid0(VALU_DEP_1)
	v_add_nc_u32_e32 v17, s16, v17
	s_or_b32 exec_lo, exec_lo, s0
	s_and_saveexec_b32 s0, s15
	s_cbranch_execz .LBB5_5
.LBB5_117:                              ;   in Loop: Header=BB5_6 Depth=1
	s_delay_alu instid0(VALU_DEP_1) | instskip(NEXT) | instid1(VALU_DEP_1)
	v_ashrrev_i32_e32 v18, 31, v17
	v_lshlrev_b64 v[17:18], 2, v[17:18]
	s_delay_alu instid0(VALU_DEP_1) | instskip(SKIP_1) | instid1(VALU_DEP_2)
	v_add_co_u32 v25, vcc_lo, v4, v17
	s_waitcnt vmcnt(1) lgkmcnt(1)
	v_add_co_ci_u32_e32 v26, vcc_lo, v5, v18, vcc_lo
	v_add_co_u32 v17, vcc_lo, v6, v17
	v_add_co_ci_u32_e32 v18, vcc_lo, v7, v18, vcc_lo
	flat_store_b32 v[25:26], v15
	s_waitcnt vmcnt(0) lgkmcnt(1)
	flat_store_b32 v[17:18], v24
	s_branch .LBB5_5
.LBB5_118:
	s_or_b32 exec_lo, exec_lo, s11
.LBB5_119:
	s_delay_alu instid0(SALU_CYCLE_1) | instskip(NEXT) | instid1(SALU_CYCLE_1)
	s_or_b32 exec_lo, exec_lo, s3
	s_mov_b32 s3, exec_lo
	v_cmpx_lt_i32_e64 v10, v8
	s_cbranch_execz .LBB5_136
; %bb.120:
	v_mov_b32_e32 v11, 0
	v_lshlrev_b32_e64 v16, v19, -1
	s_mov_b32 s4, 0
	s_lshl_b32 s5, s2, 2
	s_delay_alu instid0(VALU_DEP_2)
	v_lshlrev_b64 v[12:13], 2, v[10:11]
	s_branch .LBB5_122
.LBB5_121:                              ;   in Loop: Header=BB5_122 Depth=1
	s_or_b32 exec_lo, exec_lo, s0
	v_add_nc_u32_e32 v10, s2, v10
	v_add_co_u32 v12, s0, v12, s5
	s_delay_alu instid0(VALU_DEP_1) | instskip(NEXT) | instid1(VALU_DEP_3)
	v_add_co_ci_u32_e64 v13, s0, 0, v13, s0
	v_cmp_ge_i32_e32 vcc_lo, v10, v8
	s_or_b32 s4, vcc_lo, s4
	s_delay_alu instid0(SALU_CYCLE_1)
	s_and_not1_b32 exec_lo, exec_lo, s4
	s_cbranch_execz .LBB5_136
.LBB5_122:                              ; =>This Inner Loop Header: Depth=1
	s_delay_alu instid0(VALU_DEP_1) | instskip(NEXT) | instid1(VALU_DEP_2)
	v_add_co_u32 v14, vcc_lo, v0, v12
	v_add_co_ci_u32_e32 v15, vcc_lo, v1, v13, vcc_lo
	s_mov_b32 s6, 0
	s_mov_b32 s0, exec_lo
	flat_load_b32 v17, v[14:15]
	v_add_co_u32 v14, vcc_lo, v2, v12
	v_add_co_ci_u32_e32 v15, vcc_lo, v3, v13, vcc_lo
	s_waitcnt vmcnt(1) lgkmcnt(1)
	flat_load_b32 v18, v[14:15]
	s_waitcnt vmcnt(1) lgkmcnt(1)
	v_cmp_gt_i32_e32 vcc_lo, 0, v17
	v_cndmask_b32_e64 v14, 0x7fffffff, 0, vcc_lo
	s_delay_alu instid0(VALU_DEP_1) | instskip(NEXT) | instid1(VALU_DEP_1)
	v_xor_b32_e32 v14, v14, v17
	v_and_b32_e32 v15, v14, v16
                                        ; implicit-def: $vgpr14
	s_delay_alu instid0(VALU_DEP_1)
	v_cmpx_ge_u32_e64 v15, v23
	s_xor_b32 s0, exec_lo, s0
	s_cbranch_execnz .LBB5_125
; %bb.123:                              ;   in Loop: Header=BB5_122 Depth=1
	s_and_not1_saveexec_b32 s0, s0
	s_cbranch_execnz .LBB5_132
.LBB5_124:                              ;   in Loop: Header=BB5_122 Depth=1
	s_or_b32 exec_lo, exec_lo, s0
	s_and_saveexec_b32 s0, s6
	s_cbranch_execz .LBB5_121
	s_branch .LBB5_135
.LBB5_125:                              ;   in Loop: Header=BB5_122 Depth=1
	s_mov_b32 s7, 0
	s_mov_b32 s6, exec_lo
                                        ; implicit-def: $vgpr14
	v_cmpx_eq_u32_e64 v15, v23
	s_cbranch_execz .LBB5_131
; %bb.126:                              ;   in Loop: Header=BB5_122 Depth=1
	s_mov_b32 s10, exec_lo
	s_mov_b32 s7, exec_lo
	v_mbcnt_lo_u32_b32 v14, s10, 0
                                        ; implicit-def: $vgpr15
	s_delay_alu instid0(VALU_DEP_1)
	v_cmpx_eq_u32_e32 0, v14
	s_cbranch_execz .LBB5_128
; %bb.127:                              ;   in Loop: Header=BB5_122 Depth=1
	s_bcnt1_i32_b32 s10, s10
	s_delay_alu instid0(SALU_CYCLE_1)
	v_mov_b32_e32 v15, s10
	ds_add_rtn_u32 v15, v11, v15 offset:512
.LBB5_128:                              ;   in Loop: Header=BB5_122 Depth=1
	s_or_b32 exec_lo, exec_lo, s7
	s_waitcnt lgkmcnt(0)
	v_readfirstlane_b32 s7, v15
	s_mov_b32 s10, exec_lo
	s_delay_alu instid0(VALU_DEP_1) | instskip(SKIP_1) | instid1(VALU_DEP_1)
	v_add_nc_u32_e32 v15, s7, v14
	s_mov_b32 s7, 0
                                        ; implicit-def: $vgpr14
	v_cmpx_lt_i32_e64 v15, v22
	s_xor_b32 s10, exec_lo, s10
; %bb.129:                              ;   in Loop: Header=BB5_122 Depth=1
	v_xad_u32 v14, v15, -1, v9
	s_mov_b32 s7, exec_lo
; %bb.130:                              ;   in Loop: Header=BB5_122 Depth=1
	s_or_b32 exec_lo, exec_lo, s10
	s_delay_alu instid0(SALU_CYCLE_1)
	s_and_b32 s7, s7, exec_lo
.LBB5_131:                              ;   in Loop: Header=BB5_122 Depth=1
	s_or_b32 exec_lo, exec_lo, s6
	s_delay_alu instid0(SALU_CYCLE_1)
	s_and_b32 s6, s7, exec_lo
	s_and_not1_saveexec_b32 s0, s0
	s_cbranch_execz .LBB5_124
.LBB5_132:                              ;   in Loop: Header=BB5_122 Depth=1
	s_mov_b32 s10, exec_lo
	s_mov_b32 s7, exec_lo
	v_mbcnt_lo_u32_b32 v14, s10, 0
                                        ; implicit-def: $vgpr15
	s_delay_alu instid0(VALU_DEP_1)
	v_cmpx_eq_u32_e32 0, v14
	s_cbranch_execz .LBB5_134
; %bb.133:                              ;   in Loop: Header=BB5_122 Depth=1
	s_bcnt1_i32_b32 s10, s10
	s_delay_alu instid0(SALU_CYCLE_1)
	v_mov_b32_e32 v15, s10
	ds_add_rtn_u32 v15, v11, v15 offset:384
.LBB5_134:                              ;   in Loop: Header=BB5_122 Depth=1
	s_or_b32 exec_lo, exec_lo, s7
	s_waitcnt lgkmcnt(0)
	v_readfirstlane_b32 s7, v15
	s_or_b32 s6, s6, exec_lo
	s_delay_alu instid0(VALU_DEP_1)
	v_add_nc_u32_e32 v14, s7, v14
	s_or_b32 exec_lo, exec_lo, s0
	s_and_saveexec_b32 s0, s6
	s_cbranch_execz .LBB5_121
.LBB5_135:                              ;   in Loop: Header=BB5_122 Depth=1
	s_delay_alu instid0(VALU_DEP_1) | instskip(NEXT) | instid1(VALU_DEP_1)
	v_ashrrev_i32_e32 v15, 31, v14
	v_lshlrev_b64 v[14:15], 2, v[14:15]
	s_delay_alu instid0(VALU_DEP_1) | instskip(NEXT) | instid1(VALU_DEP_2)
	v_add_co_u32 v19, vcc_lo, v4, v14
	v_add_co_ci_u32_e32 v20, vcc_lo, v5, v15, vcc_lo
	v_add_co_u32 v14, vcc_lo, v6, v14
	v_add_co_ci_u32_e32 v15, vcc_lo, v7, v15, vcc_lo
	flat_store_b32 v[19:20], v17
	s_waitcnt vmcnt(0) lgkmcnt(1)
	flat_store_b32 v[14:15], v18
	s_branch .LBB5_121
.LBB5_136:
	s_or_b32 exec_lo, exec_lo, s3
                                        ; implicit-def: $vgpr19
                                        ; implicit-def: $vgpr0
                                        ; implicit-def: $vgpr1
                                        ; implicit-def: $vgpr4
                                        ; implicit-def: $vgpr5
                                        ; implicit-def: $vgpr6
                                        ; implicit-def: $vgpr7
                                        ; implicit-def: $vgpr8
                                        ; implicit-def: $vgpr9
                                        ; implicit-def: $vgpr22_vgpr23
                                        ; implicit-def: $vgpr24
	s_and_not1_saveexec_b32 s0, s1
	s_cbranch_execz .LBB5_2
.LBB5_137:
	s_load_b32 s1, s[8:9], 0x0
	v_dual_mov_b32 v25, 0 :: v_dual_and_b32 v2, 15, v0
	v_lshlrev_b32_e64 v33, v19, -1
	s_waitcnt vmcnt(0) lgkmcnt(0)
	v_mov_b32_e32 v28, v24
	s_delay_alu instid0(VALU_DEP_3) | instskip(NEXT) | instid1(VALU_DEP_1)
	v_sub_nc_u32_e32 v11, 16, v2
	v_lshrrev_b32_e32 v11, 2, v11
	v_mov_b32_e32 v3, v25
	s_delay_alu instid0(VALU_DEP_1)
	v_cmp_ne_u64_e32 vcc_lo, 0, v[2:3]
	s_cmp_lt_u32 s12, s1
	s_cselect_b32 s1, 12, 18
	v_cndmask_b32_e32 v2, 0, v11, vcc_lo
	s_add_u32 s2, s8, s1
	s_addc_u32 s3, s9, 0
	global_load_u16 v10, v25, s[2:3]
	v_min_i32_e32 v2, v2, v8
	s_mov_b32 s2, 0
	s_delay_alu instid0(VALU_DEP_1) | instskip(NEXT) | instid1(VALU_DEP_1)
	v_sub_nc_u32_e32 v3, v8, v2
	v_ashrrev_i32_e32 v11, 31, v3
	s_delay_alu instid0(VALU_DEP_1) | instskip(SKIP_2) | instid1(VALU_DEP_2)
	v_lshrrev_b32_e32 v11, 30, v11
	s_waitcnt vmcnt(0)
	v_and_b32_e32 v34, 0xffff, v10
	v_add_nc_u32_e32 v10, v3, v11
	v_ashrrev_i32_e32 v3, 31, v2
	s_delay_alu instid0(VALU_DEP_3) | instskip(NEXT) | instid1(VALU_DEP_3)
	v_mul_lo_u32 v37, v34, 3
	v_ashrrev_i32_e32 v26, 2, v10
	s_delay_alu instid0(VALU_DEP_3) | instskip(SKIP_1) | instid1(VALU_DEP_3)
	v_lshlrev_b64 v[10:11], 2, v[2:3]
	v_lshlrev_b32_e32 v36, 2, v34
	v_ashrrev_i32_e32 v27, 31, v26
	v_add_co_u32 v30, s1, v37, v24
	s_delay_alu instid0(VALU_DEP_4) | instskip(SKIP_3) | instid1(VALU_DEP_2)
	v_add_co_u32 v3, vcc_lo, v0, v10
	v_add_co_ci_u32_e64 v31, null, 0, 0, s1
	v_add_co_ci_u32_e32 v35, vcc_lo, v1, v11, vcc_lo
	s_mov_b32 s1, exec_lo
	v_cmpx_lt_u64_e64 v[30:31], v[26:27]
	s_cbranch_execz .LBB5_365
; %bb.138:
	v_dual_mov_b32 v29, v25 :: v_dual_lshlrev_b32 v38, 4, v34
	v_mov_b32_e32 v28, v24
	s_branch .LBB5_140
.LBB5_139:                              ;   in Loop: Header=BB5_140 Depth=1
	s_or_b32 exec_lo, exec_lo, s3
	v_add_nc_u32_e32 v28, v36, v28
	s_delay_alu instid0(VALU_DEP_1) | instskip(SKIP_1) | instid1(VALU_DEP_2)
	v_ashrrev_i32_e32 v29, 31, v28
	v_add_co_u32 v30, vcc_lo, v37, v28
	v_add_co_ci_u32_e32 v31, vcc_lo, 0, v29, vcc_lo
	s_delay_alu instid0(VALU_DEP_1) | instskip(SKIP_1) | instid1(SALU_CYCLE_1)
	v_cmp_ge_u64_e32 vcc_lo, v[30:31], v[26:27]
	s_or_b32 s2, vcc_lo, s2
	s_and_not1_b32 exec_lo, exec_lo, s2
	s_cbranch_execz .LBB5_364
.LBB5_140:                              ; =>This Inner Loop Header: Depth=1
	s_delay_alu instid0(VALU_DEP_1) | instskip(SKIP_2) | instid1(VALU_DEP_1)
	v_lshlrev_b64 v[10:11], 4, v[28:29]
	s_mov_b32 s4, 0
	s_mov_b32 s3, exec_lo
	v_add_co_u32 v14, vcc_lo, v3, v10
	s_delay_alu instid0(VALU_DEP_2) | instskip(NEXT) | instid1(VALU_DEP_2)
	v_add_co_ci_u32_e32 v15, vcc_lo, v35, v11, vcc_lo
	v_add_co_u32 v18, vcc_lo, v14, v38
	flat_load_b128 v[10:13], v[14:15]
	v_add_co_ci_u32_e32 v19, vcc_lo, 0, v15, vcc_lo
	flat_load_b128 v[14:17], v[18:19]
	s_waitcnt vmcnt(1) lgkmcnt(1)
	v_cmp_gt_i32_e32 vcc_lo, 0, v10
	v_cndmask_b32_e64 v20, 0x7fffffff, 0, vcc_lo
	s_delay_alu instid0(VALU_DEP_1) | instskip(NEXT) | instid1(VALU_DEP_1)
	v_xor_b32_e32 v20, v20, v10
	v_and_b32_e32 v21, v20, v33
                                        ; implicit-def: $vgpr20
	s_delay_alu instid0(VALU_DEP_1)
	v_cmpx_ge_u32_e64 v21, v23
	s_xor_b32 s3, exec_lo, s3
	s_cbranch_execnz .LBB5_223
; %bb.141:                              ;   in Loop: Header=BB5_140 Depth=1
	s_and_not1_saveexec_b32 s3, s3
	s_cbranch_execnz .LBB5_230
.LBB5_142:                              ;   in Loop: Header=BB5_140 Depth=1
	s_or_b32 exec_lo, exec_lo, s3
	v_lshl_add_u32 v29, v28, 2, v2
	s_and_saveexec_b32 s3, s4
	s_cbranch_execz .LBB5_144
.LBB5_143:                              ;   in Loop: Header=BB5_140 Depth=1
	v_ashrrev_i32_e32 v21, 31, v20
	s_delay_alu instid0(VALU_DEP_1) | instskip(NEXT) | instid1(VALU_DEP_1)
	v_lshlrev_b64 v[20:21], 2, v[20:21]
	v_add_co_u32 v48, vcc_lo, v4, v20
	s_delay_alu instid0(VALU_DEP_2)
	v_add_co_ci_u32_e32 v49, vcc_lo, v5, v21, vcc_lo
	v_add_co_u32 v20, vcc_lo, v6, v20
	v_add_co_ci_u32_e32 v21, vcc_lo, v7, v21, vcc_lo
	flat_store_b32 v[48:49], v10
	flat_store_b32 v[20:21], v29
.LBB5_144:                              ;   in Loop: Header=BB5_140 Depth=1
	s_or_b32 exec_lo, exec_lo, s3
	v_cmp_gt_i32_e32 vcc_lo, 0, v11
	s_mov_b32 s4, 0
	s_mov_b32 s3, exec_lo
                                        ; implicit-def: $vgpr20
	v_cndmask_b32_e64 v10, 0x7fffffff, 0, vcc_lo
	s_delay_alu instid0(VALU_DEP_1) | instskip(NEXT) | instid1(VALU_DEP_1)
	v_xor_b32_e32 v10, v10, v11
	v_and_b32_e32 v10, v10, v33
	s_delay_alu instid0(VALU_DEP_1)
	v_cmpx_ge_u32_e64 v10, v23
	s_xor_b32 s3, exec_lo, s3
	s_cbranch_execnz .LBB5_233
; %bb.145:                              ;   in Loop: Header=BB5_140 Depth=1
	s_and_not1_saveexec_b32 s3, s3
	s_cbranch_execnz .LBB5_240
.LBB5_146:                              ;   in Loop: Header=BB5_140 Depth=1
	s_or_b32 exec_lo, exec_lo, s3
	s_and_saveexec_b32 s3, s4
	s_cbranch_execz .LBB5_148
.LBB5_147:                              ;   in Loop: Header=BB5_140 Depth=1
	v_ashrrev_i32_e32 v21, 31, v20
	v_add_nc_u32_e32 v10, 1, v29
	s_delay_alu instid0(VALU_DEP_2) | instskip(NEXT) | instid1(VALU_DEP_1)
	v_lshlrev_b64 v[20:21], 2, v[20:21]
	v_add_co_u32 v48, vcc_lo, v4, v20
	s_delay_alu instid0(VALU_DEP_2)
	v_add_co_ci_u32_e32 v49, vcc_lo, v5, v21, vcc_lo
	v_add_co_u32 v20, vcc_lo, v6, v20
	v_add_co_ci_u32_e32 v21, vcc_lo, v7, v21, vcc_lo
	flat_store_b32 v[48:49], v11
	flat_store_b32 v[20:21], v10
.LBB5_148:                              ;   in Loop: Header=BB5_140 Depth=1
	s_or_b32 exec_lo, exec_lo, s3
	v_cmp_gt_i32_e32 vcc_lo, 0, v12
	s_mov_b32 s4, 0
	s_mov_b32 s3, exec_lo
	v_cndmask_b32_e64 v10, 0x7fffffff, 0, vcc_lo
	s_delay_alu instid0(VALU_DEP_1) | instskip(NEXT) | instid1(VALU_DEP_1)
	v_xor_b32_e32 v10, v10, v12
	v_and_b32_e32 v11, v10, v33
                                        ; implicit-def: $vgpr10
	s_delay_alu instid0(VALU_DEP_1)
	v_cmpx_ge_u32_e64 v11, v23
	s_xor_b32 s3, exec_lo, s3
	s_cbranch_execnz .LBB5_243
; %bb.149:                              ;   in Loop: Header=BB5_140 Depth=1
	s_and_not1_saveexec_b32 s3, s3
	s_cbranch_execnz .LBB5_250
.LBB5_150:                              ;   in Loop: Header=BB5_140 Depth=1
	s_or_b32 exec_lo, exec_lo, s3
	s_and_saveexec_b32 s3, s4
	s_cbranch_execz .LBB5_152
.LBB5_151:                              ;   in Loop: Header=BB5_140 Depth=1
	v_ashrrev_i32_e32 v11, 31, v10
	v_add_nc_u32_e32 v32, 2, v29
	s_delay_alu instid0(VALU_DEP_2) | instskip(NEXT) | instid1(VALU_DEP_1)
	v_lshlrev_b64 v[10:11], 2, v[10:11]
	v_add_co_u32 v20, vcc_lo, v4, v10
	s_delay_alu instid0(VALU_DEP_2)
	v_add_co_ci_u32_e32 v21, vcc_lo, v5, v11, vcc_lo
	v_add_co_u32 v10, vcc_lo, v6, v10
	v_add_co_ci_u32_e32 v11, vcc_lo, v7, v11, vcc_lo
	flat_store_b32 v[20:21], v12
	flat_store_b32 v[10:11], v32
.LBB5_152:                              ;   in Loop: Header=BB5_140 Depth=1
	s_or_b32 exec_lo, exec_lo, s3
	v_cmp_gt_i32_e32 vcc_lo, 0, v13
	s_mov_b32 s4, 0
	s_mov_b32 s3, exec_lo
	v_cndmask_b32_e64 v10, 0x7fffffff, 0, vcc_lo
	s_delay_alu instid0(VALU_DEP_1) | instskip(NEXT) | instid1(VALU_DEP_1)
	v_xor_b32_e32 v10, v10, v13
	v_and_b32_e32 v11, v10, v33
                                        ; implicit-def: $vgpr10
	s_delay_alu instid0(VALU_DEP_1)
	v_cmpx_ge_u32_e64 v11, v23
	s_xor_b32 s3, exec_lo, s3
	s_cbranch_execnz .LBB5_253
; %bb.153:                              ;   in Loop: Header=BB5_140 Depth=1
	s_and_not1_saveexec_b32 s3, s3
	s_cbranch_execnz .LBB5_260
.LBB5_154:                              ;   in Loop: Header=BB5_140 Depth=1
	s_or_b32 exec_lo, exec_lo, s3
	s_and_saveexec_b32 s3, s4
	s_cbranch_execz .LBB5_156
.LBB5_155:                              ;   in Loop: Header=BB5_140 Depth=1
	v_ashrrev_i32_e32 v11, 31, v10
	v_add_nc_u32_e32 v12, 3, v29
	s_delay_alu instid0(VALU_DEP_2) | instskip(NEXT) | instid1(VALU_DEP_1)
	v_lshlrev_b64 v[10:11], 2, v[10:11]
	v_add_co_u32 v20, vcc_lo, v4, v10
	s_delay_alu instid0(VALU_DEP_2)
	v_add_co_ci_u32_e32 v21, vcc_lo, v5, v11, vcc_lo
	v_add_co_u32 v10, vcc_lo, v6, v10
	v_add_co_ci_u32_e32 v11, vcc_lo, v7, v11, vcc_lo
	flat_store_b32 v[20:21], v13
	flat_store_b32 v[10:11], v12
.LBB5_156:                              ;   in Loop: Header=BB5_140 Depth=1
	s_or_b32 exec_lo, exec_lo, s3
	v_lshlrev_b64 v[10:11], 4, v[30:31]
	v_add_co_u32 v12, vcc_lo, v18, v38
	v_add_co_ci_u32_e32 v13, vcc_lo, 0, v19, vcc_lo
	s_mov_b32 s4, 0
	s_delay_alu instid0(VALU_DEP_3) | instskip(NEXT) | instid1(VALU_DEP_4)
	v_add_co_u32 v10, vcc_lo, v3, v10
	v_add_co_ci_u32_e32 v11, vcc_lo, v35, v11, vcc_lo
	s_waitcnt vmcnt(0) lgkmcnt(0)
	v_cmp_gt_i32_e32 vcc_lo, 0, v14
	s_mov_b32 s3, exec_lo
	s_clause 0x1
	flat_load_b128 v[18:21], v[12:13]
	flat_load_b128 v[10:13], v[10:11]
                                        ; implicit-def: $vgpr31
	v_cndmask_b32_e64 v29, 0x7fffffff, 0, vcc_lo
	s_delay_alu instid0(VALU_DEP_1) | instskip(NEXT) | instid1(VALU_DEP_1)
	v_xor_b32_e32 v29, v29, v14
	v_and_b32_e32 v29, v29, v33
	s_delay_alu instid0(VALU_DEP_1)
	v_cmpx_ge_u32_e64 v29, v23
	s_xor_b32 s3, exec_lo, s3
	s_cbranch_execz .LBB5_164
; %bb.157:                              ;   in Loop: Header=BB5_140 Depth=1
	s_mov_b32 s5, 0
	s_mov_b32 s4, exec_lo
                                        ; implicit-def: $vgpr31
	v_cmpx_eq_u32_e64 v29, v23
	s_cbranch_execz .LBB5_163
; %bb.158:                              ;   in Loop: Header=BB5_140 Depth=1
	s_mov_b32 s6, exec_lo
	s_mov_b32 s5, exec_lo
	v_mbcnt_lo_u32_b32 v29, s6, 0
                                        ; implicit-def: $vgpr31
	s_delay_alu instid0(VALU_DEP_1)
	v_cmpx_eq_u32_e32 0, v29
	s_cbranch_execz .LBB5_160
; %bb.159:                              ;   in Loop: Header=BB5_140 Depth=1
	s_bcnt1_i32_b32 s6, s6
	s_delay_alu instid0(SALU_CYCLE_1)
	v_mov_b32_e32 v31, s6
	ds_add_rtn_u32 v31, v25, v31 offset:512
.LBB5_160:                              ;   in Loop: Header=BB5_140 Depth=1
	s_or_b32 exec_lo, exec_lo, s5
	s_waitcnt lgkmcnt(0)
	v_readfirstlane_b32 s5, v31
	s_mov_b32 s6, exec_lo
                                        ; implicit-def: $vgpr31
	s_delay_alu instid0(VALU_DEP_1) | instskip(SKIP_1) | instid1(VALU_DEP_1)
	v_add_nc_u32_e32 v29, s5, v29
	s_mov_b32 s5, 0
	v_cmpx_lt_i32_e64 v29, v22
	s_xor_b32 s6, exec_lo, s6
; %bb.161:                              ;   in Loop: Header=BB5_140 Depth=1
	v_xad_u32 v31, v29, -1, v9
	s_mov_b32 s5, exec_lo
; %bb.162:                              ;   in Loop: Header=BB5_140 Depth=1
	s_or_b32 exec_lo, exec_lo, s6
	s_delay_alu instid0(SALU_CYCLE_1)
	s_and_b32 s5, s5, exec_lo
.LBB5_163:                              ;   in Loop: Header=BB5_140 Depth=1
	s_or_b32 exec_lo, exec_lo, s4
	s_delay_alu instid0(SALU_CYCLE_1)
	s_and_b32 s4, s5, exec_lo
.LBB5_164:                              ;   in Loop: Header=BB5_140 Depth=1
	s_and_not1_saveexec_b32 s3, s3
	s_cbranch_execz .LBB5_168
; %bb.165:                              ;   in Loop: Header=BB5_140 Depth=1
	s_mov_b32 s6, exec_lo
	s_mov_b32 s5, exec_lo
	v_mbcnt_lo_u32_b32 v29, s6, 0
                                        ; implicit-def: $vgpr31
	s_delay_alu instid0(VALU_DEP_1)
	v_cmpx_eq_u32_e32 0, v29
	s_cbranch_execz .LBB5_167
; %bb.166:                              ;   in Loop: Header=BB5_140 Depth=1
	s_bcnt1_i32_b32 s6, s6
	s_delay_alu instid0(SALU_CYCLE_1)
	v_mov_b32_e32 v31, s6
	ds_add_rtn_u32 v31, v25, v31 offset:384
.LBB5_167:                              ;   in Loop: Header=BB5_140 Depth=1
	s_or_b32 exec_lo, exec_lo, s5
	s_waitcnt lgkmcnt(0)
	v_readfirstlane_b32 s5, v31
	s_or_b32 s4, s4, exec_lo
	s_delay_alu instid0(VALU_DEP_1)
	v_add_nc_u32_e32 v31, s5, v29
.LBB5_168:                              ;   in Loop: Header=BB5_140 Depth=1
	s_or_b32 exec_lo, exec_lo, s3
	v_add_co_u32 v29, null, v28, v34
	s_delay_alu instid0(VALU_DEP_1)
	v_lshl_add_u32 v39, v29, 2, v2
	s_and_saveexec_b32 s3, s4
	s_cbranch_execz .LBB5_170
; %bb.169:                              ;   in Loop: Header=BB5_140 Depth=1
	v_ashrrev_i32_e32 v32, 31, v31
	s_delay_alu instid0(VALU_DEP_1) | instskip(NEXT) | instid1(VALU_DEP_1)
	v_lshlrev_b64 v[31:32], 2, v[31:32]
	v_add_co_u32 v48, vcc_lo, v4, v31
	s_delay_alu instid0(VALU_DEP_2)
	v_add_co_ci_u32_e32 v49, vcc_lo, v5, v32, vcc_lo
	v_add_co_u32 v31, vcc_lo, v6, v31
	v_add_co_ci_u32_e32 v32, vcc_lo, v7, v32, vcc_lo
	flat_store_b32 v[48:49], v14
	flat_store_b32 v[31:32], v39
.LBB5_170:                              ;   in Loop: Header=BB5_140 Depth=1
	s_or_b32 exec_lo, exec_lo, s3
	v_cmp_gt_i32_e32 vcc_lo, 0, v15
	s_mov_b32 s4, 0
	s_mov_b32 s3, exec_lo
                                        ; implicit-def: $vgpr31
	v_cndmask_b32_e64 v14, 0x7fffffff, 0, vcc_lo
	s_delay_alu instid0(VALU_DEP_1) | instskip(NEXT) | instid1(VALU_DEP_1)
	v_xor_b32_e32 v14, v14, v15
	v_and_b32_e32 v14, v14, v33
	s_delay_alu instid0(VALU_DEP_1)
	v_cmpx_ge_u32_e64 v14, v23
	s_xor_b32 s3, exec_lo, s3
	s_cbranch_execnz .LBB5_263
; %bb.171:                              ;   in Loop: Header=BB5_140 Depth=1
	s_and_not1_saveexec_b32 s3, s3
	s_cbranch_execnz .LBB5_270
.LBB5_172:                              ;   in Loop: Header=BB5_140 Depth=1
	s_or_b32 exec_lo, exec_lo, s3
	s_and_saveexec_b32 s3, s4
	s_cbranch_execz .LBB5_174
.LBB5_173:                              ;   in Loop: Header=BB5_140 Depth=1
	v_ashrrev_i32_e32 v32, 31, v31
	v_add_nc_u32_e32 v14, 1, v39
	s_delay_alu instid0(VALU_DEP_2) | instskip(NEXT) | instid1(VALU_DEP_1)
	v_lshlrev_b64 v[31:32], 2, v[31:32]
	v_add_co_u32 v48, vcc_lo, v4, v31
	s_delay_alu instid0(VALU_DEP_2)
	v_add_co_ci_u32_e32 v49, vcc_lo, v5, v32, vcc_lo
	v_add_co_u32 v31, vcc_lo, v6, v31
	v_add_co_ci_u32_e32 v32, vcc_lo, v7, v32, vcc_lo
	flat_store_b32 v[48:49], v15
	flat_store_b32 v[31:32], v14
.LBB5_174:                              ;   in Loop: Header=BB5_140 Depth=1
	s_or_b32 exec_lo, exec_lo, s3
	v_cmp_gt_i32_e32 vcc_lo, 0, v16
	s_mov_b32 s4, 0
	s_mov_b32 s3, exec_lo
	v_cndmask_b32_e64 v14, 0x7fffffff, 0, vcc_lo
	s_delay_alu instid0(VALU_DEP_1) | instskip(NEXT) | instid1(VALU_DEP_1)
	v_xor_b32_e32 v14, v14, v16
	v_and_b32_e32 v15, v14, v33
                                        ; implicit-def: $vgpr14
	s_delay_alu instid0(VALU_DEP_1)
	v_cmpx_ge_u32_e64 v15, v23
	s_xor_b32 s3, exec_lo, s3
	s_cbranch_execnz .LBB5_273
; %bb.175:                              ;   in Loop: Header=BB5_140 Depth=1
	s_and_not1_saveexec_b32 s3, s3
	s_cbranch_execnz .LBB5_280
.LBB5_176:                              ;   in Loop: Header=BB5_140 Depth=1
	s_or_b32 exec_lo, exec_lo, s3
	s_and_saveexec_b32 s3, s4
	s_cbranch_execz .LBB5_178
.LBB5_177:                              ;   in Loop: Header=BB5_140 Depth=1
	v_ashrrev_i32_e32 v15, 31, v14
	v_add_nc_u32_e32 v48, 2, v39
	s_delay_alu instid0(VALU_DEP_2) | instskip(NEXT) | instid1(VALU_DEP_1)
	v_lshlrev_b64 v[14:15], 2, v[14:15]
	v_add_co_u32 v31, vcc_lo, v4, v14
	s_delay_alu instid0(VALU_DEP_2)
	v_add_co_ci_u32_e32 v32, vcc_lo, v5, v15, vcc_lo
	v_add_co_u32 v14, vcc_lo, v6, v14
	v_add_co_ci_u32_e32 v15, vcc_lo, v7, v15, vcc_lo
	flat_store_b32 v[31:32], v16
	flat_store_b32 v[14:15], v48
.LBB5_178:                              ;   in Loop: Header=BB5_140 Depth=1
	s_or_b32 exec_lo, exec_lo, s3
	v_cmp_gt_i32_e32 vcc_lo, 0, v17
	s_mov_b32 s4, 0
	s_mov_b32 s3, exec_lo
	v_cndmask_b32_e64 v14, 0x7fffffff, 0, vcc_lo
	s_delay_alu instid0(VALU_DEP_1) | instskip(NEXT) | instid1(VALU_DEP_1)
	v_xor_b32_e32 v14, v14, v17
	v_and_b32_e32 v15, v14, v33
                                        ; implicit-def: $vgpr14
	s_delay_alu instid0(VALU_DEP_1)
	v_cmpx_ge_u32_e64 v15, v23
	s_xor_b32 s3, exec_lo, s3
	s_cbranch_execnz .LBB5_283
; %bb.179:                              ;   in Loop: Header=BB5_140 Depth=1
	s_and_not1_saveexec_b32 s3, s3
	s_cbranch_execnz .LBB5_290
.LBB5_180:                              ;   in Loop: Header=BB5_140 Depth=1
	s_or_b32 exec_lo, exec_lo, s3
	s_and_saveexec_b32 s3, s4
	s_cbranch_execz .LBB5_182
.LBB5_181:                              ;   in Loop: Header=BB5_140 Depth=1
	v_ashrrev_i32_e32 v15, 31, v14
	v_add_nc_u32_e32 v16, 3, v39
	s_delay_alu instid0(VALU_DEP_2) | instskip(NEXT) | instid1(VALU_DEP_1)
	v_lshlrev_b64 v[14:15], 2, v[14:15]
	v_add_co_u32 v31, vcc_lo, v4, v14
	s_delay_alu instid0(VALU_DEP_2)
	v_add_co_ci_u32_e32 v32, vcc_lo, v5, v15, vcc_lo
	v_add_co_u32 v14, vcc_lo, v6, v14
	v_add_co_ci_u32_e32 v15, vcc_lo, v7, v15, vcc_lo
	flat_store_b32 v[31:32], v17
	flat_store_b32 v[14:15], v16
.LBB5_182:                              ;   in Loop: Header=BB5_140 Depth=1
	s_or_b32 exec_lo, exec_lo, s3
	s_waitcnt vmcnt(1) lgkmcnt(1)
	v_cmp_gt_i32_e32 vcc_lo, 0, v18
	s_mov_b32 s4, 0
	s_mov_b32 s3, exec_lo
	v_cndmask_b32_e64 v14, 0x7fffffff, 0, vcc_lo
	s_delay_alu instid0(VALU_DEP_1) | instskip(NEXT) | instid1(VALU_DEP_1)
	v_xor_b32_e32 v14, v14, v18
	v_and_b32_e32 v15, v14, v33
                                        ; implicit-def: $vgpr14
	s_delay_alu instid0(VALU_DEP_1)
	v_cmpx_ge_u32_e64 v15, v23
	s_xor_b32 s3, exec_lo, s3
	s_cbranch_execz .LBB5_190
; %bb.183:                              ;   in Loop: Header=BB5_140 Depth=1
	s_mov_b32 s5, 0
	s_mov_b32 s4, exec_lo
                                        ; implicit-def: $vgpr14
	v_cmpx_eq_u32_e64 v15, v23
	s_cbranch_execz .LBB5_189
; %bb.184:                              ;   in Loop: Header=BB5_140 Depth=1
	s_mov_b32 s6, exec_lo
	s_mov_b32 s5, exec_lo
	v_mbcnt_lo_u32_b32 v14, s6, 0
                                        ; implicit-def: $vgpr15
	s_delay_alu instid0(VALU_DEP_1)
	v_cmpx_eq_u32_e32 0, v14
	s_cbranch_execz .LBB5_186
; %bb.185:                              ;   in Loop: Header=BB5_140 Depth=1
	s_bcnt1_i32_b32 s6, s6
	s_delay_alu instid0(SALU_CYCLE_1)
	v_mov_b32_e32 v15, s6
	ds_add_rtn_u32 v15, v25, v15 offset:512
.LBB5_186:                              ;   in Loop: Header=BB5_140 Depth=1
	s_or_b32 exec_lo, exec_lo, s5
	s_waitcnt lgkmcnt(0)
	v_readfirstlane_b32 s5, v15
	s_mov_b32 s6, exec_lo
	s_delay_alu instid0(VALU_DEP_1) | instskip(SKIP_1) | instid1(VALU_DEP_1)
	v_add_nc_u32_e32 v15, s5, v14
	s_mov_b32 s5, 0
                                        ; implicit-def: $vgpr14
	v_cmpx_lt_i32_e64 v15, v22
	s_xor_b32 s6, exec_lo, s6
; %bb.187:                              ;   in Loop: Header=BB5_140 Depth=1
	v_xad_u32 v14, v15, -1, v9
	s_mov_b32 s5, exec_lo
; %bb.188:                              ;   in Loop: Header=BB5_140 Depth=1
	s_or_b32 exec_lo, exec_lo, s6
	s_delay_alu instid0(SALU_CYCLE_1)
	s_and_b32 s5, s5, exec_lo
.LBB5_189:                              ;   in Loop: Header=BB5_140 Depth=1
	s_or_b32 exec_lo, exec_lo, s4
	s_delay_alu instid0(SALU_CYCLE_1)
	s_and_b32 s4, s5, exec_lo
.LBB5_190:                              ;   in Loop: Header=BB5_140 Depth=1
	s_and_not1_saveexec_b32 s3, s3
	s_cbranch_execz .LBB5_194
; %bb.191:                              ;   in Loop: Header=BB5_140 Depth=1
	s_mov_b32 s6, exec_lo
	s_mov_b32 s5, exec_lo
	v_mbcnt_lo_u32_b32 v14, s6, 0
                                        ; implicit-def: $vgpr15
	s_delay_alu instid0(VALU_DEP_1)
	v_cmpx_eq_u32_e32 0, v14
	s_cbranch_execz .LBB5_193
; %bb.192:                              ;   in Loop: Header=BB5_140 Depth=1
	s_bcnt1_i32_b32 s6, s6
	s_delay_alu instid0(SALU_CYCLE_1)
	v_mov_b32_e32 v15, s6
	ds_add_rtn_u32 v15, v25, v15 offset:384
.LBB5_193:                              ;   in Loop: Header=BB5_140 Depth=1
	s_or_b32 exec_lo, exec_lo, s5
	s_waitcnt lgkmcnt(0)
	v_readfirstlane_b32 s5, v15
	s_or_b32 s4, s4, exec_lo
	s_delay_alu instid0(VALU_DEP_1)
	v_add_nc_u32_e32 v14, s5, v14
.LBB5_194:                              ;   in Loop: Header=BB5_140 Depth=1
	s_or_b32 exec_lo, exec_lo, s3
	v_add_nc_u32_e32 v15, v29, v34
	s_delay_alu instid0(VALU_DEP_1)
	v_lshl_add_u32 v16, v15, 2, v2
	s_and_saveexec_b32 s3, s4
	s_cbranch_execz .LBB5_196
; %bb.195:                              ;   in Loop: Header=BB5_140 Depth=1
	v_ashrrev_i32_e32 v15, 31, v14
	s_delay_alu instid0(VALU_DEP_1) | instskip(NEXT) | instid1(VALU_DEP_1)
	v_lshlrev_b64 v[14:15], 2, v[14:15]
	v_add_co_u32 v31, vcc_lo, v4, v14
	s_delay_alu instid0(VALU_DEP_2)
	v_add_co_ci_u32_e32 v32, vcc_lo, v5, v15, vcc_lo
	v_add_co_u32 v14, vcc_lo, v6, v14
	v_add_co_ci_u32_e32 v15, vcc_lo, v7, v15, vcc_lo
	flat_store_b32 v[31:32], v18
	flat_store_b32 v[14:15], v16
.LBB5_196:                              ;   in Loop: Header=BB5_140 Depth=1
	s_or_b32 exec_lo, exec_lo, s3
	v_cmp_gt_i32_e32 vcc_lo, 0, v19
	s_mov_b32 s4, 0
	s_mov_b32 s3, exec_lo
	v_cndmask_b32_e64 v14, 0x7fffffff, 0, vcc_lo
	s_delay_alu instid0(VALU_DEP_1) | instskip(NEXT) | instid1(VALU_DEP_1)
	v_xor_b32_e32 v14, v14, v19
	v_and_b32_e32 v15, v14, v33
                                        ; implicit-def: $vgpr14
	s_delay_alu instid0(VALU_DEP_1)
	v_cmpx_ge_u32_e64 v15, v23
	s_xor_b32 s3, exec_lo, s3
	s_cbranch_execnz .LBB5_293
; %bb.197:                              ;   in Loop: Header=BB5_140 Depth=1
	s_and_not1_saveexec_b32 s3, s3
	s_cbranch_execnz .LBB5_300
.LBB5_198:                              ;   in Loop: Header=BB5_140 Depth=1
	s_or_b32 exec_lo, exec_lo, s3
	s_and_saveexec_b32 s3, s4
	s_cbranch_execz .LBB5_200
.LBB5_199:                              ;   in Loop: Header=BB5_140 Depth=1
	v_ashrrev_i32_e32 v15, 31, v14
	v_add_nc_u32_e32 v29, 1, v16
	s_delay_alu instid0(VALU_DEP_2) | instskip(NEXT) | instid1(VALU_DEP_1)
	v_lshlrev_b64 v[14:15], 2, v[14:15]
	v_add_co_u32 v17, vcc_lo, v4, v14
	s_delay_alu instid0(VALU_DEP_2)
	v_add_co_ci_u32_e32 v18, vcc_lo, v5, v15, vcc_lo
	v_add_co_u32 v14, vcc_lo, v6, v14
	v_add_co_ci_u32_e32 v15, vcc_lo, v7, v15, vcc_lo
	flat_store_b32 v[17:18], v19
	flat_store_b32 v[14:15], v29
.LBB5_200:                              ;   in Loop: Header=BB5_140 Depth=1
	s_or_b32 exec_lo, exec_lo, s3
	v_cmp_gt_i32_e32 vcc_lo, 0, v20
	s_mov_b32 s4, 0
	s_mov_b32 s3, exec_lo
	v_cndmask_b32_e64 v14, 0x7fffffff, 0, vcc_lo
	s_delay_alu instid0(VALU_DEP_1) | instskip(NEXT) | instid1(VALU_DEP_1)
	v_xor_b32_e32 v14, v14, v20
	v_and_b32_e32 v15, v14, v33
                                        ; implicit-def: $vgpr14
	s_delay_alu instid0(VALU_DEP_1)
	v_cmpx_ge_u32_e64 v15, v23
	s_xor_b32 s3, exec_lo, s3
	s_cbranch_execnz .LBB5_303
; %bb.201:                              ;   in Loop: Header=BB5_140 Depth=1
	s_and_not1_saveexec_b32 s3, s3
	s_cbranch_execnz .LBB5_310
.LBB5_202:                              ;   in Loop: Header=BB5_140 Depth=1
	s_or_b32 exec_lo, exec_lo, s3
	s_and_saveexec_b32 s3, s4
	s_cbranch_execz .LBB5_204
.LBB5_203:                              ;   in Loop: Header=BB5_140 Depth=1
	v_ashrrev_i32_e32 v15, 31, v14
	v_add_nc_u32_e32 v19, 2, v16
	s_delay_alu instid0(VALU_DEP_2) | instskip(NEXT) | instid1(VALU_DEP_1)
	v_lshlrev_b64 v[14:15], 2, v[14:15]
	v_add_co_u32 v17, vcc_lo, v4, v14
	s_delay_alu instid0(VALU_DEP_2)
	v_add_co_ci_u32_e32 v18, vcc_lo, v5, v15, vcc_lo
	v_add_co_u32 v14, vcc_lo, v6, v14
	v_add_co_ci_u32_e32 v15, vcc_lo, v7, v15, vcc_lo
	flat_store_b32 v[17:18], v20
	flat_store_b32 v[14:15], v19
.LBB5_204:                              ;   in Loop: Header=BB5_140 Depth=1
	s_or_b32 exec_lo, exec_lo, s3
	v_cmp_gt_i32_e32 vcc_lo, 0, v21
	s_mov_b32 s4, 0
	s_mov_b32 s3, exec_lo
	v_cndmask_b32_e64 v14, 0x7fffffff, 0, vcc_lo
	s_delay_alu instid0(VALU_DEP_1) | instskip(NEXT) | instid1(VALU_DEP_1)
	v_xor_b32_e32 v14, v14, v21
	v_and_b32_e32 v15, v14, v33
                                        ; implicit-def: $vgpr14
	s_delay_alu instid0(VALU_DEP_1)
	v_cmpx_ge_u32_e64 v15, v23
	s_xor_b32 s3, exec_lo, s3
	s_cbranch_execnz .LBB5_313
; %bb.205:                              ;   in Loop: Header=BB5_140 Depth=1
	s_and_not1_saveexec_b32 s3, s3
	s_cbranch_execnz .LBB5_320
.LBB5_206:                              ;   in Loop: Header=BB5_140 Depth=1
	s_or_b32 exec_lo, exec_lo, s3
	s_and_saveexec_b32 s3, s4
	s_cbranch_execz .LBB5_208
.LBB5_207:                              ;   in Loop: Header=BB5_140 Depth=1
	v_ashrrev_i32_e32 v15, 31, v14
	v_add_nc_u32_e32 v18, 3, v16
	s_delay_alu instid0(VALU_DEP_2) | instskip(NEXT) | instid1(VALU_DEP_1)
	v_lshlrev_b64 v[14:15], 2, v[14:15]
	v_add_co_u32 v16, vcc_lo, v4, v14
	s_delay_alu instid0(VALU_DEP_2)
	v_add_co_ci_u32_e32 v17, vcc_lo, v5, v15, vcc_lo
	v_add_co_u32 v14, vcc_lo, v6, v14
	v_add_co_ci_u32_e32 v15, vcc_lo, v7, v15, vcc_lo
	flat_store_b32 v[16:17], v21
	flat_store_b32 v[14:15], v18
.LBB5_208:                              ;   in Loop: Header=BB5_140 Depth=1
	s_or_b32 exec_lo, exec_lo, s3
	s_waitcnt vmcnt(0) lgkmcnt(0)
	v_cmp_gt_i32_e32 vcc_lo, 0, v10
	s_mov_b32 s4, 0
	s_mov_b32 s3, exec_lo
	v_cndmask_b32_e64 v14, 0x7fffffff, 0, vcc_lo
	s_delay_alu instid0(VALU_DEP_1) | instskip(NEXT) | instid1(VALU_DEP_1)
	v_xor_b32_e32 v14, v14, v10
	v_and_b32_e32 v15, v14, v33
                                        ; implicit-def: $vgpr14
	s_delay_alu instid0(VALU_DEP_1)
	v_cmpx_ge_u32_e64 v15, v23
	s_xor_b32 s3, exec_lo, s3
	s_cbranch_execnz .LBB5_323
; %bb.209:                              ;   in Loop: Header=BB5_140 Depth=1
	s_and_not1_saveexec_b32 s3, s3
	s_cbranch_execnz .LBB5_330
.LBB5_210:                              ;   in Loop: Header=BB5_140 Depth=1
	s_or_b32 exec_lo, exec_lo, s3
	v_lshl_add_u32 v16, v30, 2, v2
	s_and_saveexec_b32 s3, s4
	s_cbranch_execz .LBB5_212
.LBB5_211:                              ;   in Loop: Header=BB5_140 Depth=1
	v_ashrrev_i32_e32 v15, 31, v14
	s_delay_alu instid0(VALU_DEP_1) | instskip(NEXT) | instid1(VALU_DEP_1)
	v_lshlrev_b64 v[14:15], 2, v[14:15]
	v_add_co_u32 v17, vcc_lo, v4, v14
	s_delay_alu instid0(VALU_DEP_2)
	v_add_co_ci_u32_e32 v18, vcc_lo, v5, v15, vcc_lo
	v_add_co_u32 v14, vcc_lo, v6, v14
	v_add_co_ci_u32_e32 v15, vcc_lo, v7, v15, vcc_lo
	flat_store_b32 v[17:18], v10
	flat_store_b32 v[14:15], v16
.LBB5_212:                              ;   in Loop: Header=BB5_140 Depth=1
	s_or_b32 exec_lo, exec_lo, s3
	v_cmp_gt_i32_e32 vcc_lo, 0, v11
	s_mov_b32 s4, 0
	s_mov_b32 s3, exec_lo
                                        ; implicit-def: $vgpr14
	v_cndmask_b32_e64 v10, 0x7fffffff, 0, vcc_lo
	s_delay_alu instid0(VALU_DEP_1) | instskip(NEXT) | instid1(VALU_DEP_1)
	v_xor_b32_e32 v10, v10, v11
	v_and_b32_e32 v10, v10, v33
	s_delay_alu instid0(VALU_DEP_1)
	v_cmpx_ge_u32_e64 v10, v23
	s_xor_b32 s3, exec_lo, s3
	s_cbranch_execnz .LBB5_333
; %bb.213:                              ;   in Loop: Header=BB5_140 Depth=1
	s_and_not1_saveexec_b32 s3, s3
	s_cbranch_execnz .LBB5_340
.LBB5_214:                              ;   in Loop: Header=BB5_140 Depth=1
	s_or_b32 exec_lo, exec_lo, s3
	s_and_saveexec_b32 s3, s4
	s_cbranch_execz .LBB5_216
.LBB5_215:                              ;   in Loop: Header=BB5_140 Depth=1
	v_ashrrev_i32_e32 v15, 31, v14
	v_add_nc_u32_e32 v10, 1, v16
	s_delay_alu instid0(VALU_DEP_2) | instskip(NEXT) | instid1(VALU_DEP_1)
	v_lshlrev_b64 v[14:15], 2, v[14:15]
	v_add_co_u32 v17, vcc_lo, v4, v14
	s_delay_alu instid0(VALU_DEP_2)
	v_add_co_ci_u32_e32 v18, vcc_lo, v5, v15, vcc_lo
	v_add_co_u32 v14, vcc_lo, v6, v14
	v_add_co_ci_u32_e32 v15, vcc_lo, v7, v15, vcc_lo
	flat_store_b32 v[17:18], v11
	flat_store_b32 v[14:15], v10
.LBB5_216:                              ;   in Loop: Header=BB5_140 Depth=1
	s_or_b32 exec_lo, exec_lo, s3
	v_cmp_gt_i32_e32 vcc_lo, 0, v12
	s_mov_b32 s4, 0
	s_mov_b32 s3, exec_lo
	v_cndmask_b32_e64 v10, 0x7fffffff, 0, vcc_lo
	s_delay_alu instid0(VALU_DEP_1) | instskip(NEXT) | instid1(VALU_DEP_1)
	v_xor_b32_e32 v10, v10, v12
	v_and_b32_e32 v11, v10, v33
                                        ; implicit-def: $vgpr10
	s_delay_alu instid0(VALU_DEP_1)
	v_cmpx_ge_u32_e64 v11, v23
	s_xor_b32 s3, exec_lo, s3
	s_cbranch_execnz .LBB5_343
; %bb.217:                              ;   in Loop: Header=BB5_140 Depth=1
	s_and_not1_saveexec_b32 s3, s3
	s_cbranch_execnz .LBB5_350
.LBB5_218:                              ;   in Loop: Header=BB5_140 Depth=1
	s_or_b32 exec_lo, exec_lo, s3
	s_and_saveexec_b32 s3, s4
	s_cbranch_execz .LBB5_220
.LBB5_219:                              ;   in Loop: Header=BB5_140 Depth=1
	v_ashrrev_i32_e32 v11, 31, v10
	v_add_nc_u32_e32 v17, 2, v16
	s_delay_alu instid0(VALU_DEP_2) | instskip(NEXT) | instid1(VALU_DEP_1)
	v_lshlrev_b64 v[10:11], 2, v[10:11]
	v_add_co_u32 v14, vcc_lo, v4, v10
	s_delay_alu instid0(VALU_DEP_2)
	v_add_co_ci_u32_e32 v15, vcc_lo, v5, v11, vcc_lo
	v_add_co_u32 v10, vcc_lo, v6, v10
	v_add_co_ci_u32_e32 v11, vcc_lo, v7, v11, vcc_lo
	flat_store_b32 v[14:15], v12
	flat_store_b32 v[10:11], v17
.LBB5_220:                              ;   in Loop: Header=BB5_140 Depth=1
	s_or_b32 exec_lo, exec_lo, s3
	v_cmp_gt_i32_e32 vcc_lo, 0, v13
	s_mov_b32 s4, 0
	s_mov_b32 s3, exec_lo
	v_cndmask_b32_e64 v10, 0x7fffffff, 0, vcc_lo
	s_delay_alu instid0(VALU_DEP_1) | instskip(NEXT) | instid1(VALU_DEP_1)
	v_xor_b32_e32 v10, v10, v13
	v_and_b32_e32 v11, v10, v33
                                        ; implicit-def: $vgpr10
	s_delay_alu instid0(VALU_DEP_1)
	v_cmpx_ge_u32_e64 v11, v23
	s_xor_b32 s3, exec_lo, s3
	s_cbranch_execnz .LBB5_353
; %bb.221:                              ;   in Loop: Header=BB5_140 Depth=1
	s_and_not1_saveexec_b32 s3, s3
	s_cbranch_execnz .LBB5_360
.LBB5_222:                              ;   in Loop: Header=BB5_140 Depth=1
	s_or_b32 exec_lo, exec_lo, s3
	s_and_saveexec_b32 s3, s4
	s_cbranch_execz .LBB5_139
	s_branch .LBB5_363
.LBB5_223:                              ;   in Loop: Header=BB5_140 Depth=1
	s_mov_b32 s5, 0
	s_mov_b32 s4, exec_lo
                                        ; implicit-def: $vgpr20
	v_cmpx_eq_u32_e64 v21, v23
	s_cbranch_execz .LBB5_229
; %bb.224:                              ;   in Loop: Header=BB5_140 Depth=1
	s_mov_b32 s6, exec_lo
	s_mov_b32 s5, exec_lo
	v_mbcnt_lo_u32_b32 v20, s6, 0
                                        ; implicit-def: $vgpr21
	s_delay_alu instid0(VALU_DEP_1)
	v_cmpx_eq_u32_e32 0, v20
	s_cbranch_execz .LBB5_226
; %bb.225:                              ;   in Loop: Header=BB5_140 Depth=1
	s_bcnt1_i32_b32 s6, s6
	s_delay_alu instid0(SALU_CYCLE_1)
	v_mov_b32_e32 v21, s6
	ds_add_rtn_u32 v21, v25, v21 offset:512
.LBB5_226:                              ;   in Loop: Header=BB5_140 Depth=1
	s_or_b32 exec_lo, exec_lo, s5
	s_waitcnt lgkmcnt(0)
	v_readfirstlane_b32 s5, v21
	s_mov_b32 s6, exec_lo
	s_delay_alu instid0(VALU_DEP_1) | instskip(SKIP_1) | instid1(VALU_DEP_1)
	v_add_nc_u32_e32 v21, s5, v20
	s_mov_b32 s5, 0
                                        ; implicit-def: $vgpr20
	v_cmpx_lt_i32_e64 v21, v22
	s_xor_b32 s6, exec_lo, s6
; %bb.227:                              ;   in Loop: Header=BB5_140 Depth=1
	v_xad_u32 v20, v21, -1, v9
	s_mov_b32 s5, exec_lo
; %bb.228:                              ;   in Loop: Header=BB5_140 Depth=1
	s_or_b32 exec_lo, exec_lo, s6
	s_delay_alu instid0(SALU_CYCLE_1)
	s_and_b32 s5, s5, exec_lo
.LBB5_229:                              ;   in Loop: Header=BB5_140 Depth=1
	s_or_b32 exec_lo, exec_lo, s4
	s_delay_alu instid0(SALU_CYCLE_1)
	s_and_b32 s4, s5, exec_lo
	s_and_not1_saveexec_b32 s3, s3
	s_cbranch_execz .LBB5_142
.LBB5_230:                              ;   in Loop: Header=BB5_140 Depth=1
	s_mov_b32 s6, exec_lo
	s_mov_b32 s5, exec_lo
	v_mbcnt_lo_u32_b32 v20, s6, 0
                                        ; implicit-def: $vgpr21
	s_delay_alu instid0(VALU_DEP_1)
	v_cmpx_eq_u32_e32 0, v20
	s_cbranch_execz .LBB5_232
; %bb.231:                              ;   in Loop: Header=BB5_140 Depth=1
	s_bcnt1_i32_b32 s6, s6
	s_delay_alu instid0(SALU_CYCLE_1)
	v_mov_b32_e32 v21, s6
	ds_add_rtn_u32 v21, v25, v21 offset:384
.LBB5_232:                              ;   in Loop: Header=BB5_140 Depth=1
	s_or_b32 exec_lo, exec_lo, s5
	s_waitcnt lgkmcnt(0)
	v_readfirstlane_b32 s5, v21
	s_or_b32 s4, s4, exec_lo
	s_delay_alu instid0(VALU_DEP_1)
	v_add_nc_u32_e32 v20, s5, v20
	s_or_b32 exec_lo, exec_lo, s3
	v_lshl_add_u32 v29, v28, 2, v2
	s_and_saveexec_b32 s3, s4
	s_cbranch_execnz .LBB5_143
	s_branch .LBB5_144
.LBB5_233:                              ;   in Loop: Header=BB5_140 Depth=1
	s_mov_b32 s5, 0
	s_mov_b32 s4, exec_lo
                                        ; implicit-def: $vgpr20
	v_cmpx_eq_u32_e64 v10, v23
	s_cbranch_execz .LBB5_239
; %bb.234:                              ;   in Loop: Header=BB5_140 Depth=1
	s_mov_b32 s6, exec_lo
	s_mov_b32 s5, exec_lo
	v_mbcnt_lo_u32_b32 v10, s6, 0
                                        ; implicit-def: $vgpr20
	s_delay_alu instid0(VALU_DEP_1)
	v_cmpx_eq_u32_e32 0, v10
	s_cbranch_execz .LBB5_236
; %bb.235:                              ;   in Loop: Header=BB5_140 Depth=1
	s_bcnt1_i32_b32 s6, s6
	s_delay_alu instid0(SALU_CYCLE_1)
	v_mov_b32_e32 v20, s6
	ds_add_rtn_u32 v20, v25, v20 offset:512
.LBB5_236:                              ;   in Loop: Header=BB5_140 Depth=1
	s_or_b32 exec_lo, exec_lo, s5
	s_waitcnt lgkmcnt(0)
	v_readfirstlane_b32 s5, v20
	s_mov_b32 s6, exec_lo
                                        ; implicit-def: $vgpr20
	s_delay_alu instid0(VALU_DEP_1) | instskip(SKIP_1) | instid1(VALU_DEP_1)
	v_add_nc_u32_e32 v10, s5, v10
	s_mov_b32 s5, 0
	v_cmpx_lt_i32_e64 v10, v22
; %bb.237:                              ;   in Loop: Header=BB5_140 Depth=1
	v_xad_u32 v20, v10, -1, v9
	s_mov_b32 s5, exec_lo
; %bb.238:                              ;   in Loop: Header=BB5_140 Depth=1
	s_or_b32 exec_lo, exec_lo, s6
	s_delay_alu instid0(SALU_CYCLE_1)
	s_and_b32 s5, s5, exec_lo
.LBB5_239:                              ;   in Loop: Header=BB5_140 Depth=1
	s_or_b32 exec_lo, exec_lo, s4
	s_delay_alu instid0(SALU_CYCLE_1)
	s_and_b32 s4, s5, exec_lo
	s_and_not1_saveexec_b32 s3, s3
	s_cbranch_execz .LBB5_146
.LBB5_240:                              ;   in Loop: Header=BB5_140 Depth=1
	s_mov_b32 s6, exec_lo
	s_mov_b32 s5, exec_lo
	v_mbcnt_lo_u32_b32 v10, s6, 0
                                        ; implicit-def: $vgpr20
	s_delay_alu instid0(VALU_DEP_1)
	v_cmpx_eq_u32_e32 0, v10
	s_cbranch_execz .LBB5_242
; %bb.241:                              ;   in Loop: Header=BB5_140 Depth=1
	s_bcnt1_i32_b32 s6, s6
	s_delay_alu instid0(SALU_CYCLE_1)
	v_mov_b32_e32 v20, s6
	ds_add_rtn_u32 v20, v25, v20 offset:384
.LBB5_242:                              ;   in Loop: Header=BB5_140 Depth=1
	s_or_b32 exec_lo, exec_lo, s5
	s_waitcnt lgkmcnt(0)
	v_readfirstlane_b32 s5, v20
	s_or_b32 s4, s4, exec_lo
	s_delay_alu instid0(VALU_DEP_1)
	v_add_nc_u32_e32 v20, s5, v10
	s_or_b32 exec_lo, exec_lo, s3
	s_and_saveexec_b32 s3, s4
	s_cbranch_execnz .LBB5_147
	s_branch .LBB5_148
.LBB5_243:                              ;   in Loop: Header=BB5_140 Depth=1
	s_mov_b32 s5, 0
	s_mov_b32 s4, exec_lo
                                        ; implicit-def: $vgpr10
	v_cmpx_eq_u32_e64 v11, v23
	s_cbranch_execz .LBB5_249
; %bb.244:                              ;   in Loop: Header=BB5_140 Depth=1
	s_mov_b32 s6, exec_lo
	s_mov_b32 s5, exec_lo
	v_mbcnt_lo_u32_b32 v10, s6, 0
                                        ; implicit-def: $vgpr11
	s_delay_alu instid0(VALU_DEP_1)
	v_cmpx_eq_u32_e32 0, v10
	s_cbranch_execz .LBB5_246
; %bb.245:                              ;   in Loop: Header=BB5_140 Depth=1
	s_bcnt1_i32_b32 s6, s6
	s_delay_alu instid0(SALU_CYCLE_1)
	v_mov_b32_e32 v11, s6
	ds_add_rtn_u32 v11, v25, v11 offset:512
.LBB5_246:                              ;   in Loop: Header=BB5_140 Depth=1
	s_or_b32 exec_lo, exec_lo, s5
	s_waitcnt lgkmcnt(0)
	v_readfirstlane_b32 s5, v11
	s_mov_b32 s6, exec_lo
	s_delay_alu instid0(VALU_DEP_1) | instskip(SKIP_1) | instid1(VALU_DEP_1)
	v_add_nc_u32_e32 v11, s5, v10
	s_mov_b32 s5, 0
                                        ; implicit-def: $vgpr10
	v_cmpx_lt_i32_e64 v11, v22
; %bb.247:                              ;   in Loop: Header=BB5_140 Depth=1
	v_xad_u32 v10, v11, -1, v9
	s_mov_b32 s5, exec_lo
; %bb.248:                              ;   in Loop: Header=BB5_140 Depth=1
	s_or_b32 exec_lo, exec_lo, s6
	s_delay_alu instid0(SALU_CYCLE_1)
	s_and_b32 s5, s5, exec_lo
.LBB5_249:                              ;   in Loop: Header=BB5_140 Depth=1
	s_or_b32 exec_lo, exec_lo, s4
	s_delay_alu instid0(SALU_CYCLE_1)
	s_and_b32 s4, s5, exec_lo
	s_and_not1_saveexec_b32 s3, s3
	s_cbranch_execz .LBB5_150
.LBB5_250:                              ;   in Loop: Header=BB5_140 Depth=1
	s_mov_b32 s6, exec_lo
	s_mov_b32 s5, exec_lo
	v_mbcnt_lo_u32_b32 v10, s6, 0
                                        ; implicit-def: $vgpr11
	s_delay_alu instid0(VALU_DEP_1)
	v_cmpx_eq_u32_e32 0, v10
	s_cbranch_execz .LBB5_252
; %bb.251:                              ;   in Loop: Header=BB5_140 Depth=1
	s_bcnt1_i32_b32 s6, s6
	s_delay_alu instid0(SALU_CYCLE_1)
	v_mov_b32_e32 v11, s6
	ds_add_rtn_u32 v11, v25, v11 offset:384
.LBB5_252:                              ;   in Loop: Header=BB5_140 Depth=1
	s_or_b32 exec_lo, exec_lo, s5
	s_waitcnt lgkmcnt(0)
	v_readfirstlane_b32 s5, v11
	s_or_b32 s4, s4, exec_lo
	s_delay_alu instid0(VALU_DEP_1)
	v_add_nc_u32_e32 v10, s5, v10
	s_or_b32 exec_lo, exec_lo, s3
	s_and_saveexec_b32 s3, s4
	s_cbranch_execnz .LBB5_151
	s_branch .LBB5_152
.LBB5_253:                              ;   in Loop: Header=BB5_140 Depth=1
	s_mov_b32 s5, 0
	s_mov_b32 s4, exec_lo
                                        ; implicit-def: $vgpr10
	v_cmpx_eq_u32_e64 v11, v23
	s_cbranch_execz .LBB5_259
; %bb.254:                              ;   in Loop: Header=BB5_140 Depth=1
	s_mov_b32 s6, exec_lo
	s_mov_b32 s5, exec_lo
	v_mbcnt_lo_u32_b32 v10, s6, 0
                                        ; implicit-def: $vgpr11
	s_delay_alu instid0(VALU_DEP_1)
	v_cmpx_eq_u32_e32 0, v10
	s_cbranch_execz .LBB5_256
; %bb.255:                              ;   in Loop: Header=BB5_140 Depth=1
	s_bcnt1_i32_b32 s6, s6
	s_delay_alu instid0(SALU_CYCLE_1)
	v_mov_b32_e32 v11, s6
	ds_add_rtn_u32 v11, v25, v11 offset:512
.LBB5_256:                              ;   in Loop: Header=BB5_140 Depth=1
	s_or_b32 exec_lo, exec_lo, s5
	s_waitcnt lgkmcnt(0)
	v_readfirstlane_b32 s5, v11
	s_mov_b32 s6, exec_lo
	s_delay_alu instid0(VALU_DEP_1) | instskip(SKIP_1) | instid1(VALU_DEP_1)
	v_add_nc_u32_e32 v11, s5, v10
	s_mov_b32 s5, 0
                                        ; implicit-def: $vgpr10
	v_cmpx_lt_i32_e64 v11, v22
; %bb.257:                              ;   in Loop: Header=BB5_140 Depth=1
	v_xad_u32 v10, v11, -1, v9
	s_mov_b32 s5, exec_lo
; %bb.258:                              ;   in Loop: Header=BB5_140 Depth=1
	s_or_b32 exec_lo, exec_lo, s6
	s_delay_alu instid0(SALU_CYCLE_1)
	s_and_b32 s5, s5, exec_lo
.LBB5_259:                              ;   in Loop: Header=BB5_140 Depth=1
	s_or_b32 exec_lo, exec_lo, s4
	s_delay_alu instid0(SALU_CYCLE_1)
	s_and_b32 s4, s5, exec_lo
	s_and_not1_saveexec_b32 s3, s3
	s_cbranch_execz .LBB5_154
.LBB5_260:                              ;   in Loop: Header=BB5_140 Depth=1
	s_mov_b32 s6, exec_lo
	s_mov_b32 s5, exec_lo
	v_mbcnt_lo_u32_b32 v10, s6, 0
                                        ; implicit-def: $vgpr11
	s_delay_alu instid0(VALU_DEP_1)
	v_cmpx_eq_u32_e32 0, v10
	s_cbranch_execz .LBB5_262
; %bb.261:                              ;   in Loop: Header=BB5_140 Depth=1
	s_bcnt1_i32_b32 s6, s6
	s_delay_alu instid0(SALU_CYCLE_1)
	v_mov_b32_e32 v11, s6
	ds_add_rtn_u32 v11, v25, v11 offset:384
.LBB5_262:                              ;   in Loop: Header=BB5_140 Depth=1
	s_or_b32 exec_lo, exec_lo, s5
	s_waitcnt lgkmcnt(0)
	v_readfirstlane_b32 s5, v11
	s_or_b32 s4, s4, exec_lo
	s_delay_alu instid0(VALU_DEP_1)
	v_add_nc_u32_e32 v10, s5, v10
	s_or_b32 exec_lo, exec_lo, s3
	s_and_saveexec_b32 s3, s4
	s_cbranch_execnz .LBB5_155
	s_branch .LBB5_156
.LBB5_263:                              ;   in Loop: Header=BB5_140 Depth=1
	s_mov_b32 s5, 0
	s_mov_b32 s4, exec_lo
                                        ; implicit-def: $vgpr31
	v_cmpx_eq_u32_e64 v14, v23
	s_cbranch_execz .LBB5_269
; %bb.264:                              ;   in Loop: Header=BB5_140 Depth=1
	s_mov_b32 s6, exec_lo
	s_mov_b32 s5, exec_lo
	v_mbcnt_lo_u32_b32 v14, s6, 0
                                        ; implicit-def: $vgpr31
	s_delay_alu instid0(VALU_DEP_1)
	v_cmpx_eq_u32_e32 0, v14
	s_cbranch_execz .LBB5_266
; %bb.265:                              ;   in Loop: Header=BB5_140 Depth=1
	s_bcnt1_i32_b32 s6, s6
	s_delay_alu instid0(SALU_CYCLE_1)
	v_mov_b32_e32 v31, s6
	ds_add_rtn_u32 v31, v25, v31 offset:512
.LBB5_266:                              ;   in Loop: Header=BB5_140 Depth=1
	s_or_b32 exec_lo, exec_lo, s5
	s_waitcnt lgkmcnt(0)
	v_readfirstlane_b32 s5, v31
	s_mov_b32 s6, exec_lo
                                        ; implicit-def: $vgpr31
	s_delay_alu instid0(VALU_DEP_1) | instskip(SKIP_1) | instid1(VALU_DEP_1)
	v_add_nc_u32_e32 v14, s5, v14
	s_mov_b32 s5, 0
	v_cmpx_lt_i32_e64 v14, v22
; %bb.267:                              ;   in Loop: Header=BB5_140 Depth=1
	v_xad_u32 v31, v14, -1, v9
	s_mov_b32 s5, exec_lo
; %bb.268:                              ;   in Loop: Header=BB5_140 Depth=1
	s_or_b32 exec_lo, exec_lo, s6
	s_delay_alu instid0(SALU_CYCLE_1)
	s_and_b32 s5, s5, exec_lo
.LBB5_269:                              ;   in Loop: Header=BB5_140 Depth=1
	s_or_b32 exec_lo, exec_lo, s4
	s_delay_alu instid0(SALU_CYCLE_1)
	s_and_b32 s4, s5, exec_lo
	s_and_not1_saveexec_b32 s3, s3
	s_cbranch_execz .LBB5_172
.LBB5_270:                              ;   in Loop: Header=BB5_140 Depth=1
	s_mov_b32 s6, exec_lo
	s_mov_b32 s5, exec_lo
	v_mbcnt_lo_u32_b32 v14, s6, 0
                                        ; implicit-def: $vgpr31
	s_delay_alu instid0(VALU_DEP_1)
	v_cmpx_eq_u32_e32 0, v14
	s_cbranch_execz .LBB5_272
; %bb.271:                              ;   in Loop: Header=BB5_140 Depth=1
	s_bcnt1_i32_b32 s6, s6
	s_delay_alu instid0(SALU_CYCLE_1)
	v_mov_b32_e32 v31, s6
	ds_add_rtn_u32 v31, v25, v31 offset:384
.LBB5_272:                              ;   in Loop: Header=BB5_140 Depth=1
	s_or_b32 exec_lo, exec_lo, s5
	s_waitcnt lgkmcnt(0)
	v_readfirstlane_b32 s5, v31
	s_or_b32 s4, s4, exec_lo
	s_delay_alu instid0(VALU_DEP_1)
	v_add_nc_u32_e32 v31, s5, v14
	s_or_b32 exec_lo, exec_lo, s3
	s_and_saveexec_b32 s3, s4
	s_cbranch_execnz .LBB5_173
	s_branch .LBB5_174
.LBB5_273:                              ;   in Loop: Header=BB5_140 Depth=1
	s_mov_b32 s5, 0
	s_mov_b32 s4, exec_lo
                                        ; implicit-def: $vgpr14
	v_cmpx_eq_u32_e64 v15, v23
	s_cbranch_execz .LBB5_279
; %bb.274:                              ;   in Loop: Header=BB5_140 Depth=1
	s_mov_b32 s6, exec_lo
	s_mov_b32 s5, exec_lo
	v_mbcnt_lo_u32_b32 v14, s6, 0
                                        ; implicit-def: $vgpr15
	s_delay_alu instid0(VALU_DEP_1)
	v_cmpx_eq_u32_e32 0, v14
	s_cbranch_execz .LBB5_276
; %bb.275:                              ;   in Loop: Header=BB5_140 Depth=1
	s_bcnt1_i32_b32 s6, s6
	s_delay_alu instid0(SALU_CYCLE_1)
	v_mov_b32_e32 v15, s6
	ds_add_rtn_u32 v15, v25, v15 offset:512
.LBB5_276:                              ;   in Loop: Header=BB5_140 Depth=1
	s_or_b32 exec_lo, exec_lo, s5
	s_waitcnt lgkmcnt(0)
	v_readfirstlane_b32 s5, v15
	s_mov_b32 s6, exec_lo
	s_delay_alu instid0(VALU_DEP_1) | instskip(SKIP_1) | instid1(VALU_DEP_1)
	v_add_nc_u32_e32 v15, s5, v14
	s_mov_b32 s5, 0
                                        ; implicit-def: $vgpr14
	v_cmpx_lt_i32_e64 v15, v22
; %bb.277:                              ;   in Loop: Header=BB5_140 Depth=1
	v_xad_u32 v14, v15, -1, v9
	s_mov_b32 s5, exec_lo
; %bb.278:                              ;   in Loop: Header=BB5_140 Depth=1
	s_or_b32 exec_lo, exec_lo, s6
	s_delay_alu instid0(SALU_CYCLE_1)
	s_and_b32 s5, s5, exec_lo
.LBB5_279:                              ;   in Loop: Header=BB5_140 Depth=1
	s_or_b32 exec_lo, exec_lo, s4
	s_delay_alu instid0(SALU_CYCLE_1)
	s_and_b32 s4, s5, exec_lo
	s_and_not1_saveexec_b32 s3, s3
	s_cbranch_execz .LBB5_176
.LBB5_280:                              ;   in Loop: Header=BB5_140 Depth=1
	s_mov_b32 s6, exec_lo
	s_mov_b32 s5, exec_lo
	v_mbcnt_lo_u32_b32 v14, s6, 0
                                        ; implicit-def: $vgpr15
	s_delay_alu instid0(VALU_DEP_1)
	v_cmpx_eq_u32_e32 0, v14
	s_cbranch_execz .LBB5_282
; %bb.281:                              ;   in Loop: Header=BB5_140 Depth=1
	s_bcnt1_i32_b32 s6, s6
	s_delay_alu instid0(SALU_CYCLE_1)
	v_mov_b32_e32 v15, s6
	ds_add_rtn_u32 v15, v25, v15 offset:384
.LBB5_282:                              ;   in Loop: Header=BB5_140 Depth=1
	s_or_b32 exec_lo, exec_lo, s5
	s_waitcnt lgkmcnt(0)
	v_readfirstlane_b32 s5, v15
	s_or_b32 s4, s4, exec_lo
	s_delay_alu instid0(VALU_DEP_1)
	v_add_nc_u32_e32 v14, s5, v14
	s_or_b32 exec_lo, exec_lo, s3
	s_and_saveexec_b32 s3, s4
	s_cbranch_execnz .LBB5_177
	s_branch .LBB5_178
.LBB5_283:                              ;   in Loop: Header=BB5_140 Depth=1
	s_mov_b32 s5, 0
	s_mov_b32 s4, exec_lo
                                        ; implicit-def: $vgpr14
	v_cmpx_eq_u32_e64 v15, v23
	s_cbranch_execz .LBB5_289
; %bb.284:                              ;   in Loop: Header=BB5_140 Depth=1
	s_mov_b32 s6, exec_lo
	s_mov_b32 s5, exec_lo
	v_mbcnt_lo_u32_b32 v14, s6, 0
                                        ; implicit-def: $vgpr15
	s_delay_alu instid0(VALU_DEP_1)
	v_cmpx_eq_u32_e32 0, v14
	s_cbranch_execz .LBB5_286
; %bb.285:                              ;   in Loop: Header=BB5_140 Depth=1
	s_bcnt1_i32_b32 s6, s6
	s_delay_alu instid0(SALU_CYCLE_1)
	v_mov_b32_e32 v15, s6
	ds_add_rtn_u32 v15, v25, v15 offset:512
.LBB5_286:                              ;   in Loop: Header=BB5_140 Depth=1
	s_or_b32 exec_lo, exec_lo, s5
	s_waitcnt lgkmcnt(0)
	v_readfirstlane_b32 s5, v15
	s_mov_b32 s6, exec_lo
	s_delay_alu instid0(VALU_DEP_1) | instskip(SKIP_1) | instid1(VALU_DEP_1)
	v_add_nc_u32_e32 v15, s5, v14
	s_mov_b32 s5, 0
                                        ; implicit-def: $vgpr14
	v_cmpx_lt_i32_e64 v15, v22
; %bb.287:                              ;   in Loop: Header=BB5_140 Depth=1
	v_xad_u32 v14, v15, -1, v9
	s_mov_b32 s5, exec_lo
; %bb.288:                              ;   in Loop: Header=BB5_140 Depth=1
	s_or_b32 exec_lo, exec_lo, s6
	s_delay_alu instid0(SALU_CYCLE_1)
	s_and_b32 s5, s5, exec_lo
.LBB5_289:                              ;   in Loop: Header=BB5_140 Depth=1
	s_or_b32 exec_lo, exec_lo, s4
	s_delay_alu instid0(SALU_CYCLE_1)
	s_and_b32 s4, s5, exec_lo
	s_and_not1_saveexec_b32 s3, s3
	s_cbranch_execz .LBB5_180
.LBB5_290:                              ;   in Loop: Header=BB5_140 Depth=1
	s_mov_b32 s6, exec_lo
	s_mov_b32 s5, exec_lo
	v_mbcnt_lo_u32_b32 v14, s6, 0
                                        ; implicit-def: $vgpr15
	s_delay_alu instid0(VALU_DEP_1)
	v_cmpx_eq_u32_e32 0, v14
	s_cbranch_execz .LBB5_292
; %bb.291:                              ;   in Loop: Header=BB5_140 Depth=1
	s_bcnt1_i32_b32 s6, s6
	s_delay_alu instid0(SALU_CYCLE_1)
	v_mov_b32_e32 v15, s6
	ds_add_rtn_u32 v15, v25, v15 offset:384
.LBB5_292:                              ;   in Loop: Header=BB5_140 Depth=1
	s_or_b32 exec_lo, exec_lo, s5
	s_waitcnt lgkmcnt(0)
	v_readfirstlane_b32 s5, v15
	s_or_b32 s4, s4, exec_lo
	s_delay_alu instid0(VALU_DEP_1)
	v_add_nc_u32_e32 v14, s5, v14
	s_or_b32 exec_lo, exec_lo, s3
	s_and_saveexec_b32 s3, s4
	s_cbranch_execnz .LBB5_181
	s_branch .LBB5_182
.LBB5_293:                              ;   in Loop: Header=BB5_140 Depth=1
	s_mov_b32 s5, 0
	s_mov_b32 s4, exec_lo
                                        ; implicit-def: $vgpr14
	v_cmpx_eq_u32_e64 v15, v23
	s_cbranch_execz .LBB5_299
; %bb.294:                              ;   in Loop: Header=BB5_140 Depth=1
	s_mov_b32 s6, exec_lo
	s_mov_b32 s5, exec_lo
	v_mbcnt_lo_u32_b32 v14, s6, 0
                                        ; implicit-def: $vgpr15
	s_delay_alu instid0(VALU_DEP_1)
	v_cmpx_eq_u32_e32 0, v14
	s_cbranch_execz .LBB5_296
; %bb.295:                              ;   in Loop: Header=BB5_140 Depth=1
	s_bcnt1_i32_b32 s6, s6
	s_delay_alu instid0(SALU_CYCLE_1)
	v_mov_b32_e32 v15, s6
	ds_add_rtn_u32 v15, v25, v15 offset:512
.LBB5_296:                              ;   in Loop: Header=BB5_140 Depth=1
	s_or_b32 exec_lo, exec_lo, s5
	s_waitcnt lgkmcnt(0)
	v_readfirstlane_b32 s5, v15
	s_mov_b32 s6, exec_lo
	s_delay_alu instid0(VALU_DEP_1) | instskip(SKIP_1) | instid1(VALU_DEP_1)
	v_add_nc_u32_e32 v15, s5, v14
	s_mov_b32 s5, 0
                                        ; implicit-def: $vgpr14
	v_cmpx_lt_i32_e64 v15, v22
; %bb.297:                              ;   in Loop: Header=BB5_140 Depth=1
	v_xad_u32 v14, v15, -1, v9
	s_mov_b32 s5, exec_lo
; %bb.298:                              ;   in Loop: Header=BB5_140 Depth=1
	s_or_b32 exec_lo, exec_lo, s6
	s_delay_alu instid0(SALU_CYCLE_1)
	s_and_b32 s5, s5, exec_lo
.LBB5_299:                              ;   in Loop: Header=BB5_140 Depth=1
	s_or_b32 exec_lo, exec_lo, s4
	s_delay_alu instid0(SALU_CYCLE_1)
	s_and_b32 s4, s5, exec_lo
	s_and_not1_saveexec_b32 s3, s3
	s_cbranch_execz .LBB5_198
.LBB5_300:                              ;   in Loop: Header=BB5_140 Depth=1
	s_mov_b32 s6, exec_lo
	s_mov_b32 s5, exec_lo
	v_mbcnt_lo_u32_b32 v14, s6, 0
                                        ; implicit-def: $vgpr15
	s_delay_alu instid0(VALU_DEP_1)
	v_cmpx_eq_u32_e32 0, v14
	s_cbranch_execz .LBB5_302
; %bb.301:                              ;   in Loop: Header=BB5_140 Depth=1
	s_bcnt1_i32_b32 s6, s6
	s_delay_alu instid0(SALU_CYCLE_1)
	v_mov_b32_e32 v15, s6
	ds_add_rtn_u32 v15, v25, v15 offset:384
.LBB5_302:                              ;   in Loop: Header=BB5_140 Depth=1
	s_or_b32 exec_lo, exec_lo, s5
	s_waitcnt lgkmcnt(0)
	v_readfirstlane_b32 s5, v15
	s_or_b32 s4, s4, exec_lo
	s_delay_alu instid0(VALU_DEP_1)
	v_add_nc_u32_e32 v14, s5, v14
	s_or_b32 exec_lo, exec_lo, s3
	s_and_saveexec_b32 s3, s4
	s_cbranch_execnz .LBB5_199
	s_branch .LBB5_200
.LBB5_303:                              ;   in Loop: Header=BB5_140 Depth=1
	s_mov_b32 s5, 0
	s_mov_b32 s4, exec_lo
                                        ; implicit-def: $vgpr14
	v_cmpx_eq_u32_e64 v15, v23
	s_cbranch_execz .LBB5_309
; %bb.304:                              ;   in Loop: Header=BB5_140 Depth=1
	s_mov_b32 s6, exec_lo
	s_mov_b32 s5, exec_lo
	v_mbcnt_lo_u32_b32 v14, s6, 0
                                        ; implicit-def: $vgpr15
	s_delay_alu instid0(VALU_DEP_1)
	v_cmpx_eq_u32_e32 0, v14
	s_cbranch_execz .LBB5_306
; %bb.305:                              ;   in Loop: Header=BB5_140 Depth=1
	s_bcnt1_i32_b32 s6, s6
	s_delay_alu instid0(SALU_CYCLE_1)
	v_mov_b32_e32 v15, s6
	ds_add_rtn_u32 v15, v25, v15 offset:512
.LBB5_306:                              ;   in Loop: Header=BB5_140 Depth=1
	s_or_b32 exec_lo, exec_lo, s5
	s_waitcnt lgkmcnt(0)
	v_readfirstlane_b32 s5, v15
	s_mov_b32 s6, exec_lo
	s_delay_alu instid0(VALU_DEP_1) | instskip(SKIP_1) | instid1(VALU_DEP_1)
	v_add_nc_u32_e32 v15, s5, v14
	s_mov_b32 s5, 0
                                        ; implicit-def: $vgpr14
	v_cmpx_lt_i32_e64 v15, v22
; %bb.307:                              ;   in Loop: Header=BB5_140 Depth=1
	v_xad_u32 v14, v15, -1, v9
	s_mov_b32 s5, exec_lo
; %bb.308:                              ;   in Loop: Header=BB5_140 Depth=1
	s_or_b32 exec_lo, exec_lo, s6
	s_delay_alu instid0(SALU_CYCLE_1)
	s_and_b32 s5, s5, exec_lo
.LBB5_309:                              ;   in Loop: Header=BB5_140 Depth=1
	s_or_b32 exec_lo, exec_lo, s4
	s_delay_alu instid0(SALU_CYCLE_1)
	s_and_b32 s4, s5, exec_lo
	s_and_not1_saveexec_b32 s3, s3
	s_cbranch_execz .LBB5_202
.LBB5_310:                              ;   in Loop: Header=BB5_140 Depth=1
	s_mov_b32 s6, exec_lo
	s_mov_b32 s5, exec_lo
	v_mbcnt_lo_u32_b32 v14, s6, 0
                                        ; implicit-def: $vgpr15
	s_delay_alu instid0(VALU_DEP_1)
	v_cmpx_eq_u32_e32 0, v14
	s_cbranch_execz .LBB5_312
; %bb.311:                              ;   in Loop: Header=BB5_140 Depth=1
	s_bcnt1_i32_b32 s6, s6
	s_delay_alu instid0(SALU_CYCLE_1)
	v_mov_b32_e32 v15, s6
	ds_add_rtn_u32 v15, v25, v15 offset:384
.LBB5_312:                              ;   in Loop: Header=BB5_140 Depth=1
	s_or_b32 exec_lo, exec_lo, s5
	s_waitcnt lgkmcnt(0)
	v_readfirstlane_b32 s5, v15
	s_or_b32 s4, s4, exec_lo
	s_delay_alu instid0(VALU_DEP_1)
	v_add_nc_u32_e32 v14, s5, v14
	s_or_b32 exec_lo, exec_lo, s3
	s_and_saveexec_b32 s3, s4
	s_cbranch_execnz .LBB5_203
	s_branch .LBB5_204
.LBB5_313:                              ;   in Loop: Header=BB5_140 Depth=1
	s_mov_b32 s5, 0
	s_mov_b32 s4, exec_lo
                                        ; implicit-def: $vgpr14
	v_cmpx_eq_u32_e64 v15, v23
	s_cbranch_execz .LBB5_319
; %bb.314:                              ;   in Loop: Header=BB5_140 Depth=1
	s_mov_b32 s6, exec_lo
	s_mov_b32 s5, exec_lo
	v_mbcnt_lo_u32_b32 v14, s6, 0
                                        ; implicit-def: $vgpr15
	s_delay_alu instid0(VALU_DEP_1)
	v_cmpx_eq_u32_e32 0, v14
	s_cbranch_execz .LBB5_316
; %bb.315:                              ;   in Loop: Header=BB5_140 Depth=1
	s_bcnt1_i32_b32 s6, s6
	s_delay_alu instid0(SALU_CYCLE_1)
	v_mov_b32_e32 v15, s6
	ds_add_rtn_u32 v15, v25, v15 offset:512
.LBB5_316:                              ;   in Loop: Header=BB5_140 Depth=1
	s_or_b32 exec_lo, exec_lo, s5
	s_waitcnt lgkmcnt(0)
	v_readfirstlane_b32 s5, v15
	s_mov_b32 s6, exec_lo
	s_delay_alu instid0(VALU_DEP_1) | instskip(SKIP_1) | instid1(VALU_DEP_1)
	v_add_nc_u32_e32 v15, s5, v14
	s_mov_b32 s5, 0
                                        ; implicit-def: $vgpr14
	v_cmpx_lt_i32_e64 v15, v22
; %bb.317:                              ;   in Loop: Header=BB5_140 Depth=1
	v_xad_u32 v14, v15, -1, v9
	s_mov_b32 s5, exec_lo
; %bb.318:                              ;   in Loop: Header=BB5_140 Depth=1
	s_or_b32 exec_lo, exec_lo, s6
	s_delay_alu instid0(SALU_CYCLE_1)
	s_and_b32 s5, s5, exec_lo
.LBB5_319:                              ;   in Loop: Header=BB5_140 Depth=1
	s_or_b32 exec_lo, exec_lo, s4
	s_delay_alu instid0(SALU_CYCLE_1)
	s_and_b32 s4, s5, exec_lo
	s_and_not1_saveexec_b32 s3, s3
	s_cbranch_execz .LBB5_206
.LBB5_320:                              ;   in Loop: Header=BB5_140 Depth=1
	s_mov_b32 s6, exec_lo
	s_mov_b32 s5, exec_lo
	v_mbcnt_lo_u32_b32 v14, s6, 0
                                        ; implicit-def: $vgpr15
	s_delay_alu instid0(VALU_DEP_1)
	v_cmpx_eq_u32_e32 0, v14
	s_cbranch_execz .LBB5_322
; %bb.321:                              ;   in Loop: Header=BB5_140 Depth=1
	s_bcnt1_i32_b32 s6, s6
	s_delay_alu instid0(SALU_CYCLE_1)
	v_mov_b32_e32 v15, s6
	ds_add_rtn_u32 v15, v25, v15 offset:384
.LBB5_322:                              ;   in Loop: Header=BB5_140 Depth=1
	s_or_b32 exec_lo, exec_lo, s5
	s_waitcnt lgkmcnt(0)
	v_readfirstlane_b32 s5, v15
	s_or_b32 s4, s4, exec_lo
	s_delay_alu instid0(VALU_DEP_1)
	v_add_nc_u32_e32 v14, s5, v14
	s_or_b32 exec_lo, exec_lo, s3
	s_and_saveexec_b32 s3, s4
	s_cbranch_execnz .LBB5_207
	s_branch .LBB5_208
.LBB5_323:                              ;   in Loop: Header=BB5_140 Depth=1
	s_mov_b32 s5, 0
	s_mov_b32 s4, exec_lo
                                        ; implicit-def: $vgpr14
	v_cmpx_eq_u32_e64 v15, v23
	s_cbranch_execz .LBB5_329
; %bb.324:                              ;   in Loop: Header=BB5_140 Depth=1
	s_mov_b32 s6, exec_lo
	s_mov_b32 s5, exec_lo
	v_mbcnt_lo_u32_b32 v14, s6, 0
                                        ; implicit-def: $vgpr15
	s_delay_alu instid0(VALU_DEP_1)
	v_cmpx_eq_u32_e32 0, v14
	s_cbranch_execz .LBB5_326
; %bb.325:                              ;   in Loop: Header=BB5_140 Depth=1
	s_bcnt1_i32_b32 s6, s6
	s_delay_alu instid0(SALU_CYCLE_1)
	v_mov_b32_e32 v15, s6
	ds_add_rtn_u32 v15, v25, v15 offset:512
.LBB5_326:                              ;   in Loop: Header=BB5_140 Depth=1
	s_or_b32 exec_lo, exec_lo, s5
	s_waitcnt lgkmcnt(0)
	v_readfirstlane_b32 s5, v15
	s_mov_b32 s6, exec_lo
	s_delay_alu instid0(VALU_DEP_1) | instskip(SKIP_1) | instid1(VALU_DEP_1)
	v_add_nc_u32_e32 v15, s5, v14
	s_mov_b32 s5, 0
                                        ; implicit-def: $vgpr14
	v_cmpx_lt_i32_e64 v15, v22
	s_xor_b32 s6, exec_lo, s6
; %bb.327:                              ;   in Loop: Header=BB5_140 Depth=1
	v_xad_u32 v14, v15, -1, v9
	s_mov_b32 s5, exec_lo
; %bb.328:                              ;   in Loop: Header=BB5_140 Depth=1
	s_or_b32 exec_lo, exec_lo, s6
	s_delay_alu instid0(SALU_CYCLE_1)
	s_and_b32 s5, s5, exec_lo
.LBB5_329:                              ;   in Loop: Header=BB5_140 Depth=1
	s_or_b32 exec_lo, exec_lo, s4
	s_delay_alu instid0(SALU_CYCLE_1)
	s_and_b32 s4, s5, exec_lo
	s_and_not1_saveexec_b32 s3, s3
	s_cbranch_execz .LBB5_210
.LBB5_330:                              ;   in Loop: Header=BB5_140 Depth=1
	s_mov_b32 s6, exec_lo
	s_mov_b32 s5, exec_lo
	v_mbcnt_lo_u32_b32 v14, s6, 0
                                        ; implicit-def: $vgpr15
	s_delay_alu instid0(VALU_DEP_1)
	v_cmpx_eq_u32_e32 0, v14
	s_cbranch_execz .LBB5_332
; %bb.331:                              ;   in Loop: Header=BB5_140 Depth=1
	s_bcnt1_i32_b32 s6, s6
	s_delay_alu instid0(SALU_CYCLE_1)
	v_mov_b32_e32 v15, s6
	ds_add_rtn_u32 v15, v25, v15 offset:384
.LBB5_332:                              ;   in Loop: Header=BB5_140 Depth=1
	s_or_b32 exec_lo, exec_lo, s5
	s_waitcnt lgkmcnt(0)
	v_readfirstlane_b32 s5, v15
	s_or_b32 s4, s4, exec_lo
	s_delay_alu instid0(VALU_DEP_1)
	v_add_nc_u32_e32 v14, s5, v14
	s_or_b32 exec_lo, exec_lo, s3
	v_lshl_add_u32 v16, v30, 2, v2
	s_and_saveexec_b32 s3, s4
	s_cbranch_execnz .LBB5_211
	s_branch .LBB5_212
.LBB5_333:                              ;   in Loop: Header=BB5_140 Depth=1
	s_mov_b32 s5, 0
	s_mov_b32 s4, exec_lo
                                        ; implicit-def: $vgpr14
	v_cmpx_eq_u32_e64 v10, v23
	s_cbranch_execz .LBB5_339
; %bb.334:                              ;   in Loop: Header=BB5_140 Depth=1
	s_mov_b32 s6, exec_lo
	s_mov_b32 s5, exec_lo
	v_mbcnt_lo_u32_b32 v10, s6, 0
                                        ; implicit-def: $vgpr14
	s_delay_alu instid0(VALU_DEP_1)
	v_cmpx_eq_u32_e32 0, v10
	s_cbranch_execz .LBB5_336
; %bb.335:                              ;   in Loop: Header=BB5_140 Depth=1
	s_bcnt1_i32_b32 s6, s6
	s_delay_alu instid0(SALU_CYCLE_1)
	v_mov_b32_e32 v14, s6
	ds_add_rtn_u32 v14, v25, v14 offset:512
.LBB5_336:                              ;   in Loop: Header=BB5_140 Depth=1
	s_or_b32 exec_lo, exec_lo, s5
	s_waitcnt lgkmcnt(0)
	v_readfirstlane_b32 s5, v14
	s_mov_b32 s6, exec_lo
                                        ; implicit-def: $vgpr14
	s_delay_alu instid0(VALU_DEP_1) | instskip(SKIP_1) | instid1(VALU_DEP_1)
	v_add_nc_u32_e32 v10, s5, v10
	s_mov_b32 s5, 0
	v_cmpx_lt_i32_e64 v10, v22
; %bb.337:                              ;   in Loop: Header=BB5_140 Depth=1
	v_xad_u32 v14, v10, -1, v9
	s_mov_b32 s5, exec_lo
; %bb.338:                              ;   in Loop: Header=BB5_140 Depth=1
	s_or_b32 exec_lo, exec_lo, s6
	s_delay_alu instid0(SALU_CYCLE_1)
	s_and_b32 s5, s5, exec_lo
.LBB5_339:                              ;   in Loop: Header=BB5_140 Depth=1
	s_or_b32 exec_lo, exec_lo, s4
	s_delay_alu instid0(SALU_CYCLE_1)
	s_and_b32 s4, s5, exec_lo
	s_and_not1_saveexec_b32 s3, s3
	s_cbranch_execz .LBB5_214
.LBB5_340:                              ;   in Loop: Header=BB5_140 Depth=1
	s_mov_b32 s6, exec_lo
	s_mov_b32 s5, exec_lo
	v_mbcnt_lo_u32_b32 v10, s6, 0
                                        ; implicit-def: $vgpr14
	s_delay_alu instid0(VALU_DEP_1)
	v_cmpx_eq_u32_e32 0, v10
	s_cbranch_execz .LBB5_342
; %bb.341:                              ;   in Loop: Header=BB5_140 Depth=1
	s_bcnt1_i32_b32 s6, s6
	s_delay_alu instid0(SALU_CYCLE_1)
	v_mov_b32_e32 v14, s6
	ds_add_rtn_u32 v14, v25, v14 offset:384
.LBB5_342:                              ;   in Loop: Header=BB5_140 Depth=1
	s_or_b32 exec_lo, exec_lo, s5
	s_waitcnt lgkmcnt(0)
	v_readfirstlane_b32 s5, v14
	s_or_b32 s4, s4, exec_lo
	s_delay_alu instid0(VALU_DEP_1)
	v_add_nc_u32_e32 v14, s5, v10
	s_or_b32 exec_lo, exec_lo, s3
	s_and_saveexec_b32 s3, s4
	s_cbranch_execnz .LBB5_215
	s_branch .LBB5_216
.LBB5_343:                              ;   in Loop: Header=BB5_140 Depth=1
	s_mov_b32 s5, 0
	s_mov_b32 s4, exec_lo
                                        ; implicit-def: $vgpr10
	v_cmpx_eq_u32_e64 v11, v23
	s_cbranch_execz .LBB5_349
; %bb.344:                              ;   in Loop: Header=BB5_140 Depth=1
	s_mov_b32 s6, exec_lo
	s_mov_b32 s5, exec_lo
	v_mbcnt_lo_u32_b32 v10, s6, 0
                                        ; implicit-def: $vgpr11
	s_delay_alu instid0(VALU_DEP_1)
	v_cmpx_eq_u32_e32 0, v10
	s_cbranch_execz .LBB5_346
; %bb.345:                              ;   in Loop: Header=BB5_140 Depth=1
	s_bcnt1_i32_b32 s6, s6
	s_delay_alu instid0(SALU_CYCLE_1)
	v_mov_b32_e32 v11, s6
	ds_add_rtn_u32 v11, v25, v11 offset:512
.LBB5_346:                              ;   in Loop: Header=BB5_140 Depth=1
	s_or_b32 exec_lo, exec_lo, s5
	s_waitcnt lgkmcnt(0)
	v_readfirstlane_b32 s5, v11
	s_mov_b32 s6, exec_lo
	s_delay_alu instid0(VALU_DEP_1) | instskip(SKIP_1) | instid1(VALU_DEP_1)
	v_add_nc_u32_e32 v11, s5, v10
	s_mov_b32 s5, 0
                                        ; implicit-def: $vgpr10
	v_cmpx_lt_i32_e64 v11, v22
; %bb.347:                              ;   in Loop: Header=BB5_140 Depth=1
	v_xad_u32 v10, v11, -1, v9
	s_mov_b32 s5, exec_lo
; %bb.348:                              ;   in Loop: Header=BB5_140 Depth=1
	s_or_b32 exec_lo, exec_lo, s6
	s_delay_alu instid0(SALU_CYCLE_1)
	s_and_b32 s5, s5, exec_lo
.LBB5_349:                              ;   in Loop: Header=BB5_140 Depth=1
	s_or_b32 exec_lo, exec_lo, s4
	s_delay_alu instid0(SALU_CYCLE_1)
	s_and_b32 s4, s5, exec_lo
	s_and_not1_saveexec_b32 s3, s3
	s_cbranch_execz .LBB5_218
.LBB5_350:                              ;   in Loop: Header=BB5_140 Depth=1
	s_mov_b32 s6, exec_lo
	s_mov_b32 s5, exec_lo
	v_mbcnt_lo_u32_b32 v10, s6, 0
                                        ; implicit-def: $vgpr11
	s_delay_alu instid0(VALU_DEP_1)
	v_cmpx_eq_u32_e32 0, v10
	s_cbranch_execz .LBB5_352
; %bb.351:                              ;   in Loop: Header=BB5_140 Depth=1
	s_bcnt1_i32_b32 s6, s6
	s_delay_alu instid0(SALU_CYCLE_1)
	v_mov_b32_e32 v11, s6
	ds_add_rtn_u32 v11, v25, v11 offset:384
.LBB5_352:                              ;   in Loop: Header=BB5_140 Depth=1
	s_or_b32 exec_lo, exec_lo, s5
	s_waitcnt lgkmcnt(0)
	v_readfirstlane_b32 s5, v11
	s_or_b32 s4, s4, exec_lo
	s_delay_alu instid0(VALU_DEP_1)
	v_add_nc_u32_e32 v10, s5, v10
	s_or_b32 exec_lo, exec_lo, s3
	s_and_saveexec_b32 s3, s4
	s_cbranch_execnz .LBB5_219
	s_branch .LBB5_220
.LBB5_353:                              ;   in Loop: Header=BB5_140 Depth=1
	s_mov_b32 s5, 0
	s_mov_b32 s4, exec_lo
                                        ; implicit-def: $vgpr10
	v_cmpx_eq_u32_e64 v11, v23
	s_cbranch_execz .LBB5_359
; %bb.354:                              ;   in Loop: Header=BB5_140 Depth=1
	s_mov_b32 s6, exec_lo
	s_mov_b32 s5, exec_lo
	v_mbcnt_lo_u32_b32 v10, s6, 0
                                        ; implicit-def: $vgpr11
	s_delay_alu instid0(VALU_DEP_1)
	v_cmpx_eq_u32_e32 0, v10
	s_cbranch_execz .LBB5_356
; %bb.355:                              ;   in Loop: Header=BB5_140 Depth=1
	s_bcnt1_i32_b32 s6, s6
	s_delay_alu instid0(SALU_CYCLE_1)
	v_mov_b32_e32 v11, s6
	ds_add_rtn_u32 v11, v25, v11 offset:512
.LBB5_356:                              ;   in Loop: Header=BB5_140 Depth=1
	s_or_b32 exec_lo, exec_lo, s5
	s_waitcnt lgkmcnt(0)
	v_readfirstlane_b32 s5, v11
	s_mov_b32 s6, exec_lo
	s_delay_alu instid0(VALU_DEP_1) | instskip(SKIP_1) | instid1(VALU_DEP_1)
	v_add_nc_u32_e32 v11, s5, v10
	s_mov_b32 s5, 0
                                        ; implicit-def: $vgpr10
	v_cmpx_lt_i32_e64 v11, v22
; %bb.357:                              ;   in Loop: Header=BB5_140 Depth=1
	v_xad_u32 v10, v11, -1, v9
	s_mov_b32 s5, exec_lo
; %bb.358:                              ;   in Loop: Header=BB5_140 Depth=1
	s_or_b32 exec_lo, exec_lo, s6
	s_delay_alu instid0(SALU_CYCLE_1)
	s_and_b32 s5, s5, exec_lo
.LBB5_359:                              ;   in Loop: Header=BB5_140 Depth=1
	s_or_b32 exec_lo, exec_lo, s4
	s_delay_alu instid0(SALU_CYCLE_1)
	s_and_b32 s4, s5, exec_lo
	s_and_not1_saveexec_b32 s3, s3
	s_cbranch_execz .LBB5_222
.LBB5_360:                              ;   in Loop: Header=BB5_140 Depth=1
	s_mov_b32 s6, exec_lo
	s_mov_b32 s5, exec_lo
	v_mbcnt_lo_u32_b32 v10, s6, 0
                                        ; implicit-def: $vgpr11
	s_delay_alu instid0(VALU_DEP_1)
	v_cmpx_eq_u32_e32 0, v10
	s_cbranch_execz .LBB5_362
; %bb.361:                              ;   in Loop: Header=BB5_140 Depth=1
	s_bcnt1_i32_b32 s6, s6
	s_delay_alu instid0(SALU_CYCLE_1)
	v_mov_b32_e32 v11, s6
	ds_add_rtn_u32 v11, v25, v11 offset:384
.LBB5_362:                              ;   in Loop: Header=BB5_140 Depth=1
	s_or_b32 exec_lo, exec_lo, s5
	s_waitcnt lgkmcnt(0)
	v_readfirstlane_b32 s5, v11
	s_or_b32 s4, s4, exec_lo
	s_delay_alu instid0(VALU_DEP_1)
	v_add_nc_u32_e32 v10, s5, v10
	s_or_b32 exec_lo, exec_lo, s3
	s_and_saveexec_b32 s3, s4
	s_cbranch_execz .LBB5_139
.LBB5_363:                              ;   in Loop: Header=BB5_140 Depth=1
	s_delay_alu instid0(VALU_DEP_1) | instskip(SKIP_1) | instid1(VALU_DEP_2)
	v_ashrrev_i32_e32 v11, 31, v10
	v_add_nc_u32_e32 v12, 3, v16
	v_lshlrev_b64 v[10:11], 2, v[10:11]
	s_delay_alu instid0(VALU_DEP_1) | instskip(NEXT) | instid1(VALU_DEP_2)
	v_add_co_u32 v14, vcc_lo, v4, v10
	v_add_co_ci_u32_e32 v15, vcc_lo, v5, v11, vcc_lo
	v_add_co_u32 v10, vcc_lo, v6, v10
	v_add_co_ci_u32_e32 v11, vcc_lo, v7, v11, vcc_lo
	flat_store_b32 v[14:15], v13
	flat_store_b32 v[10:11], v12
	s_branch .LBB5_139
.LBB5_364:
	s_or_b32 exec_lo, exec_lo, s2
.LBB5_365:
	s_delay_alu instid0(SALU_CYCLE_1) | instskip(NEXT) | instid1(SALU_CYCLE_1)
	s_or_b32 exec_lo, exec_lo, s1
	s_mov_b32 s1, exec_lo
	v_cmpx_lt_i32_e64 v28, v26
	s_cbranch_execz .LBB5_424
; %bb.366:
	v_lshl_add_u32 v16, v28, 2, v2
	v_mov_b32_e32 v17, 0
	s_mov_b32 s2, 0
	s_branch .LBB5_368
.LBB5_367:                              ;   in Loop: Header=BB5_368 Depth=1
	s_or_b32 exec_lo, exec_lo, s3
	v_add_nc_u32_e32 v28, v28, v34
	v_add_nc_u32_e32 v16, v16, v36
	s_delay_alu instid0(VALU_DEP_2) | instskip(SKIP_1) | instid1(SALU_CYCLE_1)
	v_cmp_ge_i32_e32 vcc_lo, v28, v26
	s_or_b32 s2, vcc_lo, s2
	s_and_not1_b32 exec_lo, exec_lo, s2
	s_cbranch_execz .LBB5_424
.LBB5_368:                              ; =>This Inner Loop Header: Depth=1
	v_ashrrev_i32_e32 v29, 31, v28
	s_mov_b32 s4, 0
	s_mov_b32 s3, exec_lo
	s_delay_alu instid0(VALU_DEP_1) | instskip(NEXT) | instid1(VALU_DEP_1)
	v_lshlrev_b64 v[10:11], 4, v[28:29]
	v_add_co_u32 v10, vcc_lo, v3, v10
	s_delay_alu instid0(VALU_DEP_2) | instskip(SKIP_4) | instid1(VALU_DEP_1)
	v_add_co_ci_u32_e32 v11, vcc_lo, v35, v11, vcc_lo
	flat_load_b128 v[10:13], v[10:11]
	s_waitcnt vmcnt(0) lgkmcnt(0)
	v_cmp_gt_i32_e32 vcc_lo, 0, v10
	v_cndmask_b32_e64 v14, 0x7fffffff, 0, vcc_lo
	v_xor_b32_e32 v14, v14, v10
	s_delay_alu instid0(VALU_DEP_1) | instskip(NEXT) | instid1(VALU_DEP_1)
	v_and_b32_e32 v15, v14, v33
                                        ; implicit-def: $vgpr14
	v_cmpx_ge_u32_e64 v15, v23
	s_xor_b32 s3, exec_lo, s3
	s_cbranch_execnz .LBB5_383
; %bb.369:                              ;   in Loop: Header=BB5_368 Depth=1
	s_and_not1_saveexec_b32 s3, s3
	s_cbranch_execnz .LBB5_390
.LBB5_370:                              ;   in Loop: Header=BB5_368 Depth=1
	s_or_b32 exec_lo, exec_lo, s3
	s_and_saveexec_b32 s3, s4
	s_cbranch_execz .LBB5_372
.LBB5_371:                              ;   in Loop: Header=BB5_368 Depth=1
	v_ashrrev_i32_e32 v15, 31, v14
	s_delay_alu instid0(VALU_DEP_1) | instskip(NEXT) | instid1(VALU_DEP_1)
	v_lshlrev_b64 v[14:15], 2, v[14:15]
	v_add_co_u32 v18, vcc_lo, v4, v14
	s_delay_alu instid0(VALU_DEP_2)
	v_add_co_ci_u32_e32 v19, vcc_lo, v5, v15, vcc_lo
	v_add_co_u32 v14, vcc_lo, v6, v14
	v_add_co_ci_u32_e32 v15, vcc_lo, v7, v15, vcc_lo
	flat_store_b32 v[18:19], v10
	flat_store_b32 v[14:15], v16
.LBB5_372:                              ;   in Loop: Header=BB5_368 Depth=1
	s_or_b32 exec_lo, exec_lo, s3
	v_cmp_gt_i32_e32 vcc_lo, 0, v11
	s_mov_b32 s4, 0
	s_mov_b32 s3, exec_lo
                                        ; implicit-def: $vgpr14
	v_cndmask_b32_e64 v10, 0x7fffffff, 0, vcc_lo
	s_delay_alu instid0(VALU_DEP_1) | instskip(NEXT) | instid1(VALU_DEP_1)
	v_xor_b32_e32 v10, v10, v11
	v_and_b32_e32 v10, v10, v33
	s_delay_alu instid0(VALU_DEP_1)
	v_cmpx_ge_u32_e64 v10, v23
	s_xor_b32 s3, exec_lo, s3
	s_cbranch_execnz .LBB5_393
; %bb.373:                              ;   in Loop: Header=BB5_368 Depth=1
	s_and_not1_saveexec_b32 s3, s3
	s_cbranch_execnz .LBB5_400
.LBB5_374:                              ;   in Loop: Header=BB5_368 Depth=1
	s_or_b32 exec_lo, exec_lo, s3
	s_and_saveexec_b32 s3, s4
	s_cbranch_execz .LBB5_376
.LBB5_375:                              ;   in Loop: Header=BB5_368 Depth=1
	v_ashrrev_i32_e32 v15, 31, v14
	v_add_nc_u32_e32 v10, 1, v16
	s_delay_alu instid0(VALU_DEP_2) | instskip(NEXT) | instid1(VALU_DEP_1)
	v_lshlrev_b64 v[14:15], 2, v[14:15]
	v_add_co_u32 v18, vcc_lo, v4, v14
	s_delay_alu instid0(VALU_DEP_2)
	v_add_co_ci_u32_e32 v19, vcc_lo, v5, v15, vcc_lo
	v_add_co_u32 v14, vcc_lo, v6, v14
	v_add_co_ci_u32_e32 v15, vcc_lo, v7, v15, vcc_lo
	flat_store_b32 v[18:19], v11
	flat_store_b32 v[14:15], v10
.LBB5_376:                              ;   in Loop: Header=BB5_368 Depth=1
	s_or_b32 exec_lo, exec_lo, s3
	v_cmp_gt_i32_e32 vcc_lo, 0, v12
	s_mov_b32 s4, 0
	s_mov_b32 s3, exec_lo
	v_cndmask_b32_e64 v10, 0x7fffffff, 0, vcc_lo
	s_delay_alu instid0(VALU_DEP_1) | instskip(NEXT) | instid1(VALU_DEP_1)
	v_xor_b32_e32 v10, v10, v12
	v_and_b32_e32 v11, v10, v33
                                        ; implicit-def: $vgpr10
	s_delay_alu instid0(VALU_DEP_1)
	v_cmpx_ge_u32_e64 v11, v23
	s_xor_b32 s3, exec_lo, s3
	s_cbranch_execnz .LBB5_403
; %bb.377:                              ;   in Loop: Header=BB5_368 Depth=1
	s_and_not1_saveexec_b32 s3, s3
	s_cbranch_execnz .LBB5_410
.LBB5_378:                              ;   in Loop: Header=BB5_368 Depth=1
	s_or_b32 exec_lo, exec_lo, s3
	s_and_saveexec_b32 s3, s4
	s_cbranch_execz .LBB5_380
.LBB5_379:                              ;   in Loop: Header=BB5_368 Depth=1
	v_ashrrev_i32_e32 v11, 31, v10
	v_add_nc_u32_e32 v18, 2, v16
	s_delay_alu instid0(VALU_DEP_2) | instskip(NEXT) | instid1(VALU_DEP_1)
	v_lshlrev_b64 v[10:11], 2, v[10:11]
	v_add_co_u32 v14, vcc_lo, v4, v10
	s_delay_alu instid0(VALU_DEP_2)
	v_add_co_ci_u32_e32 v15, vcc_lo, v5, v11, vcc_lo
	v_add_co_u32 v10, vcc_lo, v6, v10
	v_add_co_ci_u32_e32 v11, vcc_lo, v7, v11, vcc_lo
	flat_store_b32 v[14:15], v12
	flat_store_b32 v[10:11], v18
.LBB5_380:                              ;   in Loop: Header=BB5_368 Depth=1
	s_or_b32 exec_lo, exec_lo, s3
	v_cmp_gt_i32_e32 vcc_lo, 0, v13
	s_mov_b32 s4, 0
	s_mov_b32 s3, exec_lo
	v_cndmask_b32_e64 v10, 0x7fffffff, 0, vcc_lo
	s_delay_alu instid0(VALU_DEP_1) | instskip(NEXT) | instid1(VALU_DEP_1)
	v_xor_b32_e32 v10, v10, v13
	v_and_b32_e32 v11, v10, v33
                                        ; implicit-def: $vgpr10
	s_delay_alu instid0(VALU_DEP_1)
	v_cmpx_ge_u32_e64 v11, v23
	s_xor_b32 s3, exec_lo, s3
	s_cbranch_execnz .LBB5_413
; %bb.381:                              ;   in Loop: Header=BB5_368 Depth=1
	s_and_not1_saveexec_b32 s3, s3
	s_cbranch_execnz .LBB5_420
.LBB5_382:                              ;   in Loop: Header=BB5_368 Depth=1
	s_or_b32 exec_lo, exec_lo, s3
	s_and_saveexec_b32 s3, s4
	s_cbranch_execz .LBB5_367
	s_branch .LBB5_423
.LBB5_383:                              ;   in Loop: Header=BB5_368 Depth=1
	s_mov_b32 s5, 0
	s_mov_b32 s4, exec_lo
                                        ; implicit-def: $vgpr14
	v_cmpx_eq_u32_e64 v15, v23
	s_cbranch_execz .LBB5_389
; %bb.384:                              ;   in Loop: Header=BB5_368 Depth=1
	s_mov_b32 s6, exec_lo
	s_mov_b32 s5, exec_lo
	v_mbcnt_lo_u32_b32 v14, s6, 0
                                        ; implicit-def: $vgpr15
	s_delay_alu instid0(VALU_DEP_1)
	v_cmpx_eq_u32_e32 0, v14
	s_cbranch_execz .LBB5_386
; %bb.385:                              ;   in Loop: Header=BB5_368 Depth=1
	s_bcnt1_i32_b32 s6, s6
	s_delay_alu instid0(SALU_CYCLE_1)
	v_mov_b32_e32 v15, s6
	ds_add_rtn_u32 v15, v17, v15 offset:512
.LBB5_386:                              ;   in Loop: Header=BB5_368 Depth=1
	s_or_b32 exec_lo, exec_lo, s5
	s_waitcnt lgkmcnt(0)
	v_readfirstlane_b32 s5, v15
	s_mov_b32 s6, exec_lo
	s_delay_alu instid0(VALU_DEP_1) | instskip(SKIP_1) | instid1(VALU_DEP_1)
	v_add_nc_u32_e32 v15, s5, v14
	s_mov_b32 s5, 0
                                        ; implicit-def: $vgpr14
	v_cmpx_lt_i32_e64 v15, v22
	s_xor_b32 s6, exec_lo, s6
; %bb.387:                              ;   in Loop: Header=BB5_368 Depth=1
	v_xad_u32 v14, v15, -1, v9
	s_mov_b32 s5, exec_lo
; %bb.388:                              ;   in Loop: Header=BB5_368 Depth=1
	s_or_b32 exec_lo, exec_lo, s6
	s_delay_alu instid0(SALU_CYCLE_1)
	s_and_b32 s5, s5, exec_lo
.LBB5_389:                              ;   in Loop: Header=BB5_368 Depth=1
	s_or_b32 exec_lo, exec_lo, s4
	s_delay_alu instid0(SALU_CYCLE_1)
	s_and_b32 s4, s5, exec_lo
	s_and_not1_saveexec_b32 s3, s3
	s_cbranch_execz .LBB5_370
.LBB5_390:                              ;   in Loop: Header=BB5_368 Depth=1
	s_mov_b32 s6, exec_lo
	s_mov_b32 s5, exec_lo
	v_mbcnt_lo_u32_b32 v14, s6, 0
                                        ; implicit-def: $vgpr15
	s_delay_alu instid0(VALU_DEP_1)
	v_cmpx_eq_u32_e32 0, v14
	s_cbranch_execz .LBB5_392
; %bb.391:                              ;   in Loop: Header=BB5_368 Depth=1
	s_bcnt1_i32_b32 s6, s6
	s_delay_alu instid0(SALU_CYCLE_1)
	v_mov_b32_e32 v15, s6
	ds_add_rtn_u32 v15, v17, v15 offset:384
.LBB5_392:                              ;   in Loop: Header=BB5_368 Depth=1
	s_or_b32 exec_lo, exec_lo, s5
	s_waitcnt lgkmcnt(0)
	v_readfirstlane_b32 s5, v15
	s_or_b32 s4, s4, exec_lo
	s_delay_alu instid0(VALU_DEP_1)
	v_add_nc_u32_e32 v14, s5, v14
	s_or_b32 exec_lo, exec_lo, s3
	s_and_saveexec_b32 s3, s4
	s_cbranch_execnz .LBB5_371
	s_branch .LBB5_372
.LBB5_393:                              ;   in Loop: Header=BB5_368 Depth=1
	s_mov_b32 s5, 0
	s_mov_b32 s4, exec_lo
                                        ; implicit-def: $vgpr14
	v_cmpx_eq_u32_e64 v10, v23
	s_cbranch_execz .LBB5_399
; %bb.394:                              ;   in Loop: Header=BB5_368 Depth=1
	s_mov_b32 s6, exec_lo
	s_mov_b32 s5, exec_lo
	v_mbcnt_lo_u32_b32 v10, s6, 0
                                        ; implicit-def: $vgpr14
	s_delay_alu instid0(VALU_DEP_1)
	v_cmpx_eq_u32_e32 0, v10
	s_cbranch_execz .LBB5_396
; %bb.395:                              ;   in Loop: Header=BB5_368 Depth=1
	s_bcnt1_i32_b32 s6, s6
	s_delay_alu instid0(SALU_CYCLE_1)
	v_mov_b32_e32 v14, s6
	ds_add_rtn_u32 v14, v17, v14 offset:512
.LBB5_396:                              ;   in Loop: Header=BB5_368 Depth=1
	s_or_b32 exec_lo, exec_lo, s5
	s_waitcnt lgkmcnt(0)
	v_readfirstlane_b32 s5, v14
	s_mov_b32 s6, exec_lo
                                        ; implicit-def: $vgpr14
	s_delay_alu instid0(VALU_DEP_1) | instskip(SKIP_1) | instid1(VALU_DEP_1)
	v_add_nc_u32_e32 v10, s5, v10
	s_mov_b32 s5, 0
	v_cmpx_lt_i32_e64 v10, v22
; %bb.397:                              ;   in Loop: Header=BB5_368 Depth=1
	v_xad_u32 v14, v10, -1, v9
	s_mov_b32 s5, exec_lo
; %bb.398:                              ;   in Loop: Header=BB5_368 Depth=1
	s_or_b32 exec_lo, exec_lo, s6
	s_delay_alu instid0(SALU_CYCLE_1)
	s_and_b32 s5, s5, exec_lo
.LBB5_399:                              ;   in Loop: Header=BB5_368 Depth=1
	s_or_b32 exec_lo, exec_lo, s4
	s_delay_alu instid0(SALU_CYCLE_1)
	s_and_b32 s4, s5, exec_lo
	s_and_not1_saveexec_b32 s3, s3
	s_cbranch_execz .LBB5_374
.LBB5_400:                              ;   in Loop: Header=BB5_368 Depth=1
	s_mov_b32 s6, exec_lo
	s_mov_b32 s5, exec_lo
	v_mbcnt_lo_u32_b32 v10, s6, 0
                                        ; implicit-def: $vgpr14
	s_delay_alu instid0(VALU_DEP_1)
	v_cmpx_eq_u32_e32 0, v10
	s_cbranch_execz .LBB5_402
; %bb.401:                              ;   in Loop: Header=BB5_368 Depth=1
	s_bcnt1_i32_b32 s6, s6
	s_delay_alu instid0(SALU_CYCLE_1)
	v_mov_b32_e32 v14, s6
	ds_add_rtn_u32 v14, v17, v14 offset:384
.LBB5_402:                              ;   in Loop: Header=BB5_368 Depth=1
	s_or_b32 exec_lo, exec_lo, s5
	s_waitcnt lgkmcnt(0)
	v_readfirstlane_b32 s5, v14
	s_or_b32 s4, s4, exec_lo
	s_delay_alu instid0(VALU_DEP_1)
	v_add_nc_u32_e32 v14, s5, v10
	s_or_b32 exec_lo, exec_lo, s3
	s_and_saveexec_b32 s3, s4
	s_cbranch_execnz .LBB5_375
	s_branch .LBB5_376
.LBB5_403:                              ;   in Loop: Header=BB5_368 Depth=1
	s_mov_b32 s5, 0
	s_mov_b32 s4, exec_lo
                                        ; implicit-def: $vgpr10
	v_cmpx_eq_u32_e64 v11, v23
	s_cbranch_execz .LBB5_409
; %bb.404:                              ;   in Loop: Header=BB5_368 Depth=1
	s_mov_b32 s6, exec_lo
	s_mov_b32 s5, exec_lo
	v_mbcnt_lo_u32_b32 v10, s6, 0
                                        ; implicit-def: $vgpr11
	s_delay_alu instid0(VALU_DEP_1)
	v_cmpx_eq_u32_e32 0, v10
	s_cbranch_execz .LBB5_406
; %bb.405:                              ;   in Loop: Header=BB5_368 Depth=1
	s_bcnt1_i32_b32 s6, s6
	s_delay_alu instid0(SALU_CYCLE_1)
	v_mov_b32_e32 v11, s6
	ds_add_rtn_u32 v11, v17, v11 offset:512
.LBB5_406:                              ;   in Loop: Header=BB5_368 Depth=1
	s_or_b32 exec_lo, exec_lo, s5
	s_waitcnt lgkmcnt(0)
	v_readfirstlane_b32 s5, v11
	s_mov_b32 s6, exec_lo
	s_delay_alu instid0(VALU_DEP_1) | instskip(SKIP_1) | instid1(VALU_DEP_1)
	v_add_nc_u32_e32 v11, s5, v10
	s_mov_b32 s5, 0
                                        ; implicit-def: $vgpr10
	v_cmpx_lt_i32_e64 v11, v22
; %bb.407:                              ;   in Loop: Header=BB5_368 Depth=1
	v_xad_u32 v10, v11, -1, v9
	s_mov_b32 s5, exec_lo
; %bb.408:                              ;   in Loop: Header=BB5_368 Depth=1
	s_or_b32 exec_lo, exec_lo, s6
	s_delay_alu instid0(SALU_CYCLE_1)
	s_and_b32 s5, s5, exec_lo
.LBB5_409:                              ;   in Loop: Header=BB5_368 Depth=1
	s_or_b32 exec_lo, exec_lo, s4
	s_delay_alu instid0(SALU_CYCLE_1)
	s_and_b32 s4, s5, exec_lo
	s_and_not1_saveexec_b32 s3, s3
	s_cbranch_execz .LBB5_378
.LBB5_410:                              ;   in Loop: Header=BB5_368 Depth=1
	s_mov_b32 s6, exec_lo
	s_mov_b32 s5, exec_lo
	v_mbcnt_lo_u32_b32 v10, s6, 0
                                        ; implicit-def: $vgpr11
	s_delay_alu instid0(VALU_DEP_1)
	v_cmpx_eq_u32_e32 0, v10
	s_cbranch_execz .LBB5_412
; %bb.411:                              ;   in Loop: Header=BB5_368 Depth=1
	s_bcnt1_i32_b32 s6, s6
	s_delay_alu instid0(SALU_CYCLE_1)
	v_mov_b32_e32 v11, s6
	ds_add_rtn_u32 v11, v17, v11 offset:384
.LBB5_412:                              ;   in Loop: Header=BB5_368 Depth=1
	s_or_b32 exec_lo, exec_lo, s5
	s_waitcnt lgkmcnt(0)
	v_readfirstlane_b32 s5, v11
	s_or_b32 s4, s4, exec_lo
	s_delay_alu instid0(VALU_DEP_1)
	v_add_nc_u32_e32 v10, s5, v10
	s_or_b32 exec_lo, exec_lo, s3
	s_and_saveexec_b32 s3, s4
	s_cbranch_execnz .LBB5_379
	s_branch .LBB5_380
.LBB5_413:                              ;   in Loop: Header=BB5_368 Depth=1
	s_mov_b32 s5, 0
	s_mov_b32 s4, exec_lo
                                        ; implicit-def: $vgpr10
	v_cmpx_eq_u32_e64 v11, v23
	s_cbranch_execz .LBB5_419
; %bb.414:                              ;   in Loop: Header=BB5_368 Depth=1
	s_mov_b32 s6, exec_lo
	s_mov_b32 s5, exec_lo
	v_mbcnt_lo_u32_b32 v10, s6, 0
                                        ; implicit-def: $vgpr11
	s_delay_alu instid0(VALU_DEP_1)
	v_cmpx_eq_u32_e32 0, v10
	s_cbranch_execz .LBB5_416
; %bb.415:                              ;   in Loop: Header=BB5_368 Depth=1
	s_bcnt1_i32_b32 s6, s6
	s_delay_alu instid0(SALU_CYCLE_1)
	v_mov_b32_e32 v11, s6
	ds_add_rtn_u32 v11, v17, v11 offset:512
.LBB5_416:                              ;   in Loop: Header=BB5_368 Depth=1
	s_or_b32 exec_lo, exec_lo, s5
	s_waitcnt lgkmcnt(0)
	v_readfirstlane_b32 s5, v11
	s_mov_b32 s6, exec_lo
	s_delay_alu instid0(VALU_DEP_1) | instskip(SKIP_1) | instid1(VALU_DEP_1)
	v_add_nc_u32_e32 v11, s5, v10
	s_mov_b32 s5, 0
                                        ; implicit-def: $vgpr10
	v_cmpx_lt_i32_e64 v11, v22
; %bb.417:                              ;   in Loop: Header=BB5_368 Depth=1
	v_xad_u32 v10, v11, -1, v9
	s_mov_b32 s5, exec_lo
; %bb.418:                              ;   in Loop: Header=BB5_368 Depth=1
	s_or_b32 exec_lo, exec_lo, s6
	s_delay_alu instid0(SALU_CYCLE_1)
	s_and_b32 s5, s5, exec_lo
.LBB5_419:                              ;   in Loop: Header=BB5_368 Depth=1
	s_or_b32 exec_lo, exec_lo, s4
	s_delay_alu instid0(SALU_CYCLE_1)
	s_and_b32 s4, s5, exec_lo
	s_and_not1_saveexec_b32 s3, s3
	s_cbranch_execz .LBB5_382
.LBB5_420:                              ;   in Loop: Header=BB5_368 Depth=1
	s_mov_b32 s6, exec_lo
	s_mov_b32 s5, exec_lo
	v_mbcnt_lo_u32_b32 v10, s6, 0
                                        ; implicit-def: $vgpr11
	s_delay_alu instid0(VALU_DEP_1)
	v_cmpx_eq_u32_e32 0, v10
	s_cbranch_execz .LBB5_422
; %bb.421:                              ;   in Loop: Header=BB5_368 Depth=1
	s_bcnt1_i32_b32 s6, s6
	s_delay_alu instid0(SALU_CYCLE_1)
	v_mov_b32_e32 v11, s6
	ds_add_rtn_u32 v11, v17, v11 offset:384
.LBB5_422:                              ;   in Loop: Header=BB5_368 Depth=1
	s_or_b32 exec_lo, exec_lo, s5
	s_waitcnt lgkmcnt(0)
	v_readfirstlane_b32 s5, v11
	s_or_b32 s4, s4, exec_lo
	s_delay_alu instid0(VALU_DEP_1)
	v_add_nc_u32_e32 v10, s5, v10
	s_or_b32 exec_lo, exec_lo, s3
	s_and_saveexec_b32 s3, s4
	s_cbranch_execz .LBB5_367
.LBB5_423:                              ;   in Loop: Header=BB5_368 Depth=1
	s_delay_alu instid0(VALU_DEP_1) | instskip(SKIP_1) | instid1(VALU_DEP_2)
	v_ashrrev_i32_e32 v11, 31, v10
	v_add_nc_u32_e32 v12, 3, v16
	v_lshlrev_b64 v[10:11], 2, v[10:11]
	s_delay_alu instid0(VALU_DEP_1) | instskip(NEXT) | instid1(VALU_DEP_2)
	v_add_co_u32 v14, vcc_lo, v4, v10
	v_add_co_ci_u32_e32 v15, vcc_lo, v5, v11, vcc_lo
	v_add_co_u32 v10, vcc_lo, v6, v10
	v_add_co_ci_u32_e32 v11, vcc_lo, v7, v11, vcc_lo
	flat_store_b32 v[14:15], v13
	flat_store_b32 v[10:11], v12
	s_branch .LBB5_367
.LBB5_424:
	s_or_b32 exec_lo, exec_lo, s1
	s_delay_alu instid0(SALU_CYCLE_1)
	s_mov_b32 s1, exec_lo
	v_cmpx_gt_u32_e64 v2, v24
	s_cbranch_execz .LBB5_429
; %bb.425:
	v_lshlrev_b32_e32 v3, 2, v24
	s_mov_b32 s3, 0
	s_mov_b32 s2, exec_lo
	s_delay_alu instid0(VALU_DEP_1)
	v_add_co_u32 v10, vcc_lo, v0, v3
	v_add_co_ci_u32_e32 v11, vcc_lo, 0, v1, vcc_lo
	flat_load_b32 v3, v[10:11]
	s_waitcnt vmcnt(0) lgkmcnt(0)
	v_cmp_gt_i32_e32 vcc_lo, 0, v3
	v_cndmask_b32_e64 v10, 0x7fffffff, 0, vcc_lo
	s_delay_alu instid0(VALU_DEP_1) | instskip(NEXT) | instid1(VALU_DEP_1)
	v_xor_b32_e32 v10, v10, v3
	v_and_b32_e32 v11, v10, v33
                                        ; implicit-def: $vgpr10
	s_delay_alu instid0(VALU_DEP_1)
	v_cmpx_ge_u32_e64 v11, v23
	s_xor_b32 s2, exec_lo, s2
	s_cbranch_execnz .LBB5_435
; %bb.426:
	s_and_not1_saveexec_b32 s2, s2
	s_cbranch_execnz .LBB5_442
.LBB5_427:
	s_or_b32 exec_lo, exec_lo, s2
	s_delay_alu instid0(SALU_CYCLE_1)
	s_and_b32 exec_lo, exec_lo, s3
	s_cbranch_execz .LBB5_429
.LBB5_428:
	v_ashrrev_i32_e32 v11, 31, v10
	s_delay_alu instid0(VALU_DEP_1) | instskip(NEXT) | instid1(VALU_DEP_1)
	v_lshlrev_b64 v[10:11], 2, v[10:11]
	v_add_co_u32 v12, vcc_lo, v4, v10
	s_delay_alu instid0(VALU_DEP_2)
	v_add_co_ci_u32_e32 v13, vcc_lo, v5, v11, vcc_lo
	v_add_co_u32 v10, vcc_lo, v6, v10
	v_add_co_ci_u32_e32 v11, vcc_lo, v7, v11, vcc_lo
	flat_store_b32 v[12:13], v3
	flat_store_b32 v[10:11], v24
.LBB5_429:
	s_or_b32 exec_lo, exec_lo, s1
	v_lshlrev_b32_e32 v3, 2, v26
	s_mov_b32 s1, exec_lo
	s_delay_alu instid0(VALU_DEP_1) | instskip(NEXT) | instid1(VALU_DEP_1)
	v_add3_u32 v2, v2, v24, v3
	v_cmpx_lt_i32_e64 v2, v8
	s_cbranch_execz .LBB5_434
; %bb.430:
	v_ashrrev_i32_e32 v3, 31, v2
	s_mov_b32 s3, 0
	s_mov_b32 s2, exec_lo
	s_delay_alu instid0(VALU_DEP_1) | instskip(NEXT) | instid1(VALU_DEP_1)
	v_lshlrev_b64 v[10:11], 2, v[2:3]
	v_add_co_u32 v0, vcc_lo, v0, v10
	s_delay_alu instid0(VALU_DEP_2) | instskip(SKIP_4) | instid1(VALU_DEP_1)
	v_add_co_ci_u32_e32 v1, vcc_lo, v1, v11, vcc_lo
	flat_load_b32 v3, v[0:1]
	s_waitcnt vmcnt(0) lgkmcnt(0)
	v_cmp_gt_i32_e32 vcc_lo, 0, v3
	v_cndmask_b32_e64 v0, 0x7fffffff, 0, vcc_lo
	v_xor_b32_e32 v0, v0, v3
	s_delay_alu instid0(VALU_DEP_1) | instskip(NEXT) | instid1(VALU_DEP_1)
	v_and_b32_e32 v1, v0, v33
                                        ; implicit-def: $vgpr0
	v_cmpx_ge_u32_e64 v1, v23
	s_xor_b32 s2, exec_lo, s2
	s_cbranch_execnz .LBB5_445
; %bb.431:
	s_and_not1_saveexec_b32 s2, s2
	s_cbranch_execnz .LBB5_452
.LBB5_432:
	s_or_b32 exec_lo, exec_lo, s2
	s_delay_alu instid0(SALU_CYCLE_1)
	s_and_b32 exec_lo, exec_lo, s3
	s_cbranch_execz .LBB5_434
.LBB5_433:
	v_ashrrev_i32_e32 v1, 31, v0
	s_delay_alu instid0(VALU_DEP_1) | instskip(NEXT) | instid1(VALU_DEP_1)
	v_lshlrev_b64 v[0:1], 2, v[0:1]
	v_add_co_u32 v4, vcc_lo, v4, v0
	s_delay_alu instid0(VALU_DEP_2)
	v_add_co_ci_u32_e32 v5, vcc_lo, v5, v1, vcc_lo
	v_add_co_u32 v0, vcc_lo, v6, v0
	v_add_co_ci_u32_e32 v1, vcc_lo, v7, v1, vcc_lo
	flat_store_b32 v[4:5], v3
	flat_store_b32 v[0:1], v2
.LBB5_434:
	s_or_b32 exec_lo, exec_lo, s1
	s_delay_alu instid0(SALU_CYCLE_1)
	s_or_b32 exec_lo, exec_lo, s0
	s_waitcnt lgkmcnt(0)
	s_setpc_b64 s[30:31]
.LBB5_435:
	s_mov_b32 s4, 0
	s_mov_b32 s3, exec_lo
                                        ; implicit-def: $vgpr10
	v_cmpx_eq_u32_e64 v11, v23
	s_cbranch_execz .LBB5_441
; %bb.436:
	s_mov_b32 s6, exec_lo
	s_mov_b32 s5, exec_lo
	v_mbcnt_lo_u32_b32 v10, s6, 0
                                        ; implicit-def: $vgpr11
	s_delay_alu instid0(VALU_DEP_1)
	v_cmpx_eq_u32_e32 0, v10
	s_cbranch_execz .LBB5_438
; %bb.437:
	s_bcnt1_i32_b32 s6, s6
	s_delay_alu instid0(SALU_CYCLE_1)
	v_dual_mov_b32 v11, 0 :: v_dual_mov_b32 v12, s6
	ds_add_rtn_u32 v11, v11, v12 offset:512
.LBB5_438:
	s_or_b32 exec_lo, exec_lo, s5
	s_waitcnt lgkmcnt(0)
	v_readfirstlane_b32 s5, v11
	s_delay_alu instid0(VALU_DEP_1) | instskip(SKIP_1) | instid1(VALU_DEP_1)
	v_add_nc_u32_e32 v11, s5, v10
	s_mov_b32 s5, exec_lo
                                        ; implicit-def: $vgpr10
	v_cmpx_lt_i32_e64 v11, v22
	s_xor_b32 s5, exec_lo, s5
; %bb.439:
	v_xad_u32 v10, v11, -1, v9
	s_mov_b32 s4, exec_lo
; %bb.440:
	s_or_b32 exec_lo, exec_lo, s5
	s_delay_alu instid0(SALU_CYCLE_1)
	s_and_b32 s4, s4, exec_lo
.LBB5_441:
	s_or_b32 exec_lo, exec_lo, s3
	s_delay_alu instid0(SALU_CYCLE_1)
	s_and_b32 s3, s4, exec_lo
	s_and_not1_saveexec_b32 s2, s2
	s_cbranch_execz .LBB5_427
.LBB5_442:
	s_mov_b32 s5, exec_lo
	s_mov_b32 s4, exec_lo
	v_mbcnt_lo_u32_b32 v10, s5, 0
                                        ; implicit-def: $vgpr11
	s_delay_alu instid0(VALU_DEP_1)
	v_cmpx_eq_u32_e32 0, v10
	s_cbranch_execz .LBB5_444
; %bb.443:
	s_bcnt1_i32_b32 s5, s5
	s_delay_alu instid0(SALU_CYCLE_1)
	v_dual_mov_b32 v11, 0 :: v_dual_mov_b32 v12, s5
	ds_add_rtn_u32 v11, v11, v12 offset:384
.LBB5_444:
	s_or_b32 exec_lo, exec_lo, s4
	s_waitcnt lgkmcnt(0)
	v_readfirstlane_b32 s4, v11
	s_or_b32 s3, s3, exec_lo
	s_delay_alu instid0(VALU_DEP_1) | instskip(SKIP_1) | instid1(SALU_CYCLE_1)
	v_add_nc_u32_e32 v10, s4, v10
	s_or_b32 exec_lo, exec_lo, s2
	s_and_b32 exec_lo, exec_lo, s3
	s_cbranch_execnz .LBB5_428
	s_branch .LBB5_429
.LBB5_445:
	s_mov_b32 s4, 0
	s_mov_b32 s3, exec_lo
                                        ; implicit-def: $vgpr0
	v_cmpx_eq_u32_e64 v1, v23
	s_cbranch_execz .LBB5_451
; %bb.446:
	s_mov_b32 s6, exec_lo
	s_mov_b32 s5, exec_lo
	v_mbcnt_lo_u32_b32 v0, s6, 0
                                        ; implicit-def: $vgpr1
	s_delay_alu instid0(VALU_DEP_1)
	v_cmpx_eq_u32_e32 0, v0
	s_cbranch_execz .LBB5_448
; %bb.447:
	s_bcnt1_i32_b32 s6, s6
	s_delay_alu instid0(SALU_CYCLE_1)
	v_dual_mov_b32 v1, 0 :: v_dual_mov_b32 v8, s6
	ds_add_rtn_u32 v1, v1, v8 offset:512
.LBB5_448:
	s_or_b32 exec_lo, exec_lo, s5
	s_waitcnt lgkmcnt(0)
	v_readfirstlane_b32 s5, v1
	s_delay_alu instid0(VALU_DEP_1) | instskip(SKIP_1) | instid1(VALU_DEP_1)
	v_add_nc_u32_e32 v1, s5, v0
	s_mov_b32 s5, exec_lo
                                        ; implicit-def: $vgpr0
	v_cmpx_lt_i32_e64 v1, v22
	s_xor_b32 s5, exec_lo, s5
; %bb.449:
	v_xad_u32 v0, v1, -1, v9
	s_mov_b32 s4, exec_lo
; %bb.450:
	s_or_b32 exec_lo, exec_lo, s5
	s_delay_alu instid0(SALU_CYCLE_1)
	s_and_b32 s4, s4, exec_lo
.LBB5_451:
	s_or_b32 exec_lo, exec_lo, s3
	s_delay_alu instid0(SALU_CYCLE_1)
	s_and_b32 s3, s4, exec_lo
	s_and_not1_saveexec_b32 s2, s2
	s_cbranch_execz .LBB5_432
.LBB5_452:
	s_mov_b32 s5, exec_lo
	s_mov_b32 s4, exec_lo
	v_mbcnt_lo_u32_b32 v0, s5, 0
                                        ; implicit-def: $vgpr1
	s_delay_alu instid0(VALU_DEP_1)
	v_cmpx_eq_u32_e32 0, v0
	s_cbranch_execz .LBB5_454
; %bb.453:
	s_bcnt1_i32_b32 s5, s5
	s_delay_alu instid0(SALU_CYCLE_1)
	v_dual_mov_b32 v1, 0 :: v_dual_mov_b32 v8, s5
	ds_add_rtn_u32 v1, v1, v8 offset:384
.LBB5_454:
	s_or_b32 exec_lo, exec_lo, s4
	s_waitcnt lgkmcnt(0)
	v_readfirstlane_b32 s4, v1
	s_or_b32 s3, s3, exec_lo
	s_delay_alu instid0(VALU_DEP_1) | instskip(SKIP_1) | instid1(SALU_CYCLE_1)
	v_add_nc_u32_e32 v0, s4, v0
	s_or_b32 exec_lo, exec_lo, s2
	s_and_b32 exec_lo, exec_lo, s3
	s_cbranch_execnz .LBB5_433
	s_branch .LBB5_434
.Lfunc_end5:
	.size	_ZN5aiter2ob11last_filterIfiLi12ELb1ELb0EEEvPKT_PKT0_PS2_PS5_S5_S5_PNS0_7CounterIS2_S5_EEbib, .Lfunc_end5-_ZN5aiter2ob11last_filterIfiLi12ELb1ELb0EEEvPKT_PKT0_PS2_PS5_S5_S5_PNS0_7CounterIS2_S5_EEbib
                                        ; -- End function
	.section	.AMDGPU.csdata,"",@progbits
; Function info:
; codeLenInByte = 13472
; NumSgprs: 34
; NumVgprs: 72
; ScratchSize: 0
; MemoryBound: 0
	.section	.text._ZN5aiter2ob27radix_topk_one_block_kernelIfiLi12ELi1024ELb1ELb0ELNS0_5PhaseE0EEEvPKT_PKT0_lS8_S8_S6_PS3_PS6_bPci,"axG",@progbits,_ZN5aiter2ob27radix_topk_one_block_kernelIfiLi12ELi1024ELb1ELb0ELNS0_5PhaseE0EEEvPKT_PKT0_lS8_S8_S6_PS3_PS6_bPci,comdat
	.protected	_ZN5aiter2ob27radix_topk_one_block_kernelIfiLi12ELi1024ELb1ELb0ELNS0_5PhaseE0EEEvPKT_PKT0_lS8_S8_S6_PS3_PS6_bPci ; -- Begin function _ZN5aiter2ob27radix_topk_one_block_kernelIfiLi12ELi1024ELb1ELb0ELNS0_5PhaseE0EEEvPKT_PKT0_lS8_S8_S6_PS3_PS6_bPci
	.globl	_ZN5aiter2ob27radix_topk_one_block_kernelIfiLi12ELi1024ELb1ELb0ELNS0_5PhaseE0EEEvPKT_PKT0_lS8_S8_S6_PS3_PS6_bPci
	.p2align	8
	.type	_ZN5aiter2ob27radix_topk_one_block_kernelIfiLi12ELi1024ELb1ELb0ELNS0_5PhaseE0EEEvPKT_PKT0_lS8_S8_S6_PS3_PS6_bPci,@function
_ZN5aiter2ob27radix_topk_one_block_kernelIfiLi12ELi1024ELb1ELb0ELNS0_5PhaseE0EEEvPKT_PKT0_lS8_S8_S6_PS3_PS6_bPci: ; @_ZN5aiter2ob27radix_topk_one_block_kernelIfiLi12ELi1024ELb1ELb0ELNS0_5PhaseE0EEEvPKT_PKT0_lS8_S8_S6_PS3_PS6_bPci
; %bb.0:
	s_mov_b32 s18, s15
	s_clause 0x1
	s_load_b256 s[8:15], s[0:1], 0x0
	s_load_b64 s[2:3], s[0:1], 0x20
	v_mov_b32_e32 v40, v0
	s_mov_b32 s19, 0
	s_mov_b32 s32, 0
	s_waitcnt lgkmcnt(0)
	s_cmp_eq_u64 s[14:15], 0
	s_cselect_b32 s4, -1, 0
	s_cmp_eq_u64 s[2:3], 0
	s_cselect_b32 s5, -1, 0
	s_delay_alu instid0(SALU_CYCLE_1) | instskip(NEXT) | instid1(SALU_CYCLE_1)
	s_or_b32 s4, s4, s5
	s_and_b32 vcc_lo, exec_lo, s4
	s_mov_b32 s4, s12
	s_cbranch_vccnz .LBB6_2
; %bb.1:
	s_lshl_b64 s[4:5], s[18:19], 2
	s_delay_alu instid0(SALU_CYCLE_1)
	s_add_u32 s2, s2, s4
	s_addc_u32 s3, s3, s5
	s_add_u32 s4, s14, s4
	s_addc_u32 s5, s15, s5
	s_load_b32 s19, s[4:5], 0x0
	s_load_b32 s4, s[2:3], 0x0
.LBB6_2:
	s_load_b32 s26, s[0:1], 0x28
	v_cmp_ne_u32_e64 s3, 0, v40
	v_cmp_eq_u32_e64 s2, 0, v40
	s_waitcnt lgkmcnt(0)
	s_sub_i32 s27, s4, s19
	s_delay_alu instid0(VALU_DEP_1)
	s_and_saveexec_b32 s4, s2
	s_cbranch_execz .LBB6_4
; %bb.3:
	v_dual_mov_b32 v1, s27 :: v_dual_mov_b32 v0, s26
	v_dual_mov_b32 v3, 0 :: v_dual_mov_b32 v2, s27
	ds_store_b128 v3, v[0:3]
	ds_store_2addr_b32 v3, v3, v3 offset0:96 offset1:128
.LBB6_4:
	s_or_b32 exec_lo, exec_lo, s4
	s_load_b128 s[20:23], s[0:1], 0x30
	s_mul_i32 s4, s18, s13
	s_mul_hi_u32 s5, s18, s12
	s_ashr_i32 s7, s19, 31
	s_add_i32 s5, s5, s4
	s_mul_i32 s4, s18, s12
	s_mul_i32 s12, s26, s18
	s_add_u32 s6, s4, s19
	s_addc_u32 s7, s5, s7
	s_ashr_i32 s4, s26, 31
	s_mul_hi_u32 s5, s26, s18
	s_mul_i32 s4, s4, s18
	s_waitcnt lgkmcnt(0)
	s_add_i32 s13, s5, s4
	s_cmp_gt_i32 s27, s26
	s_mov_b32 s4, -1
	s_barrier
	buffer_gl0_inv
	s_cbranch_scc1 .LBB6_11
; %bb.5:
	s_mov_b32 s5, exec_lo
	v_cmpx_gt_i32_e64 s26, v40
	s_cbranch_execz .LBB6_10
; %bb.6:
	v_lshlrev_b32_e32 v2, 2, v40
	s_lshl_b64 s[14:15], s[12:13], 2
	v_mov_b32_e32 v6, v40
	s_delay_alu instid0(VALU_DEP_2) | instskip(NEXT) | instid1(VALU_DEP_1)
	v_add_co_u32 v4, s4, s14, v2
	v_add_co_ci_u32_e64 v5, null, s15, 0, s4
	s_lshl_b64 s[14:15], s[6:7], 2
	s_delay_alu instid0(VALU_DEP_2) | instskip(SKIP_1) | instid1(VALU_DEP_2)
	v_add_co_u32 v0, vcc_lo, s22, v4
	s_add_u32 s4, s8, s14
	v_add_co_ci_u32_e32 v1, vcc_lo, s23, v5, vcc_lo
	s_addc_u32 s14, s9, s15
	v_add_co_u32 v2, s4, s4, v2
	v_add_co_u32 v4, vcc_lo, s20, v4
	v_add_co_ci_u32_e64 v3, null, s14, 0, s4
	v_add_co_ci_u32_e32 v5, vcc_lo, s21, v5, vcc_lo
	s_mov_b32 s14, 0
	s_set_inst_prefetch_distance 0x1
	s_branch .LBB6_8
	.p2align	6
.LBB6_7:                                ;   in Loop: Header=BB6_8 Depth=1
	s_or_b32 exec_lo, exec_lo, s4
	v_add_co_u32 v0, vcc_lo, 0x1000, v0
	v_add_nc_u32_e32 v6, 0x400, v6
	v_add_co_ci_u32_e32 v1, vcc_lo, 0, v1, vcc_lo
	v_add_co_u32 v2, vcc_lo, 0x1000, v2
	v_add_co_ci_u32_e32 v3, vcc_lo, 0, v3, vcc_lo
	s_waitcnt vmcnt(0)
	global_store_b32 v[4:5], v7, off
	v_cmp_le_i32_e32 vcc_lo, s26, v6
	v_add_co_u32 v4, s4, 0x1000, v4
	s_delay_alu instid0(VALU_DEP_1) | instskip(SKIP_1) | instid1(SALU_CYCLE_1)
	v_add_co_ci_u32_e64 v5, s4, 0, v5, s4
	s_or_b32 s14, vcc_lo, s14
	s_and_not1_b32 exec_lo, exec_lo, s14
	s_cbranch_execz .LBB6_10
.LBB6_8:                                ; =>This Inner Loop Header: Depth=1
	v_add_nc_u32_e32 v7, s19, v6
	v_cmp_gt_i32_e32 vcc_lo, s27, v6
	s_delay_alu instid0(VALU_DEP_2)
	v_dual_cndmask_b32 v8, -1, v7 :: v_dual_mov_b32 v7, 0
	global_store_b32 v[0:1], v8, off
	s_and_saveexec_b32 s4, vcc_lo
	s_cbranch_execz .LBB6_7
; %bb.9:                                ;   in Loop: Header=BB6_8 Depth=1
	global_load_b32 v7, v[2:3], off
	s_branch .LBB6_7
.LBB6_10:
	s_set_inst_prefetch_distance 0x2
	s_or_b32 exec_lo, exec_lo, s5
	s_mov_b32 s4, 0
.LBB6_11:
	s_delay_alu instid0(SALU_CYCLE_1)
	s_and_not1_b32 vcc_lo, exec_lo, s4
	s_cbranch_vccnz .LBB6_184
; %bb.12:
	s_load_b32 s4, s[0:1], 0x64
	v_dual_mov_b32 v1, v40 :: v_dual_lshlrev_b32 v4, 2, v40
	s_delay_alu instid0(VALU_DEP_1) | instskip(NEXT) | instid1(VALU_DEP_1)
	v_dual_mov_b32 v0, 0 :: v_dual_add_nc_u32 v31, 0x4480, v4
	v_mov_b32_e32 v2, v31
	s_waitcnt lgkmcnt(0)
	s_and_b32 s24, s4, 0xffff
	s_mov_b32 s4, 0
	s_lshl_b32 s25, s24, 2
.LBB6_13:                               ; =>This Inner Loop Header: Depth=1
	v_add_nc_u32_e32 v1, s24, v1
	ds_store_b32 v2, v0
	v_add_nc_u32_e32 v2, s25, v2
	v_cmp_lt_u32_e32 vcc_lo, 0xfff, v1
	s_or_b32 s4, vcc_lo, s4
	s_delay_alu instid0(SALU_CYCLE_1)
	s_and_not1_b32 exec_lo, exec_lo, s4
	s_cbranch_execnz .LBB6_13
; %bb.14:
	s_or_b32 exec_lo, exec_lo, s4
	s_and_saveexec_b32 s4, s2
	s_cbranch_execz .LBB6_16
; %bb.15:
	v_mov_b32_e32 v0, 0
	ds_store_b32 v0, v0 offset:128
.LBB6_16:
	s_or_b32 exec_lo, exec_lo, s4
	s_lshl_b64 s[14:15], s[6:7], 2
	s_mov_b32 s5, 0
	s_add_u32 s29, s8, s14
	s_addc_u32 s28, s9, s15
	s_and_b32 s4, s29, 15
	s_mul_i32 s31, s24, 3
	s_sub_i32 s6, 16, s4
	v_dual_mov_b32 v41, 0 :: v_dual_mov_b32 v0, v40
	s_lshr_b32 s6, s6, 2
	s_cmp_lg_u64 s[4:5], 0
	s_waitcnt lgkmcnt(0)
	s_waitcnt_vscnt null, 0x0
	s_cselect_b32 s4, s6, 0
	s_barrier
	s_min_i32 s6, s4, s27
	buffer_gl0_inv
	s_ashr_i32 s7, s6, 31
	s_delay_alu instid0(SALU_CYCLE_1) | instskip(NEXT) | instid1(SALU_CYCLE_1)
	s_lshl_b64 s[16:17], s[6:7], 2
	s_add_u32 s9, s29, s16
	s_addc_u32 s30, s28, s17
	s_sub_i32 s4, s27, s6
	s_delay_alu instid0(SALU_CYCLE_1) | instskip(NEXT) | instid1(SALU_CYCLE_1)
	s_ashr_i32 s7, s4, 31
	s_lshr_b32 s7, s7, 30
	s_delay_alu instid0(SALU_CYCLE_1) | instskip(SKIP_1) | instid1(VALU_DEP_1)
	s_add_i32 s4, s4, s7
	v_add_co_u32 v20, s7, s31, v40
	v_add_co_ci_u32_e64 v21, null, 0, 0, s7
	s_ashr_i32 s16, s4, 2
	s_lshl_b32 s4, s24, 4
	s_ashr_i32 s17, s16, 31
	s_add_u32 s33, s9, s4
	v_cmp_gt_u64_e64 s7, s[16:17], v[20:21]
	s_addc_u32 s34, s30, 0
	s_add_u32 s35, s33, s4
	s_addc_u32 s36, s34, 0
	s_delay_alu instid0(VALU_DEP_1)
	s_and_saveexec_b32 s4, s7
	s_cbranch_execz .LBB6_20
; %bb.17:
	v_dual_mov_b32 v5, 1 :: v_dual_mov_b32 v2, v20
	v_dual_mov_b32 v3, v21 :: v_dual_mov_b32 v0, v40
	v_mov_b32_e32 v1, v41
.LBB6_18:                               ; =>This Inner Loop Header: Depth=1
	s_delay_alu instid0(VALU_DEP_1) | instskip(NEXT) | instid1(VALU_DEP_3)
	v_lshlrev_b64 v[10:11], 4, v[0:1]
	v_lshlrev_b64 v[1:2], 4, v[2:3]
	v_add_nc_u32_e32 v0, s25, v0
	s_delay_alu instid0(VALU_DEP_3) | instskip(NEXT) | instid1(VALU_DEP_4)
	v_add_co_u32 v6, vcc_lo, s9, v10
	v_add_co_ci_u32_e32 v7, vcc_lo, s30, v11, vcc_lo
	v_add_co_u32 v12, vcc_lo, s33, v10
	v_add_co_ci_u32_e32 v13, vcc_lo, s34, v11, vcc_lo
	global_load_b128 v[6:9], v[6:7], off
	v_add_co_u32 v14, vcc_lo, s35, v10
	v_add_co_ci_u32_e32 v15, vcc_lo, s36, v11, vcc_lo
	global_load_b128 v[10:13], v[12:13], off
	v_add_co_u32 v1, vcc_lo, s9, v1
	v_add_co_ci_u32_e32 v2, vcc_lo, s30, v2, vcc_lo
	s_waitcnt vmcnt(1)
	v_cmp_gt_i32_e32 vcc_lo, 0, v6
	v_cndmask_b32_e64 v3, 0x7ff00000, 0, vcc_lo
	v_cmp_gt_i32_e32 vcc_lo, 0, v7
	s_delay_alu instid0(VALU_DEP_2) | instskip(SKIP_2) | instid1(VALU_DEP_3)
	v_xor_b32_e32 v3, v3, v6
	v_cndmask_b32_e64 v16, 0x7ff00000, 0, vcc_lo
	v_cmp_gt_i32_e32 vcc_lo, 0, v8
	v_lshrrev_b32_e32 v3, 18, v3
	s_delay_alu instid0(VALU_DEP_3) | instskip(SKIP_2) | instid1(VALU_DEP_4)
	v_xor_b32_e32 v6, v16, v7
	v_cndmask_b32_e64 v17, 0x7ff00000, 0, vcc_lo
	v_cmp_gt_i32_e32 vcc_lo, 0, v9
	v_and_b32_e32 v3, 0x3ffc, v3
	s_delay_alu instid0(VALU_DEP_4) | instskip(NEXT) | instid1(VALU_DEP_4)
	v_lshrrev_b32_e32 v6, 18, v6
	v_xor_b32_e32 v7, v17, v8
	v_cndmask_b32_e64 v18, 0x7ff00000, 0, vcc_lo
	s_waitcnt vmcnt(0)
	v_cmp_gt_i32_e32 vcc_lo, 0, v10
	v_and_b32_e32 v6, 0x3ffc, v6
	v_lshrrev_b32_e32 v7, 18, v7
	v_xor_b32_e32 v8, v18, v9
	s_delay_alu instid0(VALU_DEP_2) | instskip(NEXT) | instid1(VALU_DEP_2)
	v_and_b32_e32 v7, 0x3ffc, v7
	v_lshrrev_b32_e32 v8, 18, v8
	s_delay_alu instid0(VALU_DEP_1)
	v_and_b32_e32 v8, 0x3ffc, v8
	ds_add_u32 v3, v5 offset:17536
	ds_add_u32 v6, v5 offset:17536
	;; [unrolled: 1-line block ×4, first 2 shown]
	s_clause 0x1
	global_load_b128 v[6:9], v[14:15], off
	global_load_b128 v[14:17], v[1:2], off
	v_cndmask_b32_e64 v1, 0x7ff00000, 0, vcc_lo
	v_cmp_gt_i32_e32 vcc_lo, 0, v11
	s_delay_alu instid0(VALU_DEP_2) | instskip(SKIP_2) | instid1(VALU_DEP_3)
	v_xor_b32_e32 v1, v1, v10
	v_cndmask_b32_e64 v2, 0x7ff00000, 0, vcc_lo
	v_cmp_gt_i32_e32 vcc_lo, 0, v12
	v_lshrrev_b32_e32 v1, 18, v1
	s_delay_alu instid0(VALU_DEP_3) | instskip(SKIP_2) | instid1(VALU_DEP_4)
	v_xor_b32_e32 v2, v2, v11
	v_cndmask_b32_e64 v3, 0x7ff00000, 0, vcc_lo
	v_cmp_gt_i32_e32 vcc_lo, 0, v13
	v_and_b32_e32 v1, 0x3ffc, v1
	s_delay_alu instid0(VALU_DEP_4) | instskip(NEXT) | instid1(VALU_DEP_4)
	v_lshrrev_b32_e32 v2, 18, v2
	v_xor_b32_e32 v3, v3, v12
	v_cndmask_b32_e64 v18, 0x7ff00000, 0, vcc_lo
	s_delay_alu instid0(VALU_DEP_3) | instskip(NEXT) | instid1(VALU_DEP_3)
	v_and_b32_e32 v2, 0x3ffc, v2
	v_lshrrev_b32_e32 v3, 18, v3
	s_delay_alu instid0(VALU_DEP_3) | instskip(NEXT) | instid1(VALU_DEP_2)
	v_xor_b32_e32 v10, v18, v13
	v_and_b32_e32 v3, 0x3ffc, v3
	s_delay_alu instid0(VALU_DEP_2) | instskip(NEXT) | instid1(VALU_DEP_1)
	v_lshrrev_b32_e32 v10, 18, v10
	v_and_b32_e32 v10, 0x3ffc, v10
	ds_add_u32 v1, v5 offset:17536
	ds_add_u32 v2, v5 offset:17536
	ds_add_u32 v3, v5 offset:17536
	ds_add_u32 v10, v5 offset:17536
	s_waitcnt vmcnt(1)
	v_cmp_gt_i32_e32 vcc_lo, 0, v6
	v_cndmask_b32_e64 v1, 0x7ff00000, 0, vcc_lo
	v_cmp_gt_i32_e32 vcc_lo, 0, v7
	s_delay_alu instid0(VALU_DEP_2) | instskip(SKIP_2) | instid1(VALU_DEP_3)
	v_xor_b32_e32 v1, v1, v6
	v_cndmask_b32_e64 v2, 0x7ff00000, 0, vcc_lo
	v_cmp_gt_i32_e32 vcc_lo, 0, v8
	v_lshrrev_b32_e32 v1, 18, v1
	s_delay_alu instid0(VALU_DEP_3) | instskip(SKIP_2) | instid1(VALU_DEP_4)
	v_xor_b32_e32 v2, v2, v7
	v_cndmask_b32_e64 v3, 0x7ff00000, 0, vcc_lo
	v_cmp_gt_i32_e32 vcc_lo, 0, v9
	v_and_b32_e32 v1, 0x3ffc, v1
	s_delay_alu instid0(VALU_DEP_4) | instskip(NEXT) | instid1(VALU_DEP_4)
	v_lshrrev_b32_e32 v2, 18, v2
	v_xor_b32_e32 v3, v3, v8
	v_cndmask_b32_e64 v10, 0x7ff00000, 0, vcc_lo
	s_waitcnt vmcnt(0)
	v_cmp_gt_i32_e32 vcc_lo, 0, v14
	v_and_b32_e32 v2, 0x3ffc, v2
	v_lshrrev_b32_e32 v3, 18, v3
	v_xor_b32_e32 v6, v10, v9
	v_cndmask_b32_e64 v11, 0x7ff00000, 0, vcc_lo
	v_cmp_gt_i32_e32 vcc_lo, 0, v15
	s_delay_alu instid0(VALU_DEP_4) | instskip(NEXT) | instid1(VALU_DEP_4)
	v_and_b32_e32 v3, 0x3ffc, v3
	v_lshrrev_b32_e32 v6, 18, v6
	s_delay_alu instid0(VALU_DEP_4) | instskip(SKIP_2) | instid1(VALU_DEP_4)
	v_xor_b32_e32 v7, v11, v14
	v_cndmask_b32_e64 v12, 0x7ff00000, 0, vcc_lo
	v_cmp_gt_i32_e32 vcc_lo, 0, v16
	v_and_b32_e32 v6, 0x3ffc, v6
	s_delay_alu instid0(VALU_DEP_4) | instskip(NEXT) | instid1(VALU_DEP_4)
	v_lshrrev_b32_e32 v7, 18, v7
	v_xor_b32_e32 v8, v12, v15
	v_cndmask_b32_e64 v13, 0x7ff00000, 0, vcc_lo
	v_cmp_gt_i32_e32 vcc_lo, 0, v17
	s_delay_alu instid0(VALU_DEP_4) | instskip(NEXT) | instid1(VALU_DEP_4)
	v_and_b32_e32 v7, 0x3ffc, v7
	v_lshrrev_b32_e32 v8, 18, v8
	s_delay_alu instid0(VALU_DEP_4) | instskip(SKIP_1) | instid1(VALU_DEP_3)
	v_xor_b32_e32 v9, v13, v16
	v_cndmask_b32_e64 v18, 0x7ff00000, 0, vcc_lo
	v_and_b32_e32 v8, 0x3ffc, v8
	s_delay_alu instid0(VALU_DEP_3) | instskip(NEXT) | instid1(VALU_DEP_3)
	v_lshrrev_b32_e32 v9, 18, v9
	v_xor_b32_e32 v10, v18, v17
	s_delay_alu instid0(VALU_DEP_2) | instskip(NEXT) | instid1(VALU_DEP_2)
	v_and_b32_e32 v9, 0x3ffc, v9
	v_lshrrev_b32_e32 v10, 18, v10
	s_delay_alu instid0(VALU_DEP_1)
	v_and_b32_e32 v10, 0x3ffc, v10
	ds_add_u32 v1, v5 offset:17536
	ds_add_u32 v2, v5 offset:17536
	;; [unrolled: 1-line block ×8, first 2 shown]
	v_ashrrev_i32_e32 v1, 31, v0
	v_add_co_u32 v2, vcc_lo, s31, v0
	s_delay_alu instid0(VALU_DEP_2) | instskip(NEXT) | instid1(VALU_DEP_1)
	v_add_co_ci_u32_e32 v3, vcc_lo, 0, v1, vcc_lo
	v_cmp_le_u64_e32 vcc_lo, s[16:17], v[2:3]
	s_or_b32 s5, vcc_lo, s5
	s_delay_alu instid0(SALU_CYCLE_1)
	s_and_not1_b32 exec_lo, exec_lo, s5
	s_cbranch_execnz .LBB6_18
; %bb.19:
	s_or_b32 exec_lo, exec_lo, s5
.LBB6_20:
	s_delay_alu instid0(SALU_CYCLE_1) | instskip(NEXT) | instid1(SALU_CYCLE_1)
	s_or_b32 exec_lo, exec_lo, s4
	s_mov_b32 s4, exec_lo
	v_cmpx_gt_i32_e64 s16, v0
	s_cbranch_execz .LBB6_23
; %bb.21:
	v_mov_b32_e32 v2, 1
	s_mov_b32 s5, 0
.LBB6_22:                               ; =>This Inner Loop Header: Depth=1
	v_ashrrev_i32_e32 v1, 31, v0
	s_delay_alu instid0(VALU_DEP_1) | instskip(SKIP_1) | instid1(VALU_DEP_2)
	v_lshlrev_b64 v[5:6], 4, v[0:1]
	v_add_nc_u32_e32 v0, s24, v0
	v_add_co_u32 v5, vcc_lo, s9, v5
	s_delay_alu instid0(VALU_DEP_3)
	v_add_co_ci_u32_e32 v6, vcc_lo, s30, v6, vcc_lo
	global_load_b128 v[5:8], v[5:6], off
	s_waitcnt vmcnt(0)
	v_cmp_gt_i32_e32 vcc_lo, 0, v5
	v_cndmask_b32_e64 v1, 0x7ff00000, 0, vcc_lo
	v_cmp_gt_i32_e32 vcc_lo, 0, v6
	s_delay_alu instid0(VALU_DEP_2) | instskip(SKIP_2) | instid1(VALU_DEP_3)
	v_xor_b32_e32 v1, v1, v5
	v_cndmask_b32_e64 v3, 0x7ff00000, 0, vcc_lo
	v_cmp_gt_i32_e32 vcc_lo, 0, v7
	v_lshrrev_b32_e32 v1, 18, v1
	s_delay_alu instid0(VALU_DEP_3) | instskip(SKIP_2) | instid1(VALU_DEP_4)
	v_xor_b32_e32 v3, v3, v6
	v_cndmask_b32_e64 v9, 0x7ff00000, 0, vcc_lo
	v_cmp_gt_i32_e32 vcc_lo, 0, v8
	v_and_b32_e32 v1, 0x3ffc, v1
	s_delay_alu instid0(VALU_DEP_4) | instskip(NEXT) | instid1(VALU_DEP_4)
	v_lshrrev_b32_e32 v3, 18, v3
	v_xor_b32_e32 v5, v9, v7
	v_cndmask_b32_e64 v10, 0x7ff00000, 0, vcc_lo
	v_cmp_le_i32_e32 vcc_lo, s16, v0
	s_delay_alu instid0(VALU_DEP_4) | instskip(NEXT) | instid1(VALU_DEP_4)
	v_and_b32_e32 v3, 0x3ffc, v3
	v_lshrrev_b32_e32 v5, 18, v5
	s_delay_alu instid0(VALU_DEP_4) | instskip(SKIP_1) | instid1(VALU_DEP_2)
	v_xor_b32_e32 v6, v10, v8
	s_or_b32 s5, vcc_lo, s5
	v_and_b32_e32 v5, 0x3ffc, v5
	s_delay_alu instid0(VALU_DEP_2) | instskip(NEXT) | instid1(VALU_DEP_1)
	v_lshrrev_b32_e32 v6, 18, v6
	v_and_b32_e32 v6, 0x3ffc, v6
	ds_add_u32 v1, v2 offset:17536
	ds_add_u32 v3, v2 offset:17536
	;; [unrolled: 1-line block ×4, first 2 shown]
	s_and_not1_b32 exec_lo, exec_lo, s5
	s_cbranch_execnz .LBB6_22
.LBB6_23:
	s_or_b32 exec_lo, exec_lo, s4
	v_lshlrev_b32_e32 v42, 2, v40
	v_cmp_gt_u32_e64 s4, s6, v40
	s_delay_alu instid0(VALU_DEP_2) | instskip(NEXT) | instid1(VALU_DEP_1)
	v_add_co_u32 v22, s5, s29, v42
	v_add_co_ci_u32_e64 v23, null, s28, 0, s5
	s_delay_alu instid0(VALU_DEP_3)
	s_and_saveexec_b32 s5, s4
	s_cbranch_execz .LBB6_25
; %bb.24:
	global_load_b32 v0, v[22:23], off
	s_waitcnt vmcnt(0)
	v_cmp_gt_i32_e32 vcc_lo, 0, v0
	v_cndmask_b32_e64 v1, 0x7ff00000, 0, vcc_lo
	s_delay_alu instid0(VALU_DEP_1) | instskip(SKIP_1) | instid1(VALU_DEP_2)
	v_xor_b32_e32 v0, v1, v0
	v_mov_b32_e32 v1, 1
	v_lshrrev_b32_e32 v0, 18, v0
	s_delay_alu instid0(VALU_DEP_1)
	v_and_b32_e32 v0, 0x3ffc, v0
	ds_add_u32 v0, v1 offset:17536
.LBB6_25:
	s_or_b32 exec_lo, exec_lo, s5
	s_lshl_b32 s5, s16, 2
	s_delay_alu instid0(SALU_CYCLE_1) | instskip(NEXT) | instid1(VALU_DEP_1)
	v_add3_u32 v0, s5, s6, v40
	v_ashrrev_i32_e32 v1, 31, v0
	v_cmp_gt_i32_e64 s5, s27, v0
	s_delay_alu instid0(VALU_DEP_2) | instskip(NEXT) | instid1(VALU_DEP_1)
	v_lshlrev_b64 v[1:2], 2, v[0:1]
	v_add_co_u32 v24, vcc_lo, s29, v1
	s_delay_alu instid0(VALU_DEP_2) | instskip(NEXT) | instid1(VALU_DEP_4)
	v_add_co_ci_u32_e32 v25, vcc_lo, s28, v2, vcc_lo
	s_and_saveexec_b32 s6, s5
	s_cbranch_execz .LBB6_27
; %bb.26:
	global_load_b32 v0, v[24:25], off
	s_waitcnt vmcnt(0)
	v_cmp_gt_i32_e32 vcc_lo, 0, v0
	v_cndmask_b32_e64 v1, 0x7ff00000, 0, vcc_lo
	s_delay_alu instid0(VALU_DEP_1) | instskip(SKIP_1) | instid1(VALU_DEP_2)
	v_xor_b32_e32 v0, v1, v0
	v_mov_b32_e32 v1, 1
	v_lshrrev_b32_e32 v0, 18, v0
	s_delay_alu instid0(VALU_DEP_1)
	v_and_b32_e32 v0, 0x3ffc, v0
	ds_add_u32 v0, v1 offset:17536
.LBB6_27:
	s_or_b32 exec_lo, exec_lo, s6
	s_mov_b64 s[38:39], src_shared_base
	s_delay_alu instid0(SALU_CYCLE_1)
	v_dual_mov_b32 v15, s39 :: v_dual_add_nc_u32 v14, 0x5480, v4
	v_dual_mov_b32 v13, s39 :: v_dual_add_nc_u32 v12, 0x4480, v4
	;; [unrolled: 1-line block ×4, first 2 shown]
	s_waitcnt lgkmcnt(0)
	s_barrier
	buffer_gl0_inv
	flat_load_b32 v0, v[12:13] glc dlc
	s_waitcnt vmcnt(0)
	flat_load_b32 v1, v[14:15] glc dlc
	s_waitcnt vmcnt(0)
	;; [unrolled: 2-line block ×4, first 2 shown]
	v_or_b32_e32 v5, 0x400, v40
	v_or_b32_e32 v6, 0x800, v40
	;; [unrolled: 1-line block ×3, first 2 shown]
	v_lshrrev_b32_e32 v10, 3, v40
	v_mul_u32_u24_e32 v11, 33, v40
	v_lshrrev_b32_e32 v5, 3, v5
	v_lshrrev_b32_e32 v6, 3, v6
	v_lshrrev_b32_e32 v7, 3, v7
	v_and_b32_e32 v8, 0x7c, v10
	v_cmp_gt_u32_e64 s6, 32, v40
	v_and_b32_e32 v5, 0xfc, v5
	v_and_b32_e32 v6, 0x17c, v6
	;; [unrolled: 1-line block ×3, first 2 shown]
	v_add_nc_u32_e32 v8, v4, v8
	v_lshl_add_u32 v29, v11, 2, 0x280
	v_add_nc_u32_e32 v9, v5, v4
	v_add_nc_u32_e32 v5, v4, v6
	;; [unrolled: 1-line block ×3, first 2 shown]
	v_add_lshl_u32 v7, v10, v4, 2
	s_waitcnt lgkmcnt(3)
	ds_store_b32 v8, v0 offset:640
	s_waitcnt lgkmcnt(3)
	ds_store_b32 v9, v1 offset:4736
	;; [unrolled: 2-line block ×4, first 2 shown]
	s_waitcnt lgkmcnt(0)
	s_barrier
	buffer_gl0_inv
	ds_load_2addr_b32 v[2:3], v7 offset0:160 offset1:161
	ds_load_2addr_b32 v[0:1], v7 offset0:162 offset1:163
	s_waitcnt lgkmcnt(0)
	s_barrier
	buffer_gl0_inv
	v_add_nc_u32_e32 v10, v3, v2
	s_delay_alu instid0(VALU_DEP_1)
	v_add3_u32 v10, v10, v0, v1
	ds_store_b32 v8, v10 offset:640
	s_waitcnt lgkmcnt(0)
	s_barrier
	buffer_gl0_inv
	s_and_saveexec_b32 s8, s6
	s_cbranch_execz .LBB6_29
; %bb.28:
	ds_load_2addr_b32 v[26:27], v29 offset1:1
	ds_load_2addr_b32 v[32:33], v29 offset0:2 offset1:3
	ds_load_2addr_b32 v[34:35], v29 offset0:4 offset1:5
	;; [unrolled: 1-line block ×15, first 2 shown]
	v_mbcnt_lo_u32_b32 v28, -1, 0
	s_delay_alu instid0(VALU_DEP_1) | instskip(SKIP_3) | instid1(VALU_DEP_1)
	v_bfe_i32 v66, v28, 4, 1
	s_waitcnt lgkmcnt(15)
	v_add_nc_u32_e32 v11, v27, v26
	s_waitcnt lgkmcnt(14)
	v_add3_u32 v11, v11, v32, v33
	s_waitcnt lgkmcnt(13)
	s_delay_alu instid0(VALU_DEP_1) | instskip(SKIP_1) | instid1(VALU_DEP_1)
	v_add3_u32 v11, v11, v34, v35
	s_waitcnt lgkmcnt(12)
	v_add3_u32 v11, v11, v36, v37
	s_waitcnt lgkmcnt(11)
	s_delay_alu instid0(VALU_DEP_1) | instskip(SKIP_1) | instid1(VALU_DEP_1)
	v_add3_u32 v11, v11, v38, v39
	;; [unrolled: 5-line block ×7, first 2 shown]
	s_waitcnt lgkmcnt(0)
	v_add3_u32 v11, v11, v63, v64
	s_delay_alu instid0(VALU_DEP_1) | instskip(SKIP_1) | instid1(VALU_DEP_1)
	v_mov_b32_dpp v65, v11 row_shr:1 row_mask:0xf bank_mask:0xf
	v_and_b32_e32 v30, 15, v28
	v_cmp_ne_u32_e32 vcc_lo, 0, v30
	s_delay_alu instid0(VALU_DEP_3) | instskip(SKIP_1) | instid1(VALU_DEP_2)
	v_cndmask_b32_e32 v65, 0, v65, vcc_lo
	v_cmp_lt_u32_e32 vcc_lo, 1, v30
	v_add_nc_u32_e32 v11, v65, v11
	s_delay_alu instid0(VALU_DEP_1) | instskip(NEXT) | instid1(VALU_DEP_1)
	v_mov_b32_dpp v65, v11 row_shr:2 row_mask:0xf bank_mask:0xf
	v_cndmask_b32_e32 v65, 0, v65, vcc_lo
	v_cmp_lt_u32_e32 vcc_lo, 3, v30
	s_delay_alu instid0(VALU_DEP_2) | instskip(NEXT) | instid1(VALU_DEP_1)
	v_add_nc_u32_e32 v11, v11, v65
	v_mov_b32_dpp v65, v11 row_shr:4 row_mask:0xf bank_mask:0xf
	s_delay_alu instid0(VALU_DEP_1) | instskip(SKIP_1) | instid1(VALU_DEP_2)
	v_cndmask_b32_e32 v65, 0, v65, vcc_lo
	v_cmp_lt_u32_e32 vcc_lo, 7, v30
	v_add_nc_u32_e32 v11, v11, v65
	s_delay_alu instid0(VALU_DEP_1) | instskip(NEXT) | instid1(VALU_DEP_1)
	v_mov_b32_dpp v65, v11 row_shr:8 row_mask:0xf bank_mask:0xf
	v_dual_cndmask_b32 v30, 0, v65 :: v_dual_add_nc_u32 v65, -1, v28
	s_delay_alu instid0(VALU_DEP_1) | instskip(NEXT) | instid1(VALU_DEP_2)
	v_add_nc_u32_e32 v11, v11, v30
	v_cmp_gt_i32_e32 vcc_lo, 0, v65
	ds_swizzle_b32 v30, v11 offset:swizzle(BROADCAST,32,15)
	v_cndmask_b32_e32 v28, v65, v28, vcc_lo
	s_delay_alu instid0(VALU_DEP_1) | instskip(SKIP_2) | instid1(VALU_DEP_1)
	v_lshlrev_b32_e32 v28, 2, v28
	s_waitcnt lgkmcnt(0)
	v_and_b32_e32 v30, v66, v30
	v_add_nc_u32_e32 v11, v11, v30
	ds_bpermute_b32 v11, v28, v11
	s_waitcnt lgkmcnt(0)
	v_add_nc_u32_e32 v11, v11, v26
	s_delay_alu instid0(VALU_DEP_1) | instskip(NEXT) | instid1(VALU_DEP_1)
	v_cndmask_b32_e64 v10, v11, v10, s2
	v_add_nc_u32_e32 v11, v10, v27
	s_delay_alu instid0(VALU_DEP_1) | instskip(NEXT) | instid1(VALU_DEP_1)
	v_add_nc_u32_e32 v26, v11, v32
	v_add_nc_u32_e32 v27, v26, v33
	s_delay_alu instid0(VALU_DEP_1) | instskip(NEXT) | instid1(VALU_DEP_1)
	v_add_nc_u32_e32 v28, v27, v34
	;; [unrolled: 3-line block ×3, first 2 shown]
	v_add_nc_u32_e32 v33, v32, v37
	ds_store_2addr_b32 v29, v10, v11 offset1:1
	ds_store_2addr_b32 v29, v26, v27 offset0:2 offset1:3
	ds_store_2addr_b32 v29, v28, v30 offset0:4 offset1:5
	;; [unrolled: 1-line block ×3, first 2 shown]
	v_add_nc_u32_e32 v34, v33, v38
	s_delay_alu instid0(VALU_DEP_1) | instskip(NEXT) | instid1(VALU_DEP_1)
	v_add_nc_u32_e32 v35, v34, v39
	v_add_nc_u32_e32 v36, v35, v43
	s_delay_alu instid0(VALU_DEP_1) | instskip(NEXT) | instid1(VALU_DEP_1)
	v_add_nc_u32_e32 v37, v36, v44
	;; [unrolled: 3-line block ×3, first 2 shown]
	v_add_nc_u32_e32 v43, v39, v47
	s_delay_alu instid0(VALU_DEP_1)
	v_add_nc_u32_e32 v44, v43, v48
	ds_store_2addr_b32 v29, v34, v35 offset0:8 offset1:9
	ds_store_2addr_b32 v29, v36, v37 offset0:10 offset1:11
	;; [unrolled: 1-line block ×4, first 2 shown]
	v_add_nc_u32_e32 v45, v44, v49
	s_delay_alu instid0(VALU_DEP_1) | instskip(NEXT) | instid1(VALU_DEP_1)
	v_add_nc_u32_e32 v46, v45, v50
	v_add_nc_u32_e32 v47, v46, v51
	s_delay_alu instid0(VALU_DEP_1) | instskip(NEXT) | instid1(VALU_DEP_1)
	v_add_nc_u32_e32 v48, v47, v52
	;; [unrolled: 3-line block ×7, first 2 shown]
	v_add_nc_u32_e32 v10, v58, v63
	s_delay_alu instid0(VALU_DEP_1)
	v_add_nc_u32_e32 v11, v10, v64
	ds_store_2addr_b32 v29, v45, v46 offset0:16 offset1:17
	ds_store_2addr_b32 v29, v47, v48 offset0:18 offset1:19
	;; [unrolled: 1-line block ×8, first 2 shown]
.LBB6_29:
	s_or_b32 exec_lo, exec_lo, s8
	v_add_nc_u32_e32 v10, -1, v40
	v_dual_mov_b32 v5, 0 :: v_dual_add_nc_u32 v34, 0x280, v5
	v_add_nc_u32_e32 v32, 0x280, v8
	v_add_nc_u32_e32 v33, 0x280, v9
	s_delay_alu instid0(VALU_DEP_4) | instskip(SKIP_3) | instid1(VALU_DEP_3)
	v_lshrrev_b32_e32 v11, 5, v10
	v_dual_mov_b32 v6, 0 :: v_dual_add_nc_u32 v35, 0x280, v6
	v_add_nc_u32_e32 v36, 0x280, v7
	s_waitcnt lgkmcnt(0)
	v_add_nc_u32_e32 v8, v11, v10
	s_barrier
	buffer_gl0_inv
	v_lshl_add_u32 v37, v8, 2, 0x280
	s_and_saveexec_b32 s8, s3
	s_cbranch_execz .LBB6_31
; %bb.30:
	ds_load_b32 v6, v37
.LBB6_31:
	s_or_b32 exec_lo, exec_lo, s8
	s_waitcnt lgkmcnt(0)
	v_add_nc_u32_e32 v2, v6, v2
	v_add_nc_u32_e32 v30, 0x447c, v4
	s_barrier
	buffer_gl0_inv
	v_add_nc_u32_e32 v3, v2, v3
	s_lshl_b32 s38, s24, 20
	s_mov_b32 s37, 0
	s_delay_alu instid0(VALU_DEP_1) | instskip(NEXT) | instid1(VALU_DEP_1)
	v_add_nc_u32_e32 v0, v3, v0
	v_add_nc_u32_e32 v1, v0, v1
	ds_store_2addr_b32 v36, v2, v3 offset1:1
	ds_store_2addr_b32 v36, v0, v1 offset0:2 offset1:3
	s_waitcnt lgkmcnt(0)
	s_barrier
	buffer_gl0_inv
	ds_load_b32 v0, v32
	ds_load_b32 v1, v33 offset:4096
	ds_load_b32 v2, v34 offset:8192
	;; [unrolled: 1-line block ×3, first 2 shown]
	s_waitcnt lgkmcnt(3)
	flat_store_b32 v[12:13], v0 dlc
	s_waitcnt_vscnt null, 0x0
	s_waitcnt lgkmcnt(3)
	flat_store_b32 v[14:15], v1 dlc
	s_waitcnt_vscnt null, 0x0
	;; [unrolled: 3-line block ×4, first 2 shown]
	v_mov_b32_e32 v2, v30
	s_waitcnt lgkmcnt(0)
	s_barrier
	buffer_gl0_inv
	ds_load_b32 v0, v5 offset:12
	v_lshlrev_b32_e32 v1, 20, v40
	v_mov_b32_e32 v3, v40
	s_set_inst_prefetch_distance 0x1
	s_branch .LBB6_33
	.p2align	6
.LBB6_32:                               ;   in Loop: Header=BB6_33 Depth=1
	s_or_b32 exec_lo, exec_lo, s8
	v_add_nc_u32_e32 v3, s24, v3
	v_add_nc_u32_e32 v2, s25, v2
	;; [unrolled: 1-line block ×3, first 2 shown]
	s_delay_alu instid0(VALU_DEP_3) | instskip(SKIP_1) | instid1(SALU_CYCLE_1)
	v_cmp_lt_u32_e32 vcc_lo, 0xfff, v3
	s_or_b32 s37, vcc_lo, s37
	s_and_not1_b32 exec_lo, exec_lo, s37
	s_cbranch_execz .LBB6_37
.LBB6_33:                               ; =>This Inner Loop Header: Depth=1
	v_mov_b32_e32 v4, 0
	s_mov_b32 s8, exec_lo
	v_cmpx_ne_u32_e32 0, v3
	s_cbranch_execz .LBB6_35
; %bb.34:                               ;   in Loop: Header=BB6_33 Depth=1
	ds_load_b32 v4, v2
.LBB6_35:                               ;   in Loop: Header=BB6_33 Depth=1
	s_or_b32 exec_lo, exec_lo, s8
	ds_load_b32 v6, v2 offset:4
	s_waitcnt lgkmcnt(1)
	v_cmp_gt_i32_e32 vcc_lo, s26, v4
	s_waitcnt lgkmcnt(0)
	v_cmp_le_i32_e64 s8, s26, v6
	s_delay_alu instid0(VALU_DEP_1) | instskip(NEXT) | instid1(SALU_CYCLE_1)
	s_and_b32 s39, vcc_lo, s8
	s_and_saveexec_b32 s8, s39
	s_cbranch_execz .LBB6_32
; %bb.36:                               ;   in Loop: Header=BB6_33 Depth=1
	v_sub_nc_u32_e32 v7, s26, v4
	v_sub_nc_u32_e32 v8, v6, v4
	v_or_b32_e32 v0, v0, v1
	ds_store_b64 v5, v[7:8]
	ds_store_b32 v5, v0 offset:12
	s_branch .LBB6_32
.LBB6_37:
	s_set_inst_prefetch_distance 0x2
	s_or_b32 exec_lo, exec_lo, s37
	s_and_saveexec_b32 s8, s2
	s_cbranch_execz .LBB6_39
; %bb.38:
	v_mov_b32_e32 v0, 0
	ds_load_b32 v1, v0 offset:4
	s_waitcnt lgkmcnt(0)
	ds_store_b32 v0, v1 offset:8
.LBB6_39:
	s_or_b32 exec_lo, exec_lo, s8
	v_mov_b32_e32 v0, 0
	s_waitcnt lgkmcnt(0)
	s_barrier
	buffer_gl0_inv
	s_mov_b32 s37, 0
	ds_load_b64 v[26:27], v0
	s_waitcnt lgkmcnt(0)
	v_cmp_eq_u32_e32 vcc_lo, v27, v26
	s_cbranch_vccnz .LBB6_180
; %bb.40:
	v_dual_mov_b32 v1, v31 :: v_dual_mov_b32 v2, v40
	s_mov_b32 s8, 0
.LBB6_41:                               ; =>This Inner Loop Header: Depth=1
	s_delay_alu instid0(VALU_DEP_1) | instskip(SKIP_4) | instid1(SALU_CYCLE_1)
	v_add_nc_u32_e32 v2, s24, v2
	ds_store_b32 v1, v0
	v_add_nc_u32_e32 v1, s25, v1
	v_cmp_lt_u32_e32 vcc_lo, 0xfff, v2
	s_or_b32 s8, vcc_lo, s8
	s_and_not1_b32 exec_lo, exec_lo, s8
	s_cbranch_execnz .LBB6_41
; %bb.42:
	s_or_b32 exec_lo, exec_lo, s8
	s_and_saveexec_b32 s8, s2
	s_cbranch_execz .LBB6_44
; %bb.43:
	v_mov_b32_e32 v0, 0
	ds_store_b32 v0, v0 offset:128
.LBB6_44:
	s_or_b32 exec_lo, exec_lo, s8
	v_dual_mov_b32 v0, 0 :: v_dual_mov_b32 v27, v40
	s_waitcnt lgkmcnt(0)
	s_barrier
	buffer_gl0_inv
	ds_load_b32 v38, v0 offset:12
	s_and_saveexec_b32 s8, s7
	s_cbranch_execz .LBB6_80
; %bb.45:
	v_dual_mov_b32 v39, 1 :: v_dual_mov_b32 v8, v20
	v_mov_b32_e32 v9, v21
	v_dual_mov_b32 v27, v40 :: v_dual_mov_b32 v28, v41
	s_mov_b32 s37, 0
	s_branch .LBB6_47
.LBB6_46:                               ;   in Loop: Header=BB6_47 Depth=1
	s_or_b32 exec_lo, exec_lo, s38
	v_add_nc_u32_e32 v27, s25, v27
	s_delay_alu instid0(VALU_DEP_1) | instskip(SKIP_1) | instid1(VALU_DEP_2)
	v_ashrrev_i32_e32 v28, 31, v27
	v_add_co_u32 v8, vcc_lo, s31, v27
	v_add_co_ci_u32_e32 v9, vcc_lo, 0, v28, vcc_lo
	s_delay_alu instid0(VALU_DEP_1) | instskip(SKIP_1) | instid1(SALU_CYCLE_1)
	v_cmp_le_u64_e32 vcc_lo, s[16:17], v[8:9]
	s_or_b32 s37, vcc_lo, s37
	s_and_not1_b32 exec_lo, exec_lo, s37
	s_cbranch_execz .LBB6_79
.LBB6_47:                               ; =>This Inner Loop Header: Depth=1
	s_delay_alu instid0(VALU_DEP_1) | instskip(SKIP_1) | instid1(VALU_DEP_1)
	v_lshlrev_b64 v[10:11], 4, v[27:28]
	s_mov_b32 s38, exec_lo
	v_add_co_u32 v0, vcc_lo, s9, v10
	s_delay_alu instid0(VALU_DEP_2)
	v_add_co_ci_u32_e32 v1, vcc_lo, s30, v11, vcc_lo
	v_add_co_u32 v4, vcc_lo, s33, v10
	v_add_co_ci_u32_e32 v5, vcc_lo, s34, v11, vcc_lo
	s_clause 0x1
	global_load_b128 v[0:3], v[0:1], off
	global_load_b128 v[4:7], v[4:5], off
	s_waitcnt vmcnt(1)
	v_cmp_gt_i32_e32 vcc_lo, 0, v0
	v_cndmask_b32_e64 v28, 0x7fffffff, 0, vcc_lo
	s_delay_alu instid0(VALU_DEP_1) | instskip(NEXT) | instid1(VALU_DEP_1)
	v_xor_b32_e32 v0, v28, v0
	v_and_b32_e32 v28, 0xfff00000, v0
	s_waitcnt lgkmcnt(0)
	s_delay_alu instid0(VALU_DEP_1)
	v_cmpx_eq_u32_e64 v28, v38
	s_cbranch_execz .LBB6_49
; %bb.48:                               ;   in Loop: Header=BB6_47 Depth=1
	v_lshrrev_b32_e32 v0, 6, v0
	s_delay_alu instid0(VALU_DEP_1)
	v_and_b32_e32 v0, 0x3ffc, v0
	ds_add_u32 v0, v39 offset:17536
.LBB6_49:                               ;   in Loop: Header=BB6_47 Depth=1
	s_or_b32 exec_lo, exec_lo, s38
	v_cmp_gt_i32_e32 vcc_lo, 0, v1
	s_mov_b32 s38, exec_lo
	v_cndmask_b32_e64 v0, 0x7fffffff, 0, vcc_lo
	s_delay_alu instid0(VALU_DEP_1) | instskip(NEXT) | instid1(VALU_DEP_1)
	v_xor_b32_e32 v0, v0, v1
	v_and_b32_e32 v1, 0xfff00000, v0
	s_delay_alu instid0(VALU_DEP_1)
	v_cmpx_eq_u32_e64 v1, v38
	s_cbranch_execz .LBB6_51
; %bb.50:                               ;   in Loop: Header=BB6_47 Depth=1
	v_lshrrev_b32_e32 v0, 6, v0
	s_delay_alu instid0(VALU_DEP_1)
	v_and_b32_e32 v0, 0x3ffc, v0
	ds_add_u32 v0, v39 offset:17536
.LBB6_51:                               ;   in Loop: Header=BB6_47 Depth=1
	s_or_b32 exec_lo, exec_lo, s38
	v_cmp_gt_i32_e32 vcc_lo, 0, v2
	s_mov_b32 s38, exec_lo
	v_cndmask_b32_e64 v0, 0x7fffffff, 0, vcc_lo
	s_delay_alu instid0(VALU_DEP_1) | instskip(NEXT) | instid1(VALU_DEP_1)
	v_xor_b32_e32 v0, v0, v2
	v_and_b32_e32 v1, 0xfff00000, v0
	;; [unrolled: 16-line block ×3, first 2 shown]
	s_delay_alu instid0(VALU_DEP_1)
	v_cmpx_eq_u32_e64 v1, v38
	s_cbranch_execz .LBB6_55
; %bb.54:                               ;   in Loop: Header=BB6_47 Depth=1
	v_lshrrev_b32_e32 v0, 6, v0
	s_delay_alu instid0(VALU_DEP_1)
	v_and_b32_e32 v0, 0x3ffc, v0
	ds_add_u32 v0, v39 offset:17536
.LBB6_55:                               ;   in Loop: Header=BB6_47 Depth=1
	s_or_b32 exec_lo, exec_lo, s38
	v_lshlrev_b64 v[0:1], 4, v[8:9]
	v_add_co_u32 v2, vcc_lo, s35, v10
	v_add_co_ci_u32_e32 v3, vcc_lo, s36, v11, vcc_lo
	s_mov_b32 s38, exec_lo
	s_delay_alu instid0(VALU_DEP_3) | instskip(NEXT) | instid1(VALU_DEP_4)
	v_add_co_u32 v0, vcc_lo, s9, v0
	v_add_co_ci_u32_e32 v1, vcc_lo, s30, v1, vcc_lo
	s_waitcnt vmcnt(0)
	v_cmp_gt_i32_e32 vcc_lo, 0, v4
	s_clause 0x1
	global_load_b128 v[8:11], v[2:3], off
	global_load_b128 v[0:3], v[0:1], off
	v_cndmask_b32_e64 v28, 0x7fffffff, 0, vcc_lo
	s_delay_alu instid0(VALU_DEP_1) | instskip(NEXT) | instid1(VALU_DEP_1)
	v_xor_b32_e32 v4, v28, v4
	v_and_b32_e32 v28, 0xfff00000, v4
	s_delay_alu instid0(VALU_DEP_1)
	v_cmpx_eq_u32_e64 v28, v38
	s_cbranch_execz .LBB6_57
; %bb.56:                               ;   in Loop: Header=BB6_47 Depth=1
	v_lshrrev_b32_e32 v4, 6, v4
	s_delay_alu instid0(VALU_DEP_1)
	v_and_b32_e32 v4, 0x3ffc, v4
	ds_add_u32 v4, v39 offset:17536
.LBB6_57:                               ;   in Loop: Header=BB6_47 Depth=1
	s_or_b32 exec_lo, exec_lo, s38
	v_cmp_gt_i32_e32 vcc_lo, 0, v5
	s_mov_b32 s38, exec_lo
	v_cndmask_b32_e64 v4, 0x7fffffff, 0, vcc_lo
	s_delay_alu instid0(VALU_DEP_1) | instskip(NEXT) | instid1(VALU_DEP_1)
	v_xor_b32_e32 v4, v4, v5
	v_and_b32_e32 v5, 0xfff00000, v4
	s_delay_alu instid0(VALU_DEP_1)
	v_cmpx_eq_u32_e64 v5, v38
	s_cbranch_execz .LBB6_59
; %bb.58:                               ;   in Loop: Header=BB6_47 Depth=1
	v_lshrrev_b32_e32 v4, 6, v4
	s_delay_alu instid0(VALU_DEP_1)
	v_and_b32_e32 v4, 0x3ffc, v4
	ds_add_u32 v4, v39 offset:17536
.LBB6_59:                               ;   in Loop: Header=BB6_47 Depth=1
	s_or_b32 exec_lo, exec_lo, s38
	v_cmp_gt_i32_e32 vcc_lo, 0, v6
	s_mov_b32 s38, exec_lo
	;; [unrolled: 16-line block ×3, first 2 shown]
	v_cndmask_b32_e64 v4, 0x7fffffff, 0, vcc_lo
	s_delay_alu instid0(VALU_DEP_1) | instskip(NEXT) | instid1(VALU_DEP_1)
	v_xor_b32_e32 v4, v4, v7
	v_and_b32_e32 v5, 0xfff00000, v4
	s_delay_alu instid0(VALU_DEP_1)
	v_cmpx_eq_u32_e64 v5, v38
	s_cbranch_execz .LBB6_63
; %bb.62:                               ;   in Loop: Header=BB6_47 Depth=1
	v_lshrrev_b32_e32 v4, 6, v4
	s_delay_alu instid0(VALU_DEP_1)
	v_and_b32_e32 v4, 0x3ffc, v4
	ds_add_u32 v4, v39 offset:17536
.LBB6_63:                               ;   in Loop: Header=BB6_47 Depth=1
	s_or_b32 exec_lo, exec_lo, s38
	s_waitcnt vmcnt(1)
	v_cmp_gt_i32_e32 vcc_lo, 0, v8
	s_mov_b32 s38, exec_lo
	v_cndmask_b32_e64 v4, 0x7fffffff, 0, vcc_lo
	s_delay_alu instid0(VALU_DEP_1) | instskip(NEXT) | instid1(VALU_DEP_1)
	v_xor_b32_e32 v4, v4, v8
	v_and_b32_e32 v5, 0xfff00000, v4
	s_delay_alu instid0(VALU_DEP_1)
	v_cmpx_eq_u32_e64 v5, v38
	s_cbranch_execz .LBB6_65
; %bb.64:                               ;   in Loop: Header=BB6_47 Depth=1
	v_lshrrev_b32_e32 v4, 6, v4
	s_delay_alu instid0(VALU_DEP_1)
	v_and_b32_e32 v4, 0x3ffc, v4
	ds_add_u32 v4, v39 offset:17536
.LBB6_65:                               ;   in Loop: Header=BB6_47 Depth=1
	s_or_b32 exec_lo, exec_lo, s38
	v_cmp_gt_i32_e32 vcc_lo, 0, v9
	s_mov_b32 s38, exec_lo
	v_cndmask_b32_e64 v4, 0x7fffffff, 0, vcc_lo
	s_delay_alu instid0(VALU_DEP_1) | instskip(NEXT) | instid1(VALU_DEP_1)
	v_xor_b32_e32 v4, v4, v9
	v_and_b32_e32 v5, 0xfff00000, v4
	s_delay_alu instid0(VALU_DEP_1)
	v_cmpx_eq_u32_e64 v5, v38
	s_cbranch_execz .LBB6_67
; %bb.66:                               ;   in Loop: Header=BB6_47 Depth=1
	v_lshrrev_b32_e32 v4, 6, v4
	s_delay_alu instid0(VALU_DEP_1)
	v_and_b32_e32 v4, 0x3ffc, v4
	ds_add_u32 v4, v39 offset:17536
.LBB6_67:                               ;   in Loop: Header=BB6_47 Depth=1
	s_or_b32 exec_lo, exec_lo, s38
	;; [unrolled: 16-line block ×4, first 2 shown]
	s_waitcnt vmcnt(0)
	v_cmp_gt_i32_e32 vcc_lo, 0, v0
	s_mov_b32 s38, exec_lo
	v_cndmask_b32_e64 v4, 0x7fffffff, 0, vcc_lo
	s_delay_alu instid0(VALU_DEP_1) | instskip(NEXT) | instid1(VALU_DEP_1)
	v_xor_b32_e32 v0, v4, v0
	v_and_b32_e32 v4, 0xfff00000, v0
	s_delay_alu instid0(VALU_DEP_1)
	v_cmpx_eq_u32_e64 v4, v38
	s_cbranch_execz .LBB6_73
; %bb.72:                               ;   in Loop: Header=BB6_47 Depth=1
	v_lshrrev_b32_e32 v0, 6, v0
	s_delay_alu instid0(VALU_DEP_1)
	v_and_b32_e32 v0, 0x3ffc, v0
	ds_add_u32 v0, v39 offset:17536
.LBB6_73:                               ;   in Loop: Header=BB6_47 Depth=1
	s_or_b32 exec_lo, exec_lo, s38
	v_cmp_gt_i32_e32 vcc_lo, 0, v1
	s_mov_b32 s38, exec_lo
	v_cndmask_b32_e64 v0, 0x7fffffff, 0, vcc_lo
	s_delay_alu instid0(VALU_DEP_1) | instskip(NEXT) | instid1(VALU_DEP_1)
	v_xor_b32_e32 v0, v0, v1
	v_and_b32_e32 v1, 0xfff00000, v0
	s_delay_alu instid0(VALU_DEP_1)
	v_cmpx_eq_u32_e64 v1, v38
	s_cbranch_execz .LBB6_75
; %bb.74:                               ;   in Loop: Header=BB6_47 Depth=1
	v_lshrrev_b32_e32 v0, 6, v0
	s_delay_alu instid0(VALU_DEP_1)
	v_and_b32_e32 v0, 0x3ffc, v0
	ds_add_u32 v0, v39 offset:17536
.LBB6_75:                               ;   in Loop: Header=BB6_47 Depth=1
	s_or_b32 exec_lo, exec_lo, s38
	;; [unrolled: 16-line block ×3, first 2 shown]
	v_cmp_gt_i32_e32 vcc_lo, 0, v3
	s_mov_b32 s38, exec_lo
	v_cndmask_b32_e64 v0, 0x7fffffff, 0, vcc_lo
	s_delay_alu instid0(VALU_DEP_1) | instskip(NEXT) | instid1(VALU_DEP_1)
	v_xor_b32_e32 v0, v0, v3
	v_and_b32_e32 v1, 0xfff00000, v0
	s_delay_alu instid0(VALU_DEP_1)
	v_cmpx_eq_u32_e64 v1, v38
	s_cbranch_execz .LBB6_46
; %bb.78:                               ;   in Loop: Header=BB6_47 Depth=1
	v_lshrrev_b32_e32 v0, 6, v0
	s_delay_alu instid0(VALU_DEP_1)
	v_and_b32_e32 v0, 0x3ffc, v0
	ds_add_u32 v0, v39 offset:17536
	s_branch .LBB6_46
.LBB6_79:
	s_or_b32 exec_lo, exec_lo, s37
.LBB6_80:
	s_delay_alu instid0(SALU_CYCLE_1) | instskip(NEXT) | instid1(SALU_CYCLE_1)
	s_or_b32 exec_lo, exec_lo, s8
	s_mov_b32 s8, exec_lo
	v_cmpx_gt_i32_e64 s16, v27
	s_cbranch_execz .LBB6_91
; %bb.81:
	v_mov_b32_e32 v4, 1
	s_mov_b32 s37, 0
	s_branch .LBB6_83
.LBB6_82:                               ;   in Loop: Header=BB6_83 Depth=1
	s_or_b32 exec_lo, exec_lo, s38
	v_add_nc_u32_e32 v27, s24, v27
	s_delay_alu instid0(VALU_DEP_1) | instskip(SKIP_1) | instid1(SALU_CYCLE_1)
	v_cmp_le_i32_e32 vcc_lo, s16, v27
	s_or_b32 s37, vcc_lo, s37
	s_and_not1_b32 exec_lo, exec_lo, s37
	s_cbranch_execz .LBB6_91
.LBB6_83:                               ; =>This Inner Loop Header: Depth=1
	v_ashrrev_i32_e32 v28, 31, v27
	s_mov_b32 s38, exec_lo
	s_delay_alu instid0(VALU_DEP_1) | instskip(NEXT) | instid1(VALU_DEP_1)
	v_lshlrev_b64 v[0:1], 4, v[27:28]
	v_add_co_u32 v0, vcc_lo, s9, v0
	s_delay_alu instid0(VALU_DEP_2) | instskip(SKIP_4) | instid1(VALU_DEP_1)
	v_add_co_ci_u32_e32 v1, vcc_lo, s30, v1, vcc_lo
	global_load_b128 v[0:3], v[0:1], off
	s_waitcnt vmcnt(0)
	v_cmp_gt_i32_e32 vcc_lo, 0, v0
	v_cndmask_b32_e64 v5, 0x7fffffff, 0, vcc_lo
	v_xor_b32_e32 v0, v5, v0
	s_delay_alu instid0(VALU_DEP_1) | instskip(SKIP_1) | instid1(VALU_DEP_1)
	v_and_b32_e32 v5, 0xfff00000, v0
	s_waitcnt lgkmcnt(0)
	v_cmpx_eq_u32_e64 v5, v38
	s_cbranch_execz .LBB6_85
; %bb.84:                               ;   in Loop: Header=BB6_83 Depth=1
	v_lshrrev_b32_e32 v0, 6, v0
	s_delay_alu instid0(VALU_DEP_1)
	v_and_b32_e32 v0, 0x3ffc, v0
	ds_add_u32 v0, v4 offset:17536
.LBB6_85:                               ;   in Loop: Header=BB6_83 Depth=1
	s_or_b32 exec_lo, exec_lo, s38
	v_cmp_gt_i32_e32 vcc_lo, 0, v1
	s_mov_b32 s38, exec_lo
	v_cndmask_b32_e64 v0, 0x7fffffff, 0, vcc_lo
	s_delay_alu instid0(VALU_DEP_1) | instskip(NEXT) | instid1(VALU_DEP_1)
	v_xor_b32_e32 v0, v0, v1
	v_and_b32_e32 v1, 0xfff00000, v0
	s_delay_alu instid0(VALU_DEP_1)
	v_cmpx_eq_u32_e64 v1, v38
	s_cbranch_execz .LBB6_87
; %bb.86:                               ;   in Loop: Header=BB6_83 Depth=1
	v_lshrrev_b32_e32 v0, 6, v0
	s_delay_alu instid0(VALU_DEP_1)
	v_and_b32_e32 v0, 0x3ffc, v0
	ds_add_u32 v0, v4 offset:17536
.LBB6_87:                               ;   in Loop: Header=BB6_83 Depth=1
	s_or_b32 exec_lo, exec_lo, s38
	v_cmp_gt_i32_e32 vcc_lo, 0, v2
	s_mov_b32 s38, exec_lo
	v_cndmask_b32_e64 v0, 0x7fffffff, 0, vcc_lo
	s_delay_alu instid0(VALU_DEP_1) | instskip(NEXT) | instid1(VALU_DEP_1)
	v_xor_b32_e32 v0, v0, v2
	v_and_b32_e32 v1, 0xfff00000, v0
	s_delay_alu instid0(VALU_DEP_1)
	;; [unrolled: 16-line block ×3, first 2 shown]
	v_cmpx_eq_u32_e64 v1, v38
	s_cbranch_execz .LBB6_82
; %bb.90:                               ;   in Loop: Header=BB6_83 Depth=1
	v_lshrrev_b32_e32 v0, 6, v0
	s_delay_alu instid0(VALU_DEP_1)
	v_and_b32_e32 v0, 0x3ffc, v0
	ds_add_u32 v0, v4 offset:17536
	s_branch .LBB6_82
.LBB6_91:
	s_or_b32 exec_lo, exec_lo, s8
	s_and_saveexec_b32 s8, s4
	s_cbranch_execz .LBB6_94
; %bb.92:
	global_load_b32 v0, v[22:23], off
	s_waitcnt vmcnt(0)
	v_cmp_gt_i32_e32 vcc_lo, 0, v0
	v_cndmask_b32_e64 v1, 0x7fffffff, 0, vcc_lo
	s_delay_alu instid0(VALU_DEP_1) | instskip(NEXT) | instid1(VALU_DEP_1)
	v_xor_b32_e32 v0, v1, v0
	v_and_b32_e32 v1, 0xfff00000, v0
	s_waitcnt lgkmcnt(0)
	s_delay_alu instid0(VALU_DEP_1)
	v_cmp_eq_u32_e32 vcc_lo, v1, v38
	s_and_b32 exec_lo, exec_lo, vcc_lo
	s_cbranch_execz .LBB6_94
; %bb.93:
	v_lshrrev_b32_e32 v0, 6, v0
	s_delay_alu instid0(VALU_DEP_1)
	v_dual_mov_b32 v1, 1 :: v_dual_and_b32 v0, 0x3ffc, v0
	ds_add_u32 v0, v1 offset:17536
.LBB6_94:
	s_or_b32 exec_lo, exec_lo, s8
	s_and_saveexec_b32 s8, s5
	s_cbranch_execz .LBB6_97
; %bb.95:
	global_load_b32 v0, v[24:25], off
	s_waitcnt vmcnt(0)
	v_cmp_gt_i32_e32 vcc_lo, 0, v0
	v_cndmask_b32_e64 v1, 0x7fffffff, 0, vcc_lo
	s_delay_alu instid0(VALU_DEP_1) | instskip(NEXT) | instid1(VALU_DEP_1)
	v_xor_b32_e32 v0, v1, v0
	v_and_b32_e32 v1, 0xfff00000, v0
	s_waitcnt lgkmcnt(0)
	s_delay_alu instid0(VALU_DEP_1)
	v_cmp_eq_u32_e32 vcc_lo, v1, v38
	s_and_b32 exec_lo, exec_lo, vcc_lo
	s_cbranch_execz .LBB6_97
; %bb.96:
	v_lshrrev_b32_e32 v0, 6, v0
	s_delay_alu instid0(VALU_DEP_1)
	v_dual_mov_b32 v1, 1 :: v_dual_and_b32 v0, 0x3ffc, v0
	ds_add_u32 v0, v1 offset:17536
.LBB6_97:
	s_or_b32 exec_lo, exec_lo, s8
	s_waitcnt lgkmcnt(0)
	s_barrier
	buffer_gl0_inv
	flat_load_b32 v0, v[12:13] glc dlc
	s_waitcnt vmcnt(0)
	flat_load_b32 v1, v[14:15] glc dlc
	s_waitcnt vmcnt(0)
	;; [unrolled: 2-line block ×3, first 2 shown]
	flat_load_b32 v3, v[18:19] glc dlc
	s_waitcnt vmcnt(0) lgkmcnt(3)
	ds_store_b32 v32, v0
	s_waitcnt lgkmcnt(3)
	ds_store_b32 v33, v1 offset:4096
	s_waitcnt lgkmcnt(3)
	ds_store_b32 v34, v2 offset:8192
	s_waitcnt lgkmcnt(3)
	ds_store_b32 v35, v3 offset:12288
	s_waitcnt lgkmcnt(0)
	s_barrier
	buffer_gl0_inv
	ds_load_2addr_b32 v[2:3], v36 offset1:1
	ds_load_2addr_b32 v[0:1], v36 offset0:2 offset1:3
	s_waitcnt lgkmcnt(0)
	s_barrier
	buffer_gl0_inv
	v_add_nc_u32_e32 v4, v3, v2
	s_delay_alu instid0(VALU_DEP_1)
	v_add3_u32 v4, v4, v0, v1
	ds_store_b32 v32, v4
	s_waitcnt lgkmcnt(0)
	s_barrier
	buffer_gl0_inv
	s_and_saveexec_b32 s8, s6
	s_cbranch_execz .LBB6_99
; %bb.98:
	ds_load_2addr_b32 v[5:6], v29 offset1:1
	ds_load_2addr_b32 v[7:8], v29 offset0:2 offset1:3
	ds_load_2addr_b32 v[9:10], v29 offset0:4 offset1:5
	;; [unrolled: 1-line block ×15, first 2 shown]
	v_mbcnt_lo_u32_b32 v65, -1, 0
	s_delay_alu instid0(VALU_DEP_1) | instskip(SKIP_3) | instid1(VALU_DEP_1)
	v_bfe_i32 v68, v65, 4, 1
	s_waitcnt lgkmcnt(15)
	v_add_nc_u32_e32 v11, v6, v5
	s_waitcnt lgkmcnt(14)
	v_add3_u32 v11, v11, v7, v8
	s_waitcnt lgkmcnt(13)
	s_delay_alu instid0(VALU_DEP_1) | instskip(SKIP_1) | instid1(VALU_DEP_1)
	v_add3_u32 v11, v11, v9, v10
	s_waitcnt lgkmcnt(12)
	v_add3_u32 v11, v11, v27, v28
	s_waitcnt lgkmcnt(11)
	s_delay_alu instid0(VALU_DEP_1) | instskip(SKIP_1) | instid1(VALU_DEP_1)
	v_add3_u32 v11, v11, v38, v39
	;; [unrolled: 5-line block ×7, first 2 shown]
	s_waitcnt lgkmcnt(0)
	v_add3_u32 v11, v11, v63, v64
	s_delay_alu instid0(VALU_DEP_1) | instskip(SKIP_1) | instid1(VALU_DEP_1)
	v_mov_b32_dpp v67, v11 row_shr:1 row_mask:0xf bank_mask:0xf
	v_and_b32_e32 v66, 15, v65
	v_cmp_ne_u32_e32 vcc_lo, 0, v66
	s_delay_alu instid0(VALU_DEP_3) | instskip(SKIP_1) | instid1(VALU_DEP_2)
	v_cndmask_b32_e32 v67, 0, v67, vcc_lo
	v_cmp_lt_u32_e32 vcc_lo, 1, v66
	v_add_nc_u32_e32 v11, v67, v11
	s_delay_alu instid0(VALU_DEP_1) | instskip(NEXT) | instid1(VALU_DEP_1)
	v_mov_b32_dpp v67, v11 row_shr:2 row_mask:0xf bank_mask:0xf
	v_cndmask_b32_e32 v67, 0, v67, vcc_lo
	v_cmp_lt_u32_e32 vcc_lo, 3, v66
	s_delay_alu instid0(VALU_DEP_2) | instskip(NEXT) | instid1(VALU_DEP_1)
	v_add_nc_u32_e32 v11, v11, v67
	v_mov_b32_dpp v67, v11 row_shr:4 row_mask:0xf bank_mask:0xf
	s_delay_alu instid0(VALU_DEP_1) | instskip(SKIP_1) | instid1(VALU_DEP_2)
	v_cndmask_b32_e32 v67, 0, v67, vcc_lo
	v_cmp_lt_u32_e32 vcc_lo, 7, v66
	v_add_nc_u32_e32 v11, v11, v67
	s_delay_alu instid0(VALU_DEP_1) | instskip(NEXT) | instid1(VALU_DEP_1)
	v_mov_b32_dpp v67, v11 row_shr:8 row_mask:0xf bank_mask:0xf
	v_dual_cndmask_b32 v66, 0, v67 :: v_dual_add_nc_u32 v67, -1, v65
	s_delay_alu instid0(VALU_DEP_1) | instskip(NEXT) | instid1(VALU_DEP_2)
	v_add_nc_u32_e32 v11, v11, v66
	v_cmp_gt_i32_e32 vcc_lo, 0, v67
	ds_swizzle_b32 v66, v11 offset:swizzle(BROADCAST,32,15)
	v_cndmask_b32_e32 v65, v67, v65, vcc_lo
	s_delay_alu instid0(VALU_DEP_1) | instskip(SKIP_2) | instid1(VALU_DEP_1)
	v_lshlrev_b32_e32 v65, 2, v65
	s_waitcnt lgkmcnt(0)
	v_and_b32_e32 v66, v68, v66
	v_add_nc_u32_e32 v11, v11, v66
	ds_bpermute_b32 v11, v65, v11
	s_waitcnt lgkmcnt(0)
	v_add_nc_u32_e32 v5, v11, v5
	s_delay_alu instid0(VALU_DEP_1) | instskip(NEXT) | instid1(VALU_DEP_1)
	v_cndmask_b32_e64 v4, v5, v4, s2
	v_add_nc_u32_e32 v5, v4, v6
	s_delay_alu instid0(VALU_DEP_1) | instskip(NEXT) | instid1(VALU_DEP_1)
	v_add_nc_u32_e32 v6, v5, v7
	v_add_nc_u32_e32 v7, v6, v8
	s_delay_alu instid0(VALU_DEP_1) | instskip(NEXT) | instid1(VALU_DEP_1)
	v_add_nc_u32_e32 v8, v7, v9
	;; [unrolled: 3-line block ×3, first 2 shown]
	v_add_nc_u32_e32 v11, v10, v28
	ds_store_2addr_b32 v29, v4, v5 offset1:1
	ds_store_2addr_b32 v29, v6, v7 offset0:2 offset1:3
	ds_store_2addr_b32 v29, v8, v9 offset0:4 offset1:5
	;; [unrolled: 1-line block ×3, first 2 shown]
	v_add_nc_u32_e32 v27, v11, v38
	s_delay_alu instid0(VALU_DEP_1) | instskip(NEXT) | instid1(VALU_DEP_1)
	v_add_nc_u32_e32 v28, v27, v39
	v_add_nc_u32_e32 v38, v28, v43
	s_delay_alu instid0(VALU_DEP_1) | instskip(NEXT) | instid1(VALU_DEP_1)
	v_add_nc_u32_e32 v39, v38, v44
	;; [unrolled: 3-line block ×3, first 2 shown]
	v_add_nc_u32_e32 v45, v44, v47
	s_delay_alu instid0(VALU_DEP_1)
	v_add_nc_u32_e32 v46, v45, v48
	ds_store_2addr_b32 v29, v27, v28 offset0:8 offset1:9
	ds_store_2addr_b32 v29, v38, v39 offset0:10 offset1:11
	;; [unrolled: 1-line block ×4, first 2 shown]
	v_add_nc_u32_e32 v47, v46, v49
	s_delay_alu instid0(VALU_DEP_1) | instskip(NEXT) | instid1(VALU_DEP_1)
	v_add_nc_u32_e32 v48, v47, v50
	v_add_nc_u32_e32 v49, v48, v51
	s_delay_alu instid0(VALU_DEP_1) | instskip(NEXT) | instid1(VALU_DEP_1)
	v_add_nc_u32_e32 v50, v49, v52
	;; [unrolled: 3-line block ×7, first 2 shown]
	v_add_nc_u32_e32 v4, v60, v63
	s_delay_alu instid0(VALU_DEP_1)
	v_add_nc_u32_e32 v5, v4, v64
	ds_store_2addr_b32 v29, v47, v48 offset0:16 offset1:17
	ds_store_2addr_b32 v29, v49, v50 offset0:18 offset1:19
	;; [unrolled: 1-line block ×8, first 2 shown]
.LBB6_99:
	s_or_b32 exec_lo, exec_lo, s8
	v_dual_mov_b32 v4, 0 :: v_dual_mov_b32 v5, 0
	s_waitcnt lgkmcnt(0)
	s_barrier
	buffer_gl0_inv
	s_and_saveexec_b32 s8, s3
	s_cbranch_execz .LBB6_101
; %bb.100:
	ds_load_b32 v5, v37
.LBB6_101:
	s_or_b32 exec_lo, exec_lo, s8
	s_waitcnt lgkmcnt(0)
	v_add_nc_u32_e32 v2, v5, v2
	s_barrier
	buffer_gl0_inv
	s_lshl_b32 s38, s24, 8
	v_add_nc_u32_e32 v3, v2, v3
	s_mov_b32 s37, 0
	s_delay_alu instid0(VALU_DEP_1) | instskip(NEXT) | instid1(VALU_DEP_1)
	v_add_nc_u32_e32 v0, v3, v0
	v_add_nc_u32_e32 v1, v0, v1
	ds_store_2addr_b32 v36, v2, v3 offset1:1
	ds_store_2addr_b32 v36, v0, v1 offset0:2 offset1:3
	s_waitcnt lgkmcnt(0)
	s_barrier
	buffer_gl0_inv
	ds_load_b32 v0, v32
	ds_load_b32 v1, v33 offset:4096
	ds_load_b32 v2, v34 offset:8192
	;; [unrolled: 1-line block ×3, first 2 shown]
	s_waitcnt lgkmcnt(3)
	flat_store_b32 v[12:13], v0 dlc
	s_waitcnt_vscnt null, 0x0
	s_waitcnt lgkmcnt(3)
	flat_store_b32 v[14:15], v1 dlc
	s_waitcnt_vscnt null, 0x0
	;; [unrolled: 3-line block ×4, first 2 shown]
	v_mov_b32_e32 v2, v30
	s_waitcnt lgkmcnt(0)
	s_barrier
	buffer_gl0_inv
	ds_load_b32 v0, v4 offset:12
	v_lshlrev_b32_e32 v1, 8, v40
	v_mov_b32_e32 v3, v40
	s_set_inst_prefetch_distance 0x1
	s_branch .LBB6_103
	.p2align	6
.LBB6_102:                              ;   in Loop: Header=BB6_103 Depth=1
	s_or_b32 exec_lo, exec_lo, s8
	v_add_nc_u32_e32 v3, s24, v3
	v_add_nc_u32_e32 v1, s38, v1
	;; [unrolled: 1-line block ×3, first 2 shown]
	s_delay_alu instid0(VALU_DEP_3) | instskip(SKIP_1) | instid1(SALU_CYCLE_1)
	v_cmp_lt_u32_e32 vcc_lo, 0xfff, v3
	s_or_b32 s37, vcc_lo, s37
	s_and_not1_b32 exec_lo, exec_lo, s37
	s_cbranch_execz .LBB6_107
.LBB6_103:                              ; =>This Inner Loop Header: Depth=1
	v_mov_b32_e32 v5, 0
	s_mov_b32 s8, exec_lo
	v_cmpx_ne_u32_e32 0, v3
	s_cbranch_execz .LBB6_105
; %bb.104:                              ;   in Loop: Header=BB6_103 Depth=1
	ds_load_b32 v5, v2
.LBB6_105:                              ;   in Loop: Header=BB6_103 Depth=1
	s_or_b32 exec_lo, exec_lo, s8
	ds_load_b32 v6, v2 offset:4
	s_waitcnt lgkmcnt(1)
	v_cmp_gt_i32_e32 vcc_lo, v26, v5
	s_waitcnt lgkmcnt(0)
	v_cmp_ge_i32_e64 s8, v6, v26
	s_delay_alu instid0(VALU_DEP_1) | instskip(NEXT) | instid1(SALU_CYCLE_1)
	s_and_b32 s39, vcc_lo, s8
	s_and_saveexec_b32 s8, s39
	s_cbranch_execz .LBB6_102
; %bb.106:                              ;   in Loop: Header=BB6_103 Depth=1
	v_sub_nc_u32_e32 v7, v26, v5
	v_sub_nc_u32_e32 v8, v6, v5
	v_or_b32_e32 v0, v0, v1
	ds_store_b64 v4, v[7:8]
	ds_store_b32 v4, v0 offset:12
	s_branch .LBB6_102
.LBB6_107:
	s_set_inst_prefetch_distance 0x2
	s_or_b32 exec_lo, exec_lo, s37
	s_and_saveexec_b32 s8, s2
	s_cbranch_execz .LBB6_109
; %bb.108:
	v_mov_b32_e32 v0, 0
	ds_load_b32 v1, v0 offset:4
	s_waitcnt lgkmcnt(0)
	ds_store_b32 v0, v1 offset:8
.LBB6_109:
	s_or_b32 exec_lo, exec_lo, s8
	v_mov_b32_e32 v0, 0
	s_waitcnt lgkmcnt(0)
	s_barrier
	buffer_gl0_inv
	s_mov_b32 s37, 1
	ds_load_b64 v[26:27], v0
	s_waitcnt lgkmcnt(0)
	v_cmp_eq_u32_e32 vcc_lo, v27, v26
	s_cbranch_vccnz .LBB6_180
; %bb.110:
	v_mov_b32_e32 v1, v40
	s_mov_b32 s8, 0
.LBB6_111:                              ; =>This Inner Loop Header: Depth=1
	s_delay_alu instid0(VALU_DEP_1) | instskip(SKIP_4) | instid1(SALU_CYCLE_1)
	v_add_nc_u32_e32 v1, s24, v1
	ds_store_b32 v31, v0
	v_add_nc_u32_e32 v31, s25, v31
	v_cmp_lt_u32_e32 vcc_lo, 0xfff, v1
	s_or_b32 s8, vcc_lo, s8
	s_and_not1_b32 exec_lo, exec_lo, s8
	s_cbranch_execnz .LBB6_111
; %bb.112:
	s_or_b32 exec_lo, exec_lo, s8
	s_and_saveexec_b32 s8, s2
	s_cbranch_execz .LBB6_114
; %bb.113:
	v_mov_b32_e32 v0, 0
	ds_store_b32 v0, v0 offset:128
.LBB6_114:
	s_or_b32 exec_lo, exec_lo, s8
	v_dual_mov_b32 v0, 0 :: v_dual_mov_b32 v27, v40
	s_waitcnt lgkmcnt(0)
	s_barrier
	buffer_gl0_inv
	ds_load_b32 v31, v0 offset:12
	s_and_saveexec_b32 s8, s7
	s_cbranch_execz .LBB6_150
; %bb.115:
	v_dual_mov_b32 v38, 1 :: v_dual_mov_b32 v27, v40
	v_mov_b32_e32 v28, v41
	s_mov_b32 s7, 0
	s_branch .LBB6_117
.LBB6_116:                              ;   in Loop: Header=BB6_117 Depth=1
	s_or_b32 exec_lo, exec_lo, s37
	v_add_nc_u32_e32 v27, s25, v27
	s_delay_alu instid0(VALU_DEP_1) | instskip(SKIP_1) | instid1(VALU_DEP_2)
	v_ashrrev_i32_e32 v28, 31, v27
	v_add_co_u32 v20, vcc_lo, s31, v27
	v_add_co_ci_u32_e32 v21, vcc_lo, 0, v28, vcc_lo
	s_delay_alu instid0(VALU_DEP_1) | instskip(SKIP_1) | instid1(SALU_CYCLE_1)
	v_cmp_le_u64_e32 vcc_lo, s[16:17], v[20:21]
	s_or_b32 s7, vcc_lo, s7
	s_and_not1_b32 exec_lo, exec_lo, s7
	s_cbranch_execz .LBB6_149
.LBB6_117:                              ; =>This Inner Loop Header: Depth=1
	s_delay_alu instid0(VALU_DEP_1) | instskip(SKIP_1) | instid1(VALU_DEP_1)
	v_lshlrev_b64 v[8:9], 4, v[27:28]
	s_mov_b32 s37, exec_lo
	v_add_co_u32 v0, vcc_lo, s9, v8
	s_delay_alu instid0(VALU_DEP_2)
	v_add_co_ci_u32_e32 v1, vcc_lo, s30, v9, vcc_lo
	v_add_co_u32 v4, vcc_lo, s33, v8
	v_add_co_ci_u32_e32 v5, vcc_lo, s34, v9, vcc_lo
	s_clause 0x1
	global_load_b128 v[0:3], v[0:1], off
	global_load_b128 v[4:7], v[4:5], off
	s_waitcnt vmcnt(1)
	v_cmp_gt_i32_e32 vcc_lo, 0, v0
	v_cndmask_b32_e64 v10, 0x7fffffff, 0, vcc_lo
	s_delay_alu instid0(VALU_DEP_1) | instskip(NEXT) | instid1(VALU_DEP_1)
	v_xor_b32_e32 v0, v10, v0
	v_and_b32_e32 v10, 0xffffff00, v0
	s_waitcnt lgkmcnt(0)
	s_delay_alu instid0(VALU_DEP_1)
	v_cmpx_eq_u32_e64 v10, v31
	s_cbranch_execz .LBB6_119
; %bb.118:                              ;   in Loop: Header=BB6_117 Depth=1
	v_and_b32_e32 v0, 0xfff, v0
	s_delay_alu instid0(VALU_DEP_1)
	v_lshlrev_b32_e32 v0, 2, v0
	ds_add_u32 v0, v38 offset:17536
.LBB6_119:                              ;   in Loop: Header=BB6_117 Depth=1
	s_or_b32 exec_lo, exec_lo, s37
	v_cmp_gt_i32_e32 vcc_lo, 0, v1
	s_mov_b32 s37, exec_lo
	v_cndmask_b32_e64 v0, 0x7fffffff, 0, vcc_lo
	s_delay_alu instid0(VALU_DEP_1) | instskip(NEXT) | instid1(VALU_DEP_1)
	v_xor_b32_e32 v0, v0, v1
	v_and_b32_e32 v1, 0xffffff00, v0
	s_delay_alu instid0(VALU_DEP_1)
	v_cmpx_eq_u32_e64 v1, v31
	s_cbranch_execz .LBB6_121
; %bb.120:                              ;   in Loop: Header=BB6_117 Depth=1
	v_and_b32_e32 v0, 0xfff, v0
	s_delay_alu instid0(VALU_DEP_1)
	v_lshlrev_b32_e32 v0, 2, v0
	ds_add_u32 v0, v38 offset:17536
.LBB6_121:                              ;   in Loop: Header=BB6_117 Depth=1
	s_or_b32 exec_lo, exec_lo, s37
	v_cmp_gt_i32_e32 vcc_lo, 0, v2
	s_mov_b32 s37, exec_lo
	v_cndmask_b32_e64 v0, 0x7fffffff, 0, vcc_lo
	s_delay_alu instid0(VALU_DEP_1) | instskip(NEXT) | instid1(VALU_DEP_1)
	v_xor_b32_e32 v0, v0, v2
	v_and_b32_e32 v1, 0xffffff00, v0
	;; [unrolled: 16-line block ×3, first 2 shown]
	s_delay_alu instid0(VALU_DEP_1)
	v_cmpx_eq_u32_e64 v1, v31
	s_cbranch_execz .LBB6_125
; %bb.124:                              ;   in Loop: Header=BB6_117 Depth=1
	v_and_b32_e32 v0, 0xfff, v0
	s_delay_alu instid0(VALU_DEP_1)
	v_lshlrev_b32_e32 v0, 2, v0
	ds_add_u32 v0, v38 offset:17536
.LBB6_125:                              ;   in Loop: Header=BB6_117 Depth=1
	s_or_b32 exec_lo, exec_lo, s37
	v_lshlrev_b64 v[0:1], 4, v[20:21]
	v_add_co_u32 v2, vcc_lo, s35, v8
	v_add_co_ci_u32_e32 v3, vcc_lo, s36, v9, vcc_lo
	s_mov_b32 s37, exec_lo
	s_delay_alu instid0(VALU_DEP_3) | instskip(NEXT) | instid1(VALU_DEP_4)
	v_add_co_u32 v0, vcc_lo, s9, v0
	v_add_co_ci_u32_e32 v1, vcc_lo, s30, v1, vcc_lo
	s_waitcnt vmcnt(0)
	v_cmp_gt_i32_e32 vcc_lo, 0, v4
	s_clause 0x1
	global_load_b128 v[8:11], v[2:3], off
	global_load_b128 v[0:3], v[0:1], off
	v_cndmask_b32_e64 v20, 0x7fffffff, 0, vcc_lo
	s_delay_alu instid0(VALU_DEP_1) | instskip(NEXT) | instid1(VALU_DEP_1)
	v_xor_b32_e32 v4, v20, v4
	v_and_b32_e32 v20, 0xffffff00, v4
	s_delay_alu instid0(VALU_DEP_1)
	v_cmpx_eq_u32_e64 v20, v31
	s_cbranch_execz .LBB6_127
; %bb.126:                              ;   in Loop: Header=BB6_117 Depth=1
	v_and_b32_e32 v4, 0xfff, v4
	s_delay_alu instid0(VALU_DEP_1)
	v_lshlrev_b32_e32 v4, 2, v4
	ds_add_u32 v4, v38 offset:17536
.LBB6_127:                              ;   in Loop: Header=BB6_117 Depth=1
	s_or_b32 exec_lo, exec_lo, s37
	v_cmp_gt_i32_e32 vcc_lo, 0, v5
	s_mov_b32 s37, exec_lo
	v_cndmask_b32_e64 v4, 0x7fffffff, 0, vcc_lo
	s_delay_alu instid0(VALU_DEP_1) | instskip(NEXT) | instid1(VALU_DEP_1)
	v_xor_b32_e32 v4, v4, v5
	v_and_b32_e32 v5, 0xffffff00, v4
	s_delay_alu instid0(VALU_DEP_1)
	v_cmpx_eq_u32_e64 v5, v31
	s_cbranch_execz .LBB6_129
; %bb.128:                              ;   in Loop: Header=BB6_117 Depth=1
	v_and_b32_e32 v4, 0xfff, v4
	s_delay_alu instid0(VALU_DEP_1)
	v_lshlrev_b32_e32 v4, 2, v4
	ds_add_u32 v4, v38 offset:17536
.LBB6_129:                              ;   in Loop: Header=BB6_117 Depth=1
	s_or_b32 exec_lo, exec_lo, s37
	v_cmp_gt_i32_e32 vcc_lo, 0, v6
	s_mov_b32 s37, exec_lo
	;; [unrolled: 16-line block ×3, first 2 shown]
	v_cndmask_b32_e64 v4, 0x7fffffff, 0, vcc_lo
	s_delay_alu instid0(VALU_DEP_1) | instskip(NEXT) | instid1(VALU_DEP_1)
	v_xor_b32_e32 v4, v4, v7
	v_and_b32_e32 v5, 0xffffff00, v4
	s_delay_alu instid0(VALU_DEP_1)
	v_cmpx_eq_u32_e64 v5, v31
	s_cbranch_execz .LBB6_133
; %bb.132:                              ;   in Loop: Header=BB6_117 Depth=1
	v_and_b32_e32 v4, 0xfff, v4
	s_delay_alu instid0(VALU_DEP_1)
	v_lshlrev_b32_e32 v4, 2, v4
	ds_add_u32 v4, v38 offset:17536
.LBB6_133:                              ;   in Loop: Header=BB6_117 Depth=1
	s_or_b32 exec_lo, exec_lo, s37
	s_waitcnt vmcnt(1)
	v_cmp_gt_i32_e32 vcc_lo, 0, v8
	s_mov_b32 s37, exec_lo
	v_cndmask_b32_e64 v4, 0x7fffffff, 0, vcc_lo
	s_delay_alu instid0(VALU_DEP_1) | instskip(NEXT) | instid1(VALU_DEP_1)
	v_xor_b32_e32 v4, v4, v8
	v_and_b32_e32 v5, 0xffffff00, v4
	s_delay_alu instid0(VALU_DEP_1)
	v_cmpx_eq_u32_e64 v5, v31
	s_cbranch_execz .LBB6_135
; %bb.134:                              ;   in Loop: Header=BB6_117 Depth=1
	v_and_b32_e32 v4, 0xfff, v4
	s_delay_alu instid0(VALU_DEP_1)
	v_lshlrev_b32_e32 v4, 2, v4
	ds_add_u32 v4, v38 offset:17536
.LBB6_135:                              ;   in Loop: Header=BB6_117 Depth=1
	s_or_b32 exec_lo, exec_lo, s37
	v_cmp_gt_i32_e32 vcc_lo, 0, v9
	s_mov_b32 s37, exec_lo
	v_cndmask_b32_e64 v4, 0x7fffffff, 0, vcc_lo
	s_delay_alu instid0(VALU_DEP_1) | instskip(NEXT) | instid1(VALU_DEP_1)
	v_xor_b32_e32 v4, v4, v9
	v_and_b32_e32 v5, 0xffffff00, v4
	s_delay_alu instid0(VALU_DEP_1)
	v_cmpx_eq_u32_e64 v5, v31
	s_cbranch_execz .LBB6_137
; %bb.136:                              ;   in Loop: Header=BB6_117 Depth=1
	v_and_b32_e32 v4, 0xfff, v4
	s_delay_alu instid0(VALU_DEP_1)
	v_lshlrev_b32_e32 v4, 2, v4
	ds_add_u32 v4, v38 offset:17536
.LBB6_137:                              ;   in Loop: Header=BB6_117 Depth=1
	s_or_b32 exec_lo, exec_lo, s37
	;; [unrolled: 16-line block ×4, first 2 shown]
	s_waitcnt vmcnt(0)
	v_cmp_gt_i32_e32 vcc_lo, 0, v0
	s_mov_b32 s37, exec_lo
	v_cndmask_b32_e64 v4, 0x7fffffff, 0, vcc_lo
	s_delay_alu instid0(VALU_DEP_1) | instskip(NEXT) | instid1(VALU_DEP_1)
	v_xor_b32_e32 v0, v4, v0
	v_and_b32_e32 v4, 0xffffff00, v0
	s_delay_alu instid0(VALU_DEP_1)
	v_cmpx_eq_u32_e64 v4, v31
	s_cbranch_execz .LBB6_143
; %bb.142:                              ;   in Loop: Header=BB6_117 Depth=1
	v_and_b32_e32 v0, 0xfff, v0
	s_delay_alu instid0(VALU_DEP_1)
	v_lshlrev_b32_e32 v0, 2, v0
	ds_add_u32 v0, v38 offset:17536
.LBB6_143:                              ;   in Loop: Header=BB6_117 Depth=1
	s_or_b32 exec_lo, exec_lo, s37
	v_cmp_gt_i32_e32 vcc_lo, 0, v1
	s_mov_b32 s37, exec_lo
	v_cndmask_b32_e64 v0, 0x7fffffff, 0, vcc_lo
	s_delay_alu instid0(VALU_DEP_1) | instskip(NEXT) | instid1(VALU_DEP_1)
	v_xor_b32_e32 v0, v0, v1
	v_and_b32_e32 v1, 0xffffff00, v0
	s_delay_alu instid0(VALU_DEP_1)
	v_cmpx_eq_u32_e64 v1, v31
	s_cbranch_execz .LBB6_145
; %bb.144:                              ;   in Loop: Header=BB6_117 Depth=1
	v_and_b32_e32 v0, 0xfff, v0
	s_delay_alu instid0(VALU_DEP_1)
	v_lshlrev_b32_e32 v0, 2, v0
	ds_add_u32 v0, v38 offset:17536
.LBB6_145:                              ;   in Loop: Header=BB6_117 Depth=1
	s_or_b32 exec_lo, exec_lo, s37
	;; [unrolled: 16-line block ×3, first 2 shown]
	v_cmp_gt_i32_e32 vcc_lo, 0, v3
	s_mov_b32 s37, exec_lo
	v_cndmask_b32_e64 v0, 0x7fffffff, 0, vcc_lo
	s_delay_alu instid0(VALU_DEP_1) | instskip(NEXT) | instid1(VALU_DEP_1)
	v_xor_b32_e32 v0, v0, v3
	v_and_b32_e32 v1, 0xffffff00, v0
	s_delay_alu instid0(VALU_DEP_1)
	v_cmpx_eq_u32_e64 v1, v31
	s_cbranch_execz .LBB6_116
; %bb.148:                              ;   in Loop: Header=BB6_117 Depth=1
	v_and_b32_e32 v0, 0xfff, v0
	s_delay_alu instid0(VALU_DEP_1)
	v_lshlrev_b32_e32 v0, 2, v0
	ds_add_u32 v0, v38 offset:17536
	s_branch .LBB6_116
.LBB6_149:
	s_or_b32 exec_lo, exec_lo, s7
.LBB6_150:
	s_delay_alu instid0(SALU_CYCLE_1) | instskip(NEXT) | instid1(SALU_CYCLE_1)
	s_or_b32 exec_lo, exec_lo, s8
	s_mov_b32 s7, exec_lo
	v_cmpx_gt_i32_e64 s16, v27
	s_cbranch_execz .LBB6_161
; %bb.151:
	v_mov_b32_e32 v4, 1
	s_mov_b32 s8, 0
	s_branch .LBB6_153
.LBB6_152:                              ;   in Loop: Header=BB6_153 Depth=1
	s_or_b32 exec_lo, exec_lo, s17
	v_add_nc_u32_e32 v27, s24, v27
	s_delay_alu instid0(VALU_DEP_1) | instskip(SKIP_1) | instid1(SALU_CYCLE_1)
	v_cmp_le_i32_e32 vcc_lo, s16, v27
	s_or_b32 s8, vcc_lo, s8
	s_and_not1_b32 exec_lo, exec_lo, s8
	s_cbranch_execz .LBB6_161
.LBB6_153:                              ; =>This Inner Loop Header: Depth=1
	v_ashrrev_i32_e32 v28, 31, v27
	s_mov_b32 s17, exec_lo
	s_delay_alu instid0(VALU_DEP_1) | instskip(NEXT) | instid1(VALU_DEP_1)
	v_lshlrev_b64 v[0:1], 4, v[27:28]
	v_add_co_u32 v0, vcc_lo, s9, v0
	s_delay_alu instid0(VALU_DEP_2) | instskip(SKIP_4) | instid1(VALU_DEP_1)
	v_add_co_ci_u32_e32 v1, vcc_lo, s30, v1, vcc_lo
	global_load_b128 v[0:3], v[0:1], off
	s_waitcnt vmcnt(0)
	v_cmp_gt_i32_e32 vcc_lo, 0, v0
	v_cndmask_b32_e64 v5, 0x7fffffff, 0, vcc_lo
	v_xor_b32_e32 v0, v5, v0
	s_delay_alu instid0(VALU_DEP_1) | instskip(SKIP_1) | instid1(VALU_DEP_1)
	v_and_b32_e32 v5, 0xffffff00, v0
	s_waitcnt lgkmcnt(0)
	v_cmpx_eq_u32_e64 v5, v31
	s_cbranch_execz .LBB6_155
; %bb.154:                              ;   in Loop: Header=BB6_153 Depth=1
	v_and_b32_e32 v0, 0xfff, v0
	s_delay_alu instid0(VALU_DEP_1)
	v_lshlrev_b32_e32 v0, 2, v0
	ds_add_u32 v0, v4 offset:17536
.LBB6_155:                              ;   in Loop: Header=BB6_153 Depth=1
	s_or_b32 exec_lo, exec_lo, s17
	v_cmp_gt_i32_e32 vcc_lo, 0, v1
	s_mov_b32 s17, exec_lo
	v_cndmask_b32_e64 v0, 0x7fffffff, 0, vcc_lo
	s_delay_alu instid0(VALU_DEP_1) | instskip(NEXT) | instid1(VALU_DEP_1)
	v_xor_b32_e32 v0, v0, v1
	v_and_b32_e32 v1, 0xffffff00, v0
	s_delay_alu instid0(VALU_DEP_1)
	v_cmpx_eq_u32_e64 v1, v31
	s_cbranch_execz .LBB6_157
; %bb.156:                              ;   in Loop: Header=BB6_153 Depth=1
	v_and_b32_e32 v0, 0xfff, v0
	s_delay_alu instid0(VALU_DEP_1)
	v_lshlrev_b32_e32 v0, 2, v0
	ds_add_u32 v0, v4 offset:17536
.LBB6_157:                              ;   in Loop: Header=BB6_153 Depth=1
	s_or_b32 exec_lo, exec_lo, s17
	v_cmp_gt_i32_e32 vcc_lo, 0, v2
	s_mov_b32 s17, exec_lo
	v_cndmask_b32_e64 v0, 0x7fffffff, 0, vcc_lo
	s_delay_alu instid0(VALU_DEP_1) | instskip(NEXT) | instid1(VALU_DEP_1)
	v_xor_b32_e32 v0, v0, v2
	v_and_b32_e32 v1, 0xffffff00, v0
	s_delay_alu instid0(VALU_DEP_1)
	;; [unrolled: 16-line block ×3, first 2 shown]
	v_cmpx_eq_u32_e64 v1, v31
	s_cbranch_execz .LBB6_152
; %bb.160:                              ;   in Loop: Header=BB6_153 Depth=1
	v_and_b32_e32 v0, 0xfff, v0
	s_delay_alu instid0(VALU_DEP_1)
	v_lshlrev_b32_e32 v0, 2, v0
	ds_add_u32 v0, v4 offset:17536
	s_branch .LBB6_152
.LBB6_161:
	s_or_b32 exec_lo, exec_lo, s7
	s_and_saveexec_b32 s7, s4
	s_cbranch_execz .LBB6_164
; %bb.162:
	global_load_b32 v0, v[22:23], off
	s_waitcnt vmcnt(0)
	v_cmp_gt_i32_e32 vcc_lo, 0, v0
	v_cndmask_b32_e64 v1, 0x7fffffff, 0, vcc_lo
	s_delay_alu instid0(VALU_DEP_1) | instskip(NEXT) | instid1(VALU_DEP_1)
	v_xor_b32_e32 v0, v1, v0
	v_and_b32_e32 v1, 0xffffff00, v0
	s_waitcnt lgkmcnt(0)
	s_delay_alu instid0(VALU_DEP_1)
	v_cmp_eq_u32_e32 vcc_lo, v1, v31
	s_and_b32 exec_lo, exec_lo, vcc_lo
	s_cbranch_execz .LBB6_164
; %bb.163:
	v_dual_mov_b32 v1, 1 :: v_dual_and_b32 v0, 0xfff, v0
	s_delay_alu instid0(VALU_DEP_1)
	v_lshlrev_b32_e32 v0, 2, v0
	ds_add_u32 v0, v1 offset:17536
.LBB6_164:
	s_or_b32 exec_lo, exec_lo, s7
	s_and_saveexec_b32 s4, s5
	s_cbranch_execz .LBB6_167
; %bb.165:
	global_load_b32 v0, v[24:25], off
	s_waitcnt vmcnt(0)
	v_cmp_gt_i32_e32 vcc_lo, 0, v0
	v_cndmask_b32_e64 v1, 0x7fffffff, 0, vcc_lo
	s_delay_alu instid0(VALU_DEP_1) | instskip(NEXT) | instid1(VALU_DEP_1)
	v_xor_b32_e32 v0, v1, v0
	v_and_b32_e32 v1, 0xffffff00, v0
	s_waitcnt lgkmcnt(0)
	s_delay_alu instid0(VALU_DEP_1)
	v_cmp_eq_u32_e32 vcc_lo, v1, v31
	s_and_b32 exec_lo, exec_lo, vcc_lo
	s_cbranch_execz .LBB6_167
; %bb.166:
	v_dual_mov_b32 v1, 1 :: v_dual_and_b32 v0, 0xfff, v0
	s_delay_alu instid0(VALU_DEP_1)
	v_lshlrev_b32_e32 v0, 2, v0
	ds_add_u32 v0, v1 offset:17536
.LBB6_167:
	s_or_b32 exec_lo, exec_lo, s4
	s_waitcnt lgkmcnt(0)
	s_barrier
	buffer_gl0_inv
	flat_load_b32 v0, v[12:13] glc dlc
	s_waitcnt vmcnt(0)
	flat_load_b32 v1, v[14:15] glc dlc
	s_waitcnt vmcnt(0)
	;; [unrolled: 2-line block ×3, first 2 shown]
	flat_load_b32 v3, v[18:19] glc dlc
	s_waitcnt vmcnt(0) lgkmcnt(3)
	ds_store_b32 v32, v0
	s_waitcnt lgkmcnt(3)
	ds_store_b32 v33, v1 offset:4096
	s_waitcnt lgkmcnt(3)
	ds_store_b32 v34, v2 offset:8192
	;; [unrolled: 2-line block ×3, first 2 shown]
	s_waitcnt lgkmcnt(0)
	s_barrier
	buffer_gl0_inv
	ds_load_2addr_b32 v[2:3], v36 offset1:1
	ds_load_2addr_b32 v[0:1], v36 offset0:2 offset1:3
	s_waitcnt lgkmcnt(0)
	s_barrier
	buffer_gl0_inv
	v_add_nc_u32_e32 v4, v3, v2
	s_delay_alu instid0(VALU_DEP_1)
	v_add3_u32 v4, v4, v0, v1
	ds_store_b32 v32, v4
	s_waitcnt lgkmcnt(0)
	s_barrier
	buffer_gl0_inv
	s_and_saveexec_b32 s4, s6
	s_cbranch_execz .LBB6_169
; %bb.168:
	ds_load_2addr_b32 v[5:6], v29 offset1:1
	ds_load_2addr_b32 v[7:8], v29 offset0:2 offset1:3
	ds_load_2addr_b32 v[9:10], v29 offset0:4 offset1:5
	;; [unrolled: 1-line block ×15, first 2 shown]
	v_mbcnt_lo_u32_b32 v31, -1, 0
	s_delay_alu instid0(VALU_DEP_1) | instskip(SKIP_3) | instid1(VALU_DEP_3)
	v_and_b32_e32 v41, 15, v31
	s_waitcnt lgkmcnt(15)
	v_add_nc_u32_e32 v11, v6, v5
	v_bfe_i32 v60, v31, 4, 1
	v_cmp_ne_u32_e32 vcc_lo, 0, v41
	s_waitcnt lgkmcnt(14)
	s_delay_alu instid0(VALU_DEP_3) | instskip(SKIP_1) | instid1(VALU_DEP_1)
	v_add3_u32 v11, v11, v7, v8
	s_waitcnt lgkmcnt(13)
	v_add3_u32 v11, v11, v9, v10
	s_waitcnt lgkmcnt(12)
	s_delay_alu instid0(VALU_DEP_1) | instskip(SKIP_1) | instid1(VALU_DEP_1)
	v_add3_u32 v11, v11, v20, v21
	s_waitcnt lgkmcnt(11)
	v_add3_u32 v11, v11, v22, v23
	s_waitcnt lgkmcnt(10)
	s_delay_alu instid0(VALU_DEP_1) | instskip(SKIP_1) | instid1(VALU_DEP_1)
	;; [unrolled: 5-line block ×6, first 2 shown]
	v_add3_u32 v11, v11, v53, v54
	s_waitcnt lgkmcnt(1)
	v_add3_u32 v11, v11, v55, v56
	s_waitcnt lgkmcnt(0)
	s_delay_alu instid0(VALU_DEP_1) | instskip(NEXT) | instid1(VALU_DEP_1)
	v_add3_u32 v11, v11, v57, v58
	v_mov_b32_dpp v59, v11 row_shr:1 row_mask:0xf bank_mask:0xf
	s_delay_alu instid0(VALU_DEP_1) | instskip(SKIP_1) | instid1(VALU_DEP_2)
	v_cndmask_b32_e32 v59, 0, v59, vcc_lo
	v_cmp_lt_u32_e32 vcc_lo, 1, v41
	v_add_nc_u32_e32 v11, v59, v11
	s_delay_alu instid0(VALU_DEP_1) | instskip(NEXT) | instid1(VALU_DEP_1)
	v_mov_b32_dpp v59, v11 row_shr:2 row_mask:0xf bank_mask:0xf
	v_cndmask_b32_e32 v59, 0, v59, vcc_lo
	v_cmp_lt_u32_e32 vcc_lo, 3, v41
	s_delay_alu instid0(VALU_DEP_2) | instskip(NEXT) | instid1(VALU_DEP_1)
	v_add_nc_u32_e32 v11, v11, v59
	v_mov_b32_dpp v59, v11 row_shr:4 row_mask:0xf bank_mask:0xf
	s_delay_alu instid0(VALU_DEP_1) | instskip(SKIP_1) | instid1(VALU_DEP_2)
	v_cndmask_b32_e32 v59, 0, v59, vcc_lo
	v_cmp_lt_u32_e32 vcc_lo, 7, v41
	v_add_nc_u32_e32 v11, v11, v59
	s_delay_alu instid0(VALU_DEP_1) | instskip(NEXT) | instid1(VALU_DEP_1)
	v_mov_b32_dpp v59, v11 row_shr:8 row_mask:0xf bank_mask:0xf
	v_cndmask_b32_e32 v41, 0, v59, vcc_lo
	v_add_nc_u32_e32 v59, -1, v31
	s_delay_alu instid0(VALU_DEP_2) | instskip(NEXT) | instid1(VALU_DEP_2)
	v_add_nc_u32_e32 v11, v11, v41
	v_cmp_gt_i32_e32 vcc_lo, 0, v59
	ds_swizzle_b32 v41, v11 offset:swizzle(BROADCAST,32,15)
	v_cndmask_b32_e32 v31, v59, v31, vcc_lo
	s_delay_alu instid0(VALU_DEP_1) | instskip(SKIP_2) | instid1(VALU_DEP_1)
	v_lshlrev_b32_e32 v31, 2, v31
	s_waitcnt lgkmcnt(0)
	v_and_b32_e32 v41, v60, v41
	v_add_nc_u32_e32 v11, v11, v41
	ds_bpermute_b32 v11, v31, v11
	s_waitcnt lgkmcnt(0)
	v_add_nc_u32_e32 v5, v11, v5
	s_delay_alu instid0(VALU_DEP_1) | instskip(NEXT) | instid1(VALU_DEP_1)
	v_cndmask_b32_e64 v4, v5, v4, s2
	v_add_nc_u32_e32 v5, v4, v6
	s_delay_alu instid0(VALU_DEP_1) | instskip(NEXT) | instid1(VALU_DEP_1)
	v_add_nc_u32_e32 v6, v5, v7
	v_add_nc_u32_e32 v7, v6, v8
	s_delay_alu instid0(VALU_DEP_1) | instskip(NEXT) | instid1(VALU_DEP_1)
	v_add_nc_u32_e32 v8, v7, v9
	;; [unrolled: 3-line block ×3, first 2 shown]
	v_add_nc_u32_e32 v11, v10, v21
	ds_store_2addr_b32 v29, v4, v5 offset1:1
	ds_store_2addr_b32 v29, v6, v7 offset0:2 offset1:3
	ds_store_2addr_b32 v29, v8, v9 offset0:4 offset1:5
	;; [unrolled: 1-line block ×3, first 2 shown]
	v_add_nc_u32_e32 v20, v11, v22
	s_delay_alu instid0(VALU_DEP_1) | instskip(NEXT) | instid1(VALU_DEP_1)
	v_add_nc_u32_e32 v21, v20, v23
	v_add_nc_u32_e32 v22, v21, v24
	s_delay_alu instid0(VALU_DEP_1) | instskip(NEXT) | instid1(VALU_DEP_1)
	v_add_nc_u32_e32 v23, v22, v25
	;; [unrolled: 3-line block ×3, first 2 shown]
	v_add_nc_u32_e32 v27, v25, v38
	s_delay_alu instid0(VALU_DEP_1)
	v_add_nc_u32_e32 v28, v27, v39
	ds_store_2addr_b32 v29, v20, v21 offset0:8 offset1:9
	ds_store_2addr_b32 v29, v22, v23 offset0:10 offset1:11
	;; [unrolled: 1-line block ×4, first 2 shown]
	v_add_nc_u32_e32 v31, v28, v43
	s_delay_alu instid0(VALU_DEP_1) | instskip(NEXT) | instid1(VALU_DEP_1)
	v_add_nc_u32_e32 v38, v31, v44
	v_add_nc_u32_e32 v39, v38, v45
	s_delay_alu instid0(VALU_DEP_1) | instskip(NEXT) | instid1(VALU_DEP_1)
	v_add_nc_u32_e32 v41, v39, v46
	v_add_nc_u32_e32 v43, v41, v47
	s_delay_alu instid0(VALU_DEP_1) | instskip(NEXT) | instid1(VALU_DEP_1)
	v_add_nc_u32_e32 v44, v43, v48
	v_add_nc_u32_e32 v45, v44, v49
	s_delay_alu instid0(VALU_DEP_1) | instskip(NEXT) | instid1(VALU_DEP_1)
	v_add_nc_u32_e32 v46, v45, v50
	v_add_nc_u32_e32 v47, v46, v51
	s_delay_alu instid0(VALU_DEP_1) | instskip(NEXT) | instid1(VALU_DEP_1)
	v_add_nc_u32_e32 v48, v47, v52
	v_add_nc_u32_e32 v49, v48, v53
	s_delay_alu instid0(VALU_DEP_1) | instskip(NEXT) | instid1(VALU_DEP_1)
	v_add_nc_u32_e32 v50, v49, v54
	v_add_nc_u32_e32 v51, v50, v55
	s_delay_alu instid0(VALU_DEP_1) | instskip(NEXT) | instid1(VALU_DEP_1)
	v_add_nc_u32_e32 v52, v51, v56
	v_add_nc_u32_e32 v4, v52, v57
	s_delay_alu instid0(VALU_DEP_1)
	v_add_nc_u32_e32 v5, v4, v58
	ds_store_2addr_b32 v29, v31, v38 offset0:16 offset1:17
	ds_store_2addr_b32 v29, v39, v41 offset0:18 offset1:19
	;; [unrolled: 1-line block ×8, first 2 shown]
.LBB6_169:
	s_or_b32 exec_lo, exec_lo, s4
	v_dual_mov_b32 v4, 0 :: v_dual_mov_b32 v5, 0
	s_waitcnt lgkmcnt(0)
	s_barrier
	buffer_gl0_inv
	s_and_saveexec_b32 s4, s3
	s_cbranch_execz .LBB6_171
; %bb.170:
	ds_load_b32 v5, v37
.LBB6_171:
	s_or_b32 exec_lo, exec_lo, s4
	s_waitcnt lgkmcnt(0)
	v_add_nc_u32_e32 v2, v5, v2
	s_barrier
	buffer_gl0_inv
	s_mov_b32 s4, 0
	v_add_nc_u32_e32 v3, v2, v3
	s_delay_alu instid0(VALU_DEP_1) | instskip(NEXT) | instid1(VALU_DEP_1)
	v_add_nc_u32_e32 v0, v3, v0
	v_add_nc_u32_e32 v1, v0, v1
	ds_store_2addr_b32 v36, v2, v3 offset1:1
	ds_store_2addr_b32 v36, v0, v1 offset0:2 offset1:3
	s_waitcnt lgkmcnt(0)
	s_barrier
	buffer_gl0_inv
	ds_load_b32 v0, v32
	ds_load_b32 v1, v33 offset:4096
	ds_load_b32 v2, v34 offset:8192
	;; [unrolled: 1-line block ×3, first 2 shown]
	s_waitcnt lgkmcnt(3)
	flat_store_b32 v[12:13], v0 dlc
	s_waitcnt_vscnt null, 0x0
	s_waitcnt lgkmcnt(3)
	flat_store_b32 v[14:15], v1 dlc
	s_waitcnt_vscnt null, 0x0
	;; [unrolled: 3-line block ×4, first 2 shown]
	v_mov_b32_e32 v1, v40
	s_waitcnt lgkmcnt(0)
	s_barrier
	buffer_gl0_inv
	ds_load_b32 v0, v4 offset:12
	s_set_inst_prefetch_distance 0x1
	s_branch .LBB6_173
	.p2align	6
.LBB6_172:                              ;   in Loop: Header=BB6_173 Depth=1
	s_or_b32 exec_lo, exec_lo, s3
	v_add_nc_u32_e32 v1, s24, v1
	v_add_nc_u32_e32 v30, s25, v30
	s_delay_alu instid0(VALU_DEP_2) | instskip(SKIP_1) | instid1(SALU_CYCLE_1)
	v_cmp_lt_u32_e32 vcc_lo, 0xfff, v1
	s_or_b32 s4, vcc_lo, s4
	s_and_not1_b32 exec_lo, exec_lo, s4
	s_cbranch_execz .LBB6_177
.LBB6_173:                              ; =>This Inner Loop Header: Depth=1
	v_mov_b32_e32 v2, 0
	s_mov_b32 s3, exec_lo
	v_cmpx_ne_u32_e32 0, v1
	s_cbranch_execz .LBB6_175
; %bb.174:                              ;   in Loop: Header=BB6_173 Depth=1
	ds_load_b32 v2, v30
.LBB6_175:                              ;   in Loop: Header=BB6_173 Depth=1
	s_or_b32 exec_lo, exec_lo, s3
	ds_load_b32 v3, v30 offset:4
	s_waitcnt lgkmcnt(1)
	v_cmp_gt_i32_e32 vcc_lo, v26, v2
	s_waitcnt lgkmcnt(0)
	v_cmp_ge_i32_e64 s3, v3, v26
	s_delay_alu instid0(VALU_DEP_1) | instskip(NEXT) | instid1(SALU_CYCLE_1)
	s_and_b32 s5, vcc_lo, s3
	s_and_saveexec_b32 s3, s5
	s_cbranch_execz .LBB6_172
; %bb.176:                              ;   in Loop: Header=BB6_173 Depth=1
	v_sub_nc_u32_e32 v5, v26, v2
	v_sub_nc_u32_e32 v6, v3, v2
	v_or_b32_e32 v0, v0, v1
	ds_store_b64 v4, v[5:6]
	ds_store_b32 v4, v0 offset:12
	s_branch .LBB6_172
.LBB6_177:
	s_set_inst_prefetch_distance 0x2
	s_or_b32 exec_lo, exec_lo, s4
	s_and_saveexec_b32 s3, s2
	s_cbranch_execz .LBB6_179
; %bb.178:
	v_mov_b32_e32 v0, 0
	ds_load_b32 v1, v0 offset:4
	s_waitcnt lgkmcnt(0)
	ds_store_b32 v0, v1 offset:8
.LBB6_179:
	s_or_b32 exec_lo, exec_lo, s3
	s_mov_b32 s37, 2
	s_waitcnt lgkmcnt(0)
	s_barrier
	buffer_gl0_inv
.LBB6_180:
	s_lshl_b64 s[24:25], s[12:13], 2
	v_dual_mov_b32 v31, v40 :: v_dual_mov_b32 v0, s29
	s_add_u32 s2, s20, s24
	s_addc_u32 s3, s21, s25
	s_add_u32 s4, s22, s24
	s_addc_u32 s5, s23, s25
	;; [unrolled: 2-line block ×3, first 2 shown]
	s_cmp_lg_u64 s[10:11], 0
	v_dual_mov_b32 v5, s3 :: v_dual_mov_b32 v6, s4
	s_cselect_b32 s6, s6, 0
	s_cselect_b32 s7, s7, 0
	v_dual_mov_b32 v1, s28 :: v_dual_mov_b32 v2, s6
	v_dual_mov_b32 v3, s7 :: v_dual_mov_b32 v4, s2
	;; [unrolled: 1-line block ×4, first 2 shown]
	s_add_u32 s8, s0, 0x58
	s_addc_u32 s9, s1, 0
	s_mov_b32 s12, s18
	s_getpc_b64 s[0:1]
	s_add_u32 s0, s0, _ZN5aiter2ob11last_filterIfiLi12ELb1ELb0EEEvPKT_PKT0_PS2_PS5_S5_S5_PNS0_7CounterIS2_S5_EEbib@rel32@lo+4
	s_addc_u32 s1, s1, _ZN5aiter2ob11last_filterIfiLi12ELb1ELb0EEEvPKT_PKT0_PS2_PS5_S5_S5_PNS0_7CounterIS2_S5_EEbib@rel32@hi+12
	s_delay_alu instid0(SALU_CYCLE_1)
	s_swappc_b64 s[30:31], s[0:1]
	s_cmp_eq_u32 s19, 0
	s_cbranch_scc1 .LBB6_184
; %bb.181:
	s_waitcnt_vscnt null, 0x0
	s_barrier
	buffer_gl0_inv
	s_mov_b32 s0, exec_lo
	v_cmpx_gt_i32_e64 s26, v40
	s_cbranch_execz .LBB6_184
; %bb.182:
	s_add_u32 s0, s22, s24
	s_addc_u32 s1, s23, s25
	v_add_co_u32 v0, s0, s0, v42
	s_delay_alu instid0(VALU_DEP_1)
	v_add_co_ci_u32_e64 v1, null, s1, 0, s0
	s_mov_b32 s1, 0
.LBB6_183:                              ; =>This Inner Loop Header: Depth=1
	global_load_b32 v2, v[0:1], off
	v_add_nc_u32_e32 v40, 0x400, v40
	s_delay_alu instid0(VALU_DEP_1)
	v_cmp_le_i32_e32 vcc_lo, s26, v40
	s_or_b32 s1, vcc_lo, s1
	s_waitcnt vmcnt(0)
	v_add_nc_u32_e32 v2, s19, v2
	global_store_b32 v[0:1], v2, off
	v_add_co_u32 v0, s0, 0x1000, v0
	s_delay_alu instid0(VALU_DEP_1)
	v_add_co_ci_u32_e64 v1, s0, 0, v1, s0
	s_and_not1_b32 exec_lo, exec_lo, s1
	s_cbranch_execnz .LBB6_183
.LBB6_184:
	s_endpgm
	.section	.rodata,"a",@progbits
	.p2align	6, 0x0
	.amdhsa_kernel _ZN5aiter2ob27radix_topk_one_block_kernelIfiLi12ELi1024ELb1ELb0ELNS0_5PhaseE0EEEvPKT_PKT0_lS8_S8_S6_PS3_PS6_bPci
		.amdhsa_group_segment_fixed_size 33920
		.amdhsa_private_segment_fixed_size 0
		.amdhsa_kernarg_size 344
		.amdhsa_user_sgpr_count 15
		.amdhsa_user_sgpr_dispatch_ptr 0
		.amdhsa_user_sgpr_queue_ptr 0
		.amdhsa_user_sgpr_kernarg_segment_ptr 1
		.amdhsa_user_sgpr_dispatch_id 0
		.amdhsa_user_sgpr_private_segment_size 0
		.amdhsa_wavefront_size32 1
		.amdhsa_uses_dynamic_stack 0
		.amdhsa_enable_private_segment 0
		.amdhsa_system_sgpr_workgroup_id_x 1
		.amdhsa_system_sgpr_workgroup_id_y 0
		.amdhsa_system_sgpr_workgroup_id_z 0
		.amdhsa_system_sgpr_workgroup_info 0
		.amdhsa_system_vgpr_workitem_id 0
		.amdhsa_next_free_vgpr 72
		.amdhsa_next_free_sgpr 40
		.amdhsa_reserve_vcc 1
		.amdhsa_float_round_mode_32 0
		.amdhsa_float_round_mode_16_64 0
		.amdhsa_float_denorm_mode_32 3
		.amdhsa_float_denorm_mode_16_64 3
		.amdhsa_dx10_clamp 1
		.amdhsa_ieee_mode 1
		.amdhsa_fp16_overflow 0
		.amdhsa_workgroup_processor_mode 1
		.amdhsa_memory_ordered 1
		.amdhsa_forward_progress 0
		.amdhsa_shared_vgpr_count 0
		.amdhsa_exception_fp_ieee_invalid_op 0
		.amdhsa_exception_fp_denorm_src 0
		.amdhsa_exception_fp_ieee_div_zero 0
		.amdhsa_exception_fp_ieee_overflow 0
		.amdhsa_exception_fp_ieee_underflow 0
		.amdhsa_exception_fp_ieee_inexact 0
		.amdhsa_exception_int_div_zero 0
	.end_amdhsa_kernel
	.section	.text._ZN5aiter2ob27radix_topk_one_block_kernelIfiLi12ELi1024ELb1ELb0ELNS0_5PhaseE0EEEvPKT_PKT0_lS8_S8_S6_PS3_PS6_bPci,"axG",@progbits,_ZN5aiter2ob27radix_topk_one_block_kernelIfiLi12ELi1024ELb1ELb0ELNS0_5PhaseE0EEEvPKT_PKT0_lS8_S8_S6_PS3_PS6_bPci,comdat
.Lfunc_end6:
	.size	_ZN5aiter2ob27radix_topk_one_block_kernelIfiLi12ELi1024ELb1ELb0ELNS0_5PhaseE0EEEvPKT_PKT0_lS8_S8_S6_PS3_PS6_bPci, .Lfunc_end6-_ZN5aiter2ob27radix_topk_one_block_kernelIfiLi12ELi1024ELb1ELb0ELNS0_5PhaseE0EEEvPKT_PKT0_lS8_S8_S6_PS3_PS6_bPci
                                        ; -- End function
	.section	.AMDGPU.csdata,"",@progbits
; Kernel info:
; codeLenInByte = 11984
; NumSgprs: 42
; NumVgprs: 72
; ScratchSize: 0
; MemoryBound: 0
; FloatMode: 240
; IeeeMode: 1
; LDSByteSize: 33920 bytes/workgroup (compile time only)
; SGPRBlocks: 5
; VGPRBlocks: 8
; NumSGPRsForWavesPerEU: 42
; NumVGPRsForWavesPerEU: 72
; Occupancy: 16
; WaveLimiterHint : 0
; COMPUTE_PGM_RSRC2:SCRATCH_EN: 0
; COMPUTE_PGM_RSRC2:USER_SGPR: 15
; COMPUTE_PGM_RSRC2:TRAP_HANDLER: 0
; COMPUTE_PGM_RSRC2:TGID_X_EN: 1
; COMPUTE_PGM_RSRC2:TGID_Y_EN: 0
; COMPUTE_PGM_RSRC2:TGID_Z_EN: 0
; COMPUTE_PGM_RSRC2:TIDIG_COMP_CNT: 0
	.text
	.p2align	2                               ; -- Begin function _ZN5aiter2ob11last_filterIfiLi11ELb1ELb0EEEvPKT_PKT0_PS2_PS5_S5_S5_PNS0_7CounterIS2_S5_EEbib
	.type	_ZN5aiter2ob11last_filterIfiLi11ELb1ELb0EEEvPKT_PKT0_PS2_PS5_S5_S5_PNS0_7CounterIS2_S5_EEbib,@function
_ZN5aiter2ob11last_filterIfiLi11ELb1ELb0EEEvPKT_PKT0_PS2_PS5_S5_S5_PNS0_7CounterIS2_S5_EEbib: ; @_ZN5aiter2ob11last_filterIfiLi11ELb1ELb0EEEvPKT_PKT0_PS2_PS5_S5_S5_PNS0_7CounterIS2_S5_EEbib
; %bb.0:
	s_waitcnt vmcnt(0) expcnt(0) lgkmcnt(0)
	v_dual_mov_b32 v11, 0 :: v_dual_and_b32 v24, 0x3ff, v31
	v_mad_u64_u32 v[12:13], null, v10, -11, 21
	s_mov_b32 s0, exec_lo
	ds_load_2addr_b32 v[22:23], v11 offset1:3
	v_max_i32_e32 v19, 0, v12
	v_cmpx_ne_u64_e32 0, v[2:3]
	s_xor_b32 s1, exec_lo, s0
	s_cbranch_execnz .LBB7_3
; %bb.1:
	s_and_not1_saveexec_b32 s0, s1
	s_cbranch_execnz .LBB7_137
.LBB7_2:
	s_or_b32 exec_lo, exec_lo, s0
	s_waitcnt vmcnt(0) lgkmcnt(0)
	s_setpc_b64 s[30:31]
.LBB7_3:
	s_load_b32 s0, s[8:9], 0x0
	v_and_b32_e32 v10, 0x3ff, v31
	s_waitcnt lgkmcnt(0)
	s_cmp_lt_u32 s12, s0
	s_cselect_b32 s0, 12, 18
	s_delay_alu instid0(SALU_CYCLE_1)
	s_add_u32 s2, s8, s0
	s_addc_u32 s3, s9, 0
	global_load_u16 v11, v11, s[2:3]
	s_mov_b32 s3, exec_lo
	s_waitcnt vmcnt(0)
	v_mul_lo_u32 v20, v11, 7
	v_readfirstlane_b32 s2, v11
	s_delay_alu instid0(VALU_DEP_2) | instskip(NEXT) | instid1(VALU_DEP_1)
	v_add_nc_u32_e32 v12, v10, v20
	v_cmpx_lt_i32_e64 v12, v8
	s_cbranch_execz .LBB7_119
; %bb.4:
	v_dual_mov_b32 v16, 0 :: v_dual_lshlrev_b32 v13, 2, v10
	v_lshlrev_b32_e64 v21, v19, -1
	s_lshl_b32 s4, s2, 3
	s_lshl_b32 s5, s2, 1
	s_delay_alu instid0(VALU_DEP_2)
	v_add_co_u32 v11, vcc_lo, v0, v13
	v_add_co_ci_u32_e32 v12, vcc_lo, 0, v1, vcc_lo
	v_add_co_u32 v13, vcc_lo, v2, v13
	v_add_co_ci_u32_e32 v14, vcc_lo, 0, v3, vcc_lo
	s_mul_i32 s6, s2, 3
	s_lshl_b32 s7, s2, 2
	s_mul_i32 s10, s2, 5
	s_mul_i32 s13, s2, 6
	s_mov_b32 s11, 0
	s_lshl_b32 s14, s2, 5
	s_branch .LBB7_6
.LBB7_5:                                ;   in Loop: Header=BB7_6 Depth=1
	s_or_b32 exec_lo, exec_lo, s0
	v_add_nc_u32_e32 v10, s4, v10
	v_add_co_u32 v11, vcc_lo, v11, s14
	v_add_co_ci_u32_e32 v12, vcc_lo, 0, v12, vcc_lo
	s_delay_alu instid0(VALU_DEP_3) | instskip(SKIP_1) | instid1(VALU_DEP_1)
	v_add_nc_u32_e32 v15, v20, v10
	v_add_co_u32 v13, s0, v13, s14
	v_add_co_ci_u32_e64 v14, s0, 0, v14, s0
	s_delay_alu instid0(VALU_DEP_3) | instskip(SKIP_1) | instid1(SALU_CYCLE_1)
	v_cmp_ge_i32_e32 vcc_lo, v15, v8
	s_or_b32 s11, vcc_lo, s11
	s_and_not1_b32 exec_lo, exec_lo, s11
	s_cbranch_execz .LBB7_118
.LBB7_6:                                ; =>This Inner Loop Header: Depth=1
	v_add_nc_u32_e32 v15, s5, v10
	v_add_co_u32 v17, vcc_lo, v11, s7
	v_add_co_ci_u32_e32 v18, vcc_lo, 0, v12, vcc_lo
	s_delay_alu instid0(VALU_DEP_3)
	v_lshlrev_b64 v[48:49], 2, v[15:16]
	v_add_nc_u32_e32 v15, s6, v10
	s_clause 0x1
	flat_load_b32 v37, v[11:12]
	flat_load_b32 v35, v[17:18]
	s_waitcnt vmcnt(2) lgkmcnt(2)
	v_add_nc_u32_e32 v24, v20, v10
	v_mov_b32_e32 v25, v16
	s_mov_b32 s15, 0
	v_lshlrev_b64 v[17:18], 2, v[15:16]
	v_add_nc_u32_e32 v15, s7, v10
	v_add_co_u32 v26, vcc_lo, v0, v48
	v_add_co_ci_u32_e32 v27, vcc_lo, v1, v49, vcc_lo
	s_delay_alu instid0(VALU_DEP_3) | instskip(SKIP_3) | instid1(VALU_DEP_3)
	v_lshlrev_b64 v[50:51], 2, v[15:16]
	v_add_nc_u32_e32 v15, s10, v10
	v_add_co_u32 v28, vcc_lo, v0, v17
	v_add_co_ci_u32_e32 v29, vcc_lo, v1, v18, vcc_lo
	v_lshlrev_b64 v[52:53], 2, v[15:16]
	v_add_nc_u32_e32 v15, s13, v10
	v_add_co_u32 v38, vcc_lo, v0, v50
	v_add_co_ci_u32_e32 v39, vcc_lo, v1, v51, vcc_lo
	s_delay_alu instid0(VALU_DEP_3) | instskip(SKIP_3) | instid1(VALU_DEP_4)
	v_lshlrev_b64 v[54:55], 2, v[15:16]
	v_add_co_u32 v64, vcc_lo, v0, v52
	v_lshlrev_b64 v[66:67], 2, v[24:25]
	v_add_co_ci_u32_e32 v65, vcc_lo, v1, v53, vcc_lo
	v_add_co_u32 v24, vcc_lo, v0, v54
	v_add_co_ci_u32_e32 v25, vcc_lo, v1, v55, vcc_lo
	s_delay_alu instid0(VALU_DEP_4)
	v_add_co_u32 v68, vcc_lo, v0, v66
	v_add_co_ci_u32_e32 v69, vcc_lo, v1, v67, vcc_lo
	v_add_co_u32 v70, vcc_lo, v13, s7
	v_add_co_ci_u32_e32 v71, vcc_lo, 0, v14, vcc_lo
	;; [unrolled: 2-line block ×7, first 2 shown]
	s_clause 0x5
	flat_load_b32 v33, v[26:27]
	flat_load_b32 v31, v[28:29]
	;; [unrolled: 1-line block ×6, first 2 shown]
	s_clause 0x1
	flat_load_b32 v38, v[13:14]
	flat_load_b32 v36, v[70:71]
	v_add_co_u32 v64, vcc_lo, v2, v66
	v_add_co_ci_u32_e32 v65, vcc_lo, v3, v67, vcc_lo
	s_clause 0x5
	flat_load_b32 v34, v[48:49]
	flat_load_b32 v32, v[17:18]
	flat_load_b32 v30, v[50:51]
	flat_load_b32 v28, v[52:53]
	flat_load_b32 v26, v[54:55]
	flat_load_b32 v24, v[64:65]
	s_mov_b32 s0, exec_lo
	s_waitcnt vmcnt(15) lgkmcnt(15)
	v_cmp_gt_i32_e32 vcc_lo, 0, v37
	v_cndmask_b32_e64 v17, 0x7fffffff, 0, vcc_lo
	s_delay_alu instid0(VALU_DEP_1) | instskip(NEXT) | instid1(VALU_DEP_1)
	v_xor_b32_e32 v17, v17, v37
	v_and_b32_e32 v18, v17, v21
                                        ; implicit-def: $vgpr17
	s_delay_alu instid0(VALU_DEP_1)
	v_cmpx_ge_u32_e64 v18, v23
	s_xor_b32 s0, exec_lo, s0
	s_cbranch_execnz .LBB7_37
; %bb.7:                                ;   in Loop: Header=BB7_6 Depth=1
	s_and_not1_saveexec_b32 s0, s0
	s_cbranch_execnz .LBB7_44
.LBB7_8:                                ;   in Loop: Header=BB7_6 Depth=1
	s_or_b32 exec_lo, exec_lo, s0
	s_and_saveexec_b32 s0, s15
	s_cbranch_execz .LBB7_10
.LBB7_9:                                ;   in Loop: Header=BB7_6 Depth=1
	v_ashrrev_i32_e32 v18, 31, v17
	s_delay_alu instid0(VALU_DEP_1) | instskip(NEXT) | instid1(VALU_DEP_1)
	v_lshlrev_b64 v[17:18], 2, v[17:18]
	v_add_co_u32 v48, vcc_lo, v4, v17
	s_delay_alu instid0(VALU_DEP_2)
	v_add_co_ci_u32_e32 v49, vcc_lo, v5, v18, vcc_lo
	v_add_co_u32 v17, vcc_lo, v6, v17
	v_add_co_ci_u32_e32 v18, vcc_lo, v7, v18, vcc_lo
	flat_store_b32 v[48:49], v37
	s_waitcnt vmcnt(7) lgkmcnt(8)
	flat_store_b32 v[17:18], v38
.LBB7_10:                               ;   in Loop: Header=BB7_6 Depth=1
	s_or_b32 exec_lo, exec_lo, s0
	s_waitcnt vmcnt(14) lgkmcnt(14)
	v_cmp_gt_i32_e32 vcc_lo, 0, v35
	s_mov_b32 s15, 0
	s_mov_b32 s0, exec_lo
	v_cndmask_b32_e64 v17, 0x7fffffff, 0, vcc_lo
	s_delay_alu instid0(VALU_DEP_1) | instskip(NEXT) | instid1(VALU_DEP_1)
	v_xor_b32_e32 v17, v17, v35
	v_and_b32_e32 v18, v17, v21
                                        ; implicit-def: $vgpr17
	s_delay_alu instid0(VALU_DEP_1)
	v_cmpx_ge_u32_e64 v18, v23
	s_xor_b32 s0, exec_lo, s0
	s_cbranch_execnz .LBB7_47
; %bb.11:                               ;   in Loop: Header=BB7_6 Depth=1
	s_and_not1_saveexec_b32 s0, s0
	s_cbranch_execnz .LBB7_54
.LBB7_12:                               ;   in Loop: Header=BB7_6 Depth=1
	s_or_b32 exec_lo, exec_lo, s0
	s_and_saveexec_b32 s0, s15
	s_cbranch_execz .LBB7_14
.LBB7_13:                               ;   in Loop: Header=BB7_6 Depth=1
	v_ashrrev_i32_e32 v18, 31, v17
	s_delay_alu instid0(VALU_DEP_1) | instskip(NEXT) | instid1(VALU_DEP_1)
	v_lshlrev_b64 v[17:18], 2, v[17:18]
	v_add_co_u32 v37, vcc_lo, v4, v17
	s_waitcnt vmcnt(7) lgkmcnt(7)
	s_delay_alu instid0(VALU_DEP_2)
	v_add_co_ci_u32_e32 v38, vcc_lo, v5, v18, vcc_lo
	v_add_co_u32 v17, vcc_lo, v6, v17
	v_add_co_ci_u32_e32 v18, vcc_lo, v7, v18, vcc_lo
	flat_store_b32 v[37:38], v35
	s_waitcnt vmcnt(6) lgkmcnt(7)
	flat_store_b32 v[17:18], v36
.LBB7_14:                               ;   in Loop: Header=BB7_6 Depth=1
	s_or_b32 exec_lo, exec_lo, s0
	s_waitcnt vmcnt(13) lgkmcnt(13)
	v_cmp_gt_i32_e32 vcc_lo, 0, v33
	s_mov_b32 s15, 0
	s_mov_b32 s0, exec_lo
	v_cndmask_b32_e64 v17, 0x7fffffff, 0, vcc_lo
	s_delay_alu instid0(VALU_DEP_1) | instskip(NEXT) | instid1(VALU_DEP_1)
	v_xor_b32_e32 v17, v17, v33
	v_and_b32_e32 v18, v17, v21
                                        ; implicit-def: $vgpr17
	s_delay_alu instid0(VALU_DEP_1)
	v_cmpx_ge_u32_e64 v18, v23
	s_xor_b32 s0, exec_lo, s0
	s_cbranch_execnz .LBB7_57
; %bb.15:                               ;   in Loop: Header=BB7_6 Depth=1
	s_and_not1_saveexec_b32 s0, s0
	s_cbranch_execnz .LBB7_64
.LBB7_16:                               ;   in Loop: Header=BB7_6 Depth=1
	s_or_b32 exec_lo, exec_lo, s0
	s_and_saveexec_b32 s0, s15
	s_cbranch_execz .LBB7_18
.LBB7_17:                               ;   in Loop: Header=BB7_6 Depth=1
	v_ashrrev_i32_e32 v18, 31, v17
	s_delay_alu instid0(VALU_DEP_1) | instskip(NEXT) | instid1(VALU_DEP_1)
	v_lshlrev_b64 v[17:18], 2, v[17:18]
	v_add_co_u32 v35, vcc_lo, v4, v17
	s_waitcnt vmcnt(6) lgkmcnt(6)
	s_delay_alu instid0(VALU_DEP_2)
	v_add_co_ci_u32_e32 v36, vcc_lo, v5, v18, vcc_lo
	v_add_co_u32 v17, vcc_lo, v6, v17
	v_add_co_ci_u32_e32 v18, vcc_lo, v7, v18, vcc_lo
	flat_store_b32 v[35:36], v33
	s_waitcnt vmcnt(5) lgkmcnt(6)
	flat_store_b32 v[17:18], v34
.LBB7_18:                               ;   in Loop: Header=BB7_6 Depth=1
	s_or_b32 exec_lo, exec_lo, s0
	s_waitcnt vmcnt(12) lgkmcnt(12)
	v_cmp_gt_i32_e32 vcc_lo, 0, v31
	s_mov_b32 s15, 0
	s_mov_b32 s0, exec_lo
	v_cndmask_b32_e64 v17, 0x7fffffff, 0, vcc_lo
	s_delay_alu instid0(VALU_DEP_1) | instskip(NEXT) | instid1(VALU_DEP_1)
	v_xor_b32_e32 v17, v17, v31
	v_and_b32_e32 v18, v17, v21
                                        ; implicit-def: $vgpr17
	s_delay_alu instid0(VALU_DEP_1)
	v_cmpx_ge_u32_e64 v18, v23
	s_xor_b32 s0, exec_lo, s0
	s_cbranch_execnz .LBB7_67
; %bb.19:                               ;   in Loop: Header=BB7_6 Depth=1
	s_and_not1_saveexec_b32 s0, s0
	s_cbranch_execnz .LBB7_74
.LBB7_20:                               ;   in Loop: Header=BB7_6 Depth=1
	s_or_b32 exec_lo, exec_lo, s0
	s_and_saveexec_b32 s0, s15
	s_cbranch_execz .LBB7_22
.LBB7_21:                               ;   in Loop: Header=BB7_6 Depth=1
	v_ashrrev_i32_e32 v18, 31, v17
	s_delay_alu instid0(VALU_DEP_1) | instskip(NEXT) | instid1(VALU_DEP_1)
	v_lshlrev_b64 v[17:18], 2, v[17:18]
	v_add_co_u32 v33, vcc_lo, v4, v17
	s_waitcnt vmcnt(5) lgkmcnt(5)
	s_delay_alu instid0(VALU_DEP_2)
	v_add_co_ci_u32_e32 v34, vcc_lo, v5, v18, vcc_lo
	v_add_co_u32 v17, vcc_lo, v6, v17
	v_add_co_ci_u32_e32 v18, vcc_lo, v7, v18, vcc_lo
	flat_store_b32 v[33:34], v31
	s_waitcnt vmcnt(4) lgkmcnt(5)
	flat_store_b32 v[17:18], v32
.LBB7_22:                               ;   in Loop: Header=BB7_6 Depth=1
	s_or_b32 exec_lo, exec_lo, s0
	s_waitcnt vmcnt(11) lgkmcnt(11)
	v_cmp_gt_i32_e32 vcc_lo, 0, v29
	s_mov_b32 s15, 0
	s_mov_b32 s0, exec_lo
	v_cndmask_b32_e64 v17, 0x7fffffff, 0, vcc_lo
	s_delay_alu instid0(VALU_DEP_1) | instskip(NEXT) | instid1(VALU_DEP_1)
	v_xor_b32_e32 v17, v17, v29
	v_and_b32_e32 v18, v17, v21
                                        ; implicit-def: $vgpr17
	s_delay_alu instid0(VALU_DEP_1)
	v_cmpx_ge_u32_e64 v18, v23
	s_xor_b32 s0, exec_lo, s0
	s_cbranch_execnz .LBB7_77
; %bb.23:                               ;   in Loop: Header=BB7_6 Depth=1
	s_and_not1_saveexec_b32 s0, s0
	s_cbranch_execnz .LBB7_84
.LBB7_24:                               ;   in Loop: Header=BB7_6 Depth=1
	s_or_b32 exec_lo, exec_lo, s0
	s_and_saveexec_b32 s0, s15
	s_cbranch_execz .LBB7_26
.LBB7_25:                               ;   in Loop: Header=BB7_6 Depth=1
	v_ashrrev_i32_e32 v18, 31, v17
	s_delay_alu instid0(VALU_DEP_1) | instskip(NEXT) | instid1(VALU_DEP_1)
	v_lshlrev_b64 v[17:18], 2, v[17:18]
	v_add_co_u32 v31, vcc_lo, v4, v17
	s_waitcnt vmcnt(4) lgkmcnt(4)
	s_delay_alu instid0(VALU_DEP_2)
	v_add_co_ci_u32_e32 v32, vcc_lo, v5, v18, vcc_lo
	v_add_co_u32 v17, vcc_lo, v6, v17
	v_add_co_ci_u32_e32 v18, vcc_lo, v7, v18, vcc_lo
	flat_store_b32 v[31:32], v29
	s_waitcnt vmcnt(3) lgkmcnt(4)
	flat_store_b32 v[17:18], v30
.LBB7_26:                               ;   in Loop: Header=BB7_6 Depth=1
	s_or_b32 exec_lo, exec_lo, s0
	s_waitcnt vmcnt(10) lgkmcnt(10)
	v_cmp_gt_i32_e32 vcc_lo, 0, v27
	s_mov_b32 s15, 0
	s_mov_b32 s0, exec_lo
	v_cndmask_b32_e64 v17, 0x7fffffff, 0, vcc_lo
	s_delay_alu instid0(VALU_DEP_1) | instskip(NEXT) | instid1(VALU_DEP_1)
	v_xor_b32_e32 v17, v17, v27
	v_and_b32_e32 v18, v17, v21
                                        ; implicit-def: $vgpr17
	s_delay_alu instid0(VALU_DEP_1)
	v_cmpx_ge_u32_e64 v18, v23
	s_xor_b32 s0, exec_lo, s0
	s_cbranch_execnz .LBB7_87
; %bb.27:                               ;   in Loop: Header=BB7_6 Depth=1
	s_and_not1_saveexec_b32 s0, s0
	s_cbranch_execnz .LBB7_94
.LBB7_28:                               ;   in Loop: Header=BB7_6 Depth=1
	s_or_b32 exec_lo, exec_lo, s0
	s_and_saveexec_b32 s0, s15
	s_cbranch_execz .LBB7_30
.LBB7_29:                               ;   in Loop: Header=BB7_6 Depth=1
	v_ashrrev_i32_e32 v18, 31, v17
	s_delay_alu instid0(VALU_DEP_1) | instskip(NEXT) | instid1(VALU_DEP_1)
	v_lshlrev_b64 v[17:18], 2, v[17:18]
	v_add_co_u32 v29, vcc_lo, v4, v17
	s_waitcnt vmcnt(3) lgkmcnt(3)
	s_delay_alu instid0(VALU_DEP_2)
	v_add_co_ci_u32_e32 v30, vcc_lo, v5, v18, vcc_lo
	v_add_co_u32 v17, vcc_lo, v6, v17
	v_add_co_ci_u32_e32 v18, vcc_lo, v7, v18, vcc_lo
	flat_store_b32 v[29:30], v27
	s_waitcnt vmcnt(2) lgkmcnt(3)
	flat_store_b32 v[17:18], v28
.LBB7_30:                               ;   in Loop: Header=BB7_6 Depth=1
	s_or_b32 exec_lo, exec_lo, s0
	s_waitcnt vmcnt(9) lgkmcnt(9)
	v_cmp_gt_i32_e32 vcc_lo, 0, v25
	s_mov_b32 s15, 0
	s_mov_b32 s0, exec_lo
	v_cndmask_b32_e64 v17, 0x7fffffff, 0, vcc_lo
	s_delay_alu instid0(VALU_DEP_1) | instskip(NEXT) | instid1(VALU_DEP_1)
	v_xor_b32_e32 v17, v17, v25
	v_and_b32_e32 v18, v17, v21
                                        ; implicit-def: $vgpr17
	s_delay_alu instid0(VALU_DEP_1)
	v_cmpx_ge_u32_e64 v18, v23
	s_xor_b32 s0, exec_lo, s0
	s_cbranch_execnz .LBB7_97
; %bb.31:                               ;   in Loop: Header=BB7_6 Depth=1
	s_and_not1_saveexec_b32 s0, s0
	s_cbranch_execnz .LBB7_104
.LBB7_32:                               ;   in Loop: Header=BB7_6 Depth=1
	s_or_b32 exec_lo, exec_lo, s0
	s_and_saveexec_b32 s0, s15
	s_cbranch_execz .LBB7_34
.LBB7_33:                               ;   in Loop: Header=BB7_6 Depth=1
	v_ashrrev_i32_e32 v18, 31, v17
	s_delay_alu instid0(VALU_DEP_1) | instskip(NEXT) | instid1(VALU_DEP_1)
	v_lshlrev_b64 v[17:18], 2, v[17:18]
	v_add_co_u32 v27, vcc_lo, v4, v17
	s_waitcnt vmcnt(2) lgkmcnt(2)
	s_delay_alu instid0(VALU_DEP_2)
	v_add_co_ci_u32_e32 v28, vcc_lo, v5, v18, vcc_lo
	v_add_co_u32 v17, vcc_lo, v6, v17
	v_add_co_ci_u32_e32 v18, vcc_lo, v7, v18, vcc_lo
	flat_store_b32 v[27:28], v25
	s_waitcnt vmcnt(1) lgkmcnt(2)
	flat_store_b32 v[17:18], v26
.LBB7_34:                               ;   in Loop: Header=BB7_6 Depth=1
	s_or_b32 exec_lo, exec_lo, s0
	s_waitcnt vmcnt(8) lgkmcnt(8)
	v_cmp_gt_i32_e32 vcc_lo, 0, v15
	s_mov_b32 s15, 0
	s_mov_b32 s0, exec_lo
	v_cndmask_b32_e64 v17, 0x7fffffff, 0, vcc_lo
	s_delay_alu instid0(VALU_DEP_1) | instskip(NEXT) | instid1(VALU_DEP_1)
	v_xor_b32_e32 v17, v17, v15
	v_and_b32_e32 v18, v17, v21
                                        ; implicit-def: $vgpr17
	s_delay_alu instid0(VALU_DEP_1)
	v_cmpx_ge_u32_e64 v18, v23
	s_xor_b32 s0, exec_lo, s0
	s_cbranch_execnz .LBB7_107
; %bb.35:                               ;   in Loop: Header=BB7_6 Depth=1
	s_and_not1_saveexec_b32 s0, s0
	s_cbranch_execnz .LBB7_114
.LBB7_36:                               ;   in Loop: Header=BB7_6 Depth=1
	s_or_b32 exec_lo, exec_lo, s0
	s_and_saveexec_b32 s0, s15
	s_cbranch_execz .LBB7_5
	s_branch .LBB7_117
.LBB7_37:                               ;   in Loop: Header=BB7_6 Depth=1
	s_mov_b32 s16, 0
	s_mov_b32 s15, exec_lo
                                        ; implicit-def: $vgpr17
	v_cmpx_eq_u32_e64 v18, v23
	s_cbranch_execz .LBB7_43
; %bb.38:                               ;   in Loop: Header=BB7_6 Depth=1
	s_mov_b32 s17, exec_lo
	s_mov_b32 s16, exec_lo
	v_mbcnt_lo_u32_b32 v17, s17, 0
                                        ; implicit-def: $vgpr18
	s_delay_alu instid0(VALU_DEP_1)
	v_cmpx_eq_u32_e32 0, v17
	s_cbranch_execz .LBB7_40
; %bb.39:                               ;   in Loop: Header=BB7_6 Depth=1
	s_bcnt1_i32_b32 s17, s17
	s_delay_alu instid0(SALU_CYCLE_1)
	v_mov_b32_e32 v18, s17
	ds_add_rtn_u32 v18, v16, v18 offset:512
.LBB7_40:                               ;   in Loop: Header=BB7_6 Depth=1
	s_or_b32 exec_lo, exec_lo, s16
	s_waitcnt lgkmcnt(0)
	v_readfirstlane_b32 s16, v18
	s_mov_b32 s17, exec_lo
	s_delay_alu instid0(VALU_DEP_1) | instskip(SKIP_1) | instid1(VALU_DEP_1)
	v_add_nc_u32_e32 v18, s16, v17
	s_mov_b32 s16, 0
                                        ; implicit-def: $vgpr17
	v_cmpx_lt_i32_e64 v18, v22
	s_xor_b32 s17, exec_lo, s17
; %bb.41:                               ;   in Loop: Header=BB7_6 Depth=1
	v_xad_u32 v17, v18, -1, v9
	s_mov_b32 s16, exec_lo
; %bb.42:                               ;   in Loop: Header=BB7_6 Depth=1
	s_or_b32 exec_lo, exec_lo, s17
	s_delay_alu instid0(SALU_CYCLE_1)
	s_and_b32 s16, s16, exec_lo
.LBB7_43:                               ;   in Loop: Header=BB7_6 Depth=1
	s_or_b32 exec_lo, exec_lo, s15
	s_delay_alu instid0(SALU_CYCLE_1)
	s_and_b32 s15, s16, exec_lo
	s_and_not1_saveexec_b32 s0, s0
	s_cbranch_execz .LBB7_8
.LBB7_44:                               ;   in Loop: Header=BB7_6 Depth=1
	s_mov_b32 s17, exec_lo
	s_mov_b32 s16, exec_lo
	v_mbcnt_lo_u32_b32 v17, s17, 0
                                        ; implicit-def: $vgpr18
	s_delay_alu instid0(VALU_DEP_1)
	v_cmpx_eq_u32_e32 0, v17
	s_cbranch_execz .LBB7_46
; %bb.45:                               ;   in Loop: Header=BB7_6 Depth=1
	s_bcnt1_i32_b32 s17, s17
	s_delay_alu instid0(SALU_CYCLE_1)
	v_mov_b32_e32 v18, s17
	ds_add_rtn_u32 v18, v16, v18 offset:384
.LBB7_46:                               ;   in Loop: Header=BB7_6 Depth=1
	s_or_b32 exec_lo, exec_lo, s16
	s_waitcnt lgkmcnt(0)
	v_readfirstlane_b32 s16, v18
	s_or_b32 s15, s15, exec_lo
	s_delay_alu instid0(VALU_DEP_1)
	v_add_nc_u32_e32 v17, s16, v17
	s_or_b32 exec_lo, exec_lo, s0
	s_and_saveexec_b32 s0, s15
	s_cbranch_execnz .LBB7_9
	s_branch .LBB7_10
.LBB7_47:                               ;   in Loop: Header=BB7_6 Depth=1
	s_mov_b32 s16, 0
	s_mov_b32 s15, exec_lo
                                        ; implicit-def: $vgpr17
	v_cmpx_eq_u32_e64 v18, v23
	s_cbranch_execz .LBB7_53
; %bb.48:                               ;   in Loop: Header=BB7_6 Depth=1
	s_mov_b32 s17, exec_lo
	s_mov_b32 s16, exec_lo
	v_mbcnt_lo_u32_b32 v17, s17, 0
                                        ; implicit-def: $vgpr18
	s_delay_alu instid0(VALU_DEP_1)
	v_cmpx_eq_u32_e32 0, v17
	s_cbranch_execz .LBB7_50
; %bb.49:                               ;   in Loop: Header=BB7_6 Depth=1
	s_bcnt1_i32_b32 s17, s17
	s_delay_alu instid0(SALU_CYCLE_1)
	v_mov_b32_e32 v18, s17
	ds_add_rtn_u32 v18, v16, v18 offset:512
.LBB7_50:                               ;   in Loop: Header=BB7_6 Depth=1
	s_or_b32 exec_lo, exec_lo, s16
	s_waitcnt lgkmcnt(0)
	v_readfirstlane_b32 s16, v18
	s_mov_b32 s17, exec_lo
	s_delay_alu instid0(VALU_DEP_1) | instskip(SKIP_1) | instid1(VALU_DEP_1)
	v_add_nc_u32_e32 v18, s16, v17
	s_mov_b32 s16, 0
                                        ; implicit-def: $vgpr17
	v_cmpx_lt_i32_e64 v18, v22
	s_xor_b32 s17, exec_lo, s17
; %bb.51:                               ;   in Loop: Header=BB7_6 Depth=1
	v_xad_u32 v17, v18, -1, v9
	s_mov_b32 s16, exec_lo
; %bb.52:                               ;   in Loop: Header=BB7_6 Depth=1
	s_or_b32 exec_lo, exec_lo, s17
	s_delay_alu instid0(SALU_CYCLE_1)
	s_and_b32 s16, s16, exec_lo
.LBB7_53:                               ;   in Loop: Header=BB7_6 Depth=1
	s_or_b32 exec_lo, exec_lo, s15
	s_delay_alu instid0(SALU_CYCLE_1)
	s_and_b32 s15, s16, exec_lo
	s_and_not1_saveexec_b32 s0, s0
	s_cbranch_execz .LBB7_12
.LBB7_54:                               ;   in Loop: Header=BB7_6 Depth=1
	s_mov_b32 s17, exec_lo
	s_mov_b32 s16, exec_lo
	v_mbcnt_lo_u32_b32 v17, s17, 0
                                        ; implicit-def: $vgpr18
	s_delay_alu instid0(VALU_DEP_1)
	v_cmpx_eq_u32_e32 0, v17
	s_cbranch_execz .LBB7_56
; %bb.55:                               ;   in Loop: Header=BB7_6 Depth=1
	s_bcnt1_i32_b32 s17, s17
	s_delay_alu instid0(SALU_CYCLE_1)
	v_mov_b32_e32 v18, s17
	ds_add_rtn_u32 v18, v16, v18 offset:384
.LBB7_56:                               ;   in Loop: Header=BB7_6 Depth=1
	s_or_b32 exec_lo, exec_lo, s16
	s_waitcnt lgkmcnt(0)
	v_readfirstlane_b32 s16, v18
	s_or_b32 s15, s15, exec_lo
	s_delay_alu instid0(VALU_DEP_1)
	v_add_nc_u32_e32 v17, s16, v17
	s_or_b32 exec_lo, exec_lo, s0
	s_and_saveexec_b32 s0, s15
	s_cbranch_execnz .LBB7_13
	s_branch .LBB7_14
.LBB7_57:                               ;   in Loop: Header=BB7_6 Depth=1
	s_mov_b32 s16, 0
	s_mov_b32 s15, exec_lo
                                        ; implicit-def: $vgpr17
	v_cmpx_eq_u32_e64 v18, v23
	s_cbranch_execz .LBB7_63
; %bb.58:                               ;   in Loop: Header=BB7_6 Depth=1
	s_mov_b32 s17, exec_lo
	s_mov_b32 s16, exec_lo
	v_mbcnt_lo_u32_b32 v17, s17, 0
                                        ; implicit-def: $vgpr18
	s_delay_alu instid0(VALU_DEP_1)
	v_cmpx_eq_u32_e32 0, v17
	s_cbranch_execz .LBB7_60
; %bb.59:                               ;   in Loop: Header=BB7_6 Depth=1
	s_bcnt1_i32_b32 s17, s17
	s_delay_alu instid0(SALU_CYCLE_1)
	v_mov_b32_e32 v18, s17
	ds_add_rtn_u32 v18, v16, v18 offset:512
.LBB7_60:                               ;   in Loop: Header=BB7_6 Depth=1
	s_or_b32 exec_lo, exec_lo, s16
	s_waitcnt lgkmcnt(0)
	v_readfirstlane_b32 s16, v18
	s_mov_b32 s17, exec_lo
	s_delay_alu instid0(VALU_DEP_1) | instskip(SKIP_1) | instid1(VALU_DEP_1)
	v_add_nc_u32_e32 v18, s16, v17
	s_mov_b32 s16, 0
                                        ; implicit-def: $vgpr17
	v_cmpx_lt_i32_e64 v18, v22
	s_xor_b32 s17, exec_lo, s17
; %bb.61:                               ;   in Loop: Header=BB7_6 Depth=1
	v_xad_u32 v17, v18, -1, v9
	s_mov_b32 s16, exec_lo
; %bb.62:                               ;   in Loop: Header=BB7_6 Depth=1
	s_or_b32 exec_lo, exec_lo, s17
	s_delay_alu instid0(SALU_CYCLE_1)
	s_and_b32 s16, s16, exec_lo
.LBB7_63:                               ;   in Loop: Header=BB7_6 Depth=1
	s_or_b32 exec_lo, exec_lo, s15
	s_delay_alu instid0(SALU_CYCLE_1)
	s_and_b32 s15, s16, exec_lo
	s_and_not1_saveexec_b32 s0, s0
	s_cbranch_execz .LBB7_16
.LBB7_64:                               ;   in Loop: Header=BB7_6 Depth=1
	s_mov_b32 s17, exec_lo
	s_mov_b32 s16, exec_lo
	v_mbcnt_lo_u32_b32 v17, s17, 0
                                        ; implicit-def: $vgpr18
	s_delay_alu instid0(VALU_DEP_1)
	v_cmpx_eq_u32_e32 0, v17
	s_cbranch_execz .LBB7_66
; %bb.65:                               ;   in Loop: Header=BB7_6 Depth=1
	s_bcnt1_i32_b32 s17, s17
	s_delay_alu instid0(SALU_CYCLE_1)
	v_mov_b32_e32 v18, s17
	ds_add_rtn_u32 v18, v16, v18 offset:384
.LBB7_66:                               ;   in Loop: Header=BB7_6 Depth=1
	s_or_b32 exec_lo, exec_lo, s16
	s_waitcnt lgkmcnt(0)
	v_readfirstlane_b32 s16, v18
	s_or_b32 s15, s15, exec_lo
	s_delay_alu instid0(VALU_DEP_1)
	v_add_nc_u32_e32 v17, s16, v17
	s_or_b32 exec_lo, exec_lo, s0
	s_and_saveexec_b32 s0, s15
	s_cbranch_execnz .LBB7_17
	s_branch .LBB7_18
.LBB7_67:                               ;   in Loop: Header=BB7_6 Depth=1
	s_mov_b32 s16, 0
	s_mov_b32 s15, exec_lo
                                        ; implicit-def: $vgpr17
	v_cmpx_eq_u32_e64 v18, v23
	s_cbranch_execz .LBB7_73
; %bb.68:                               ;   in Loop: Header=BB7_6 Depth=1
	s_mov_b32 s17, exec_lo
	s_mov_b32 s16, exec_lo
	v_mbcnt_lo_u32_b32 v17, s17, 0
                                        ; implicit-def: $vgpr18
	s_delay_alu instid0(VALU_DEP_1)
	v_cmpx_eq_u32_e32 0, v17
	s_cbranch_execz .LBB7_70
; %bb.69:                               ;   in Loop: Header=BB7_6 Depth=1
	s_bcnt1_i32_b32 s17, s17
	s_delay_alu instid0(SALU_CYCLE_1)
	v_mov_b32_e32 v18, s17
	ds_add_rtn_u32 v18, v16, v18 offset:512
.LBB7_70:                               ;   in Loop: Header=BB7_6 Depth=1
	s_or_b32 exec_lo, exec_lo, s16
	s_waitcnt lgkmcnt(0)
	v_readfirstlane_b32 s16, v18
	s_mov_b32 s17, exec_lo
	s_delay_alu instid0(VALU_DEP_1) | instskip(SKIP_1) | instid1(VALU_DEP_1)
	v_add_nc_u32_e32 v18, s16, v17
	s_mov_b32 s16, 0
                                        ; implicit-def: $vgpr17
	v_cmpx_lt_i32_e64 v18, v22
	s_xor_b32 s17, exec_lo, s17
; %bb.71:                               ;   in Loop: Header=BB7_6 Depth=1
	v_xad_u32 v17, v18, -1, v9
	s_mov_b32 s16, exec_lo
; %bb.72:                               ;   in Loop: Header=BB7_6 Depth=1
	s_or_b32 exec_lo, exec_lo, s17
	s_delay_alu instid0(SALU_CYCLE_1)
	s_and_b32 s16, s16, exec_lo
.LBB7_73:                               ;   in Loop: Header=BB7_6 Depth=1
	s_or_b32 exec_lo, exec_lo, s15
	s_delay_alu instid0(SALU_CYCLE_1)
	s_and_b32 s15, s16, exec_lo
	s_and_not1_saveexec_b32 s0, s0
	s_cbranch_execz .LBB7_20
.LBB7_74:                               ;   in Loop: Header=BB7_6 Depth=1
	s_mov_b32 s17, exec_lo
	s_mov_b32 s16, exec_lo
	v_mbcnt_lo_u32_b32 v17, s17, 0
                                        ; implicit-def: $vgpr18
	s_delay_alu instid0(VALU_DEP_1)
	v_cmpx_eq_u32_e32 0, v17
	s_cbranch_execz .LBB7_76
; %bb.75:                               ;   in Loop: Header=BB7_6 Depth=1
	s_bcnt1_i32_b32 s17, s17
	s_delay_alu instid0(SALU_CYCLE_1)
	v_mov_b32_e32 v18, s17
	ds_add_rtn_u32 v18, v16, v18 offset:384
.LBB7_76:                               ;   in Loop: Header=BB7_6 Depth=1
	s_or_b32 exec_lo, exec_lo, s16
	s_waitcnt lgkmcnt(0)
	v_readfirstlane_b32 s16, v18
	s_or_b32 s15, s15, exec_lo
	s_delay_alu instid0(VALU_DEP_1)
	v_add_nc_u32_e32 v17, s16, v17
	s_or_b32 exec_lo, exec_lo, s0
	s_and_saveexec_b32 s0, s15
	s_cbranch_execnz .LBB7_21
	s_branch .LBB7_22
.LBB7_77:                               ;   in Loop: Header=BB7_6 Depth=1
	s_mov_b32 s16, 0
	s_mov_b32 s15, exec_lo
                                        ; implicit-def: $vgpr17
	v_cmpx_eq_u32_e64 v18, v23
	s_cbranch_execz .LBB7_83
; %bb.78:                               ;   in Loop: Header=BB7_6 Depth=1
	s_mov_b32 s17, exec_lo
	s_mov_b32 s16, exec_lo
	v_mbcnt_lo_u32_b32 v17, s17, 0
                                        ; implicit-def: $vgpr18
	s_delay_alu instid0(VALU_DEP_1)
	v_cmpx_eq_u32_e32 0, v17
	s_cbranch_execz .LBB7_80
; %bb.79:                               ;   in Loop: Header=BB7_6 Depth=1
	s_bcnt1_i32_b32 s17, s17
	s_delay_alu instid0(SALU_CYCLE_1)
	v_mov_b32_e32 v18, s17
	ds_add_rtn_u32 v18, v16, v18 offset:512
.LBB7_80:                               ;   in Loop: Header=BB7_6 Depth=1
	s_or_b32 exec_lo, exec_lo, s16
	s_waitcnt lgkmcnt(0)
	v_readfirstlane_b32 s16, v18
	s_mov_b32 s17, exec_lo
	s_delay_alu instid0(VALU_DEP_1) | instskip(SKIP_1) | instid1(VALU_DEP_1)
	v_add_nc_u32_e32 v18, s16, v17
	s_mov_b32 s16, 0
                                        ; implicit-def: $vgpr17
	v_cmpx_lt_i32_e64 v18, v22
	s_xor_b32 s17, exec_lo, s17
; %bb.81:                               ;   in Loop: Header=BB7_6 Depth=1
	v_xad_u32 v17, v18, -1, v9
	s_mov_b32 s16, exec_lo
; %bb.82:                               ;   in Loop: Header=BB7_6 Depth=1
	s_or_b32 exec_lo, exec_lo, s17
	s_delay_alu instid0(SALU_CYCLE_1)
	s_and_b32 s16, s16, exec_lo
.LBB7_83:                               ;   in Loop: Header=BB7_6 Depth=1
	s_or_b32 exec_lo, exec_lo, s15
	s_delay_alu instid0(SALU_CYCLE_1)
	s_and_b32 s15, s16, exec_lo
	s_and_not1_saveexec_b32 s0, s0
	s_cbranch_execz .LBB7_24
.LBB7_84:                               ;   in Loop: Header=BB7_6 Depth=1
	s_mov_b32 s17, exec_lo
	s_mov_b32 s16, exec_lo
	v_mbcnt_lo_u32_b32 v17, s17, 0
                                        ; implicit-def: $vgpr18
	s_delay_alu instid0(VALU_DEP_1)
	v_cmpx_eq_u32_e32 0, v17
	s_cbranch_execz .LBB7_86
; %bb.85:                               ;   in Loop: Header=BB7_6 Depth=1
	s_bcnt1_i32_b32 s17, s17
	s_delay_alu instid0(SALU_CYCLE_1)
	v_mov_b32_e32 v18, s17
	ds_add_rtn_u32 v18, v16, v18 offset:384
.LBB7_86:                               ;   in Loop: Header=BB7_6 Depth=1
	s_or_b32 exec_lo, exec_lo, s16
	s_waitcnt lgkmcnt(0)
	v_readfirstlane_b32 s16, v18
	s_or_b32 s15, s15, exec_lo
	s_delay_alu instid0(VALU_DEP_1)
	v_add_nc_u32_e32 v17, s16, v17
	s_or_b32 exec_lo, exec_lo, s0
	s_and_saveexec_b32 s0, s15
	s_cbranch_execnz .LBB7_25
	s_branch .LBB7_26
.LBB7_87:                               ;   in Loop: Header=BB7_6 Depth=1
	s_mov_b32 s16, 0
	s_mov_b32 s15, exec_lo
                                        ; implicit-def: $vgpr17
	v_cmpx_eq_u32_e64 v18, v23
	s_cbranch_execz .LBB7_93
; %bb.88:                               ;   in Loop: Header=BB7_6 Depth=1
	s_mov_b32 s17, exec_lo
	s_mov_b32 s16, exec_lo
	v_mbcnt_lo_u32_b32 v17, s17, 0
                                        ; implicit-def: $vgpr18
	s_delay_alu instid0(VALU_DEP_1)
	v_cmpx_eq_u32_e32 0, v17
	s_cbranch_execz .LBB7_90
; %bb.89:                               ;   in Loop: Header=BB7_6 Depth=1
	s_bcnt1_i32_b32 s17, s17
	s_delay_alu instid0(SALU_CYCLE_1)
	v_mov_b32_e32 v18, s17
	ds_add_rtn_u32 v18, v16, v18 offset:512
.LBB7_90:                               ;   in Loop: Header=BB7_6 Depth=1
	s_or_b32 exec_lo, exec_lo, s16
	s_waitcnt lgkmcnt(0)
	v_readfirstlane_b32 s16, v18
	s_mov_b32 s17, exec_lo
	s_delay_alu instid0(VALU_DEP_1) | instskip(SKIP_1) | instid1(VALU_DEP_1)
	v_add_nc_u32_e32 v18, s16, v17
	s_mov_b32 s16, 0
                                        ; implicit-def: $vgpr17
	v_cmpx_lt_i32_e64 v18, v22
	s_xor_b32 s17, exec_lo, s17
; %bb.91:                               ;   in Loop: Header=BB7_6 Depth=1
	v_xad_u32 v17, v18, -1, v9
	s_mov_b32 s16, exec_lo
; %bb.92:                               ;   in Loop: Header=BB7_6 Depth=1
	s_or_b32 exec_lo, exec_lo, s17
	s_delay_alu instid0(SALU_CYCLE_1)
	s_and_b32 s16, s16, exec_lo
.LBB7_93:                               ;   in Loop: Header=BB7_6 Depth=1
	s_or_b32 exec_lo, exec_lo, s15
	s_delay_alu instid0(SALU_CYCLE_1)
	s_and_b32 s15, s16, exec_lo
	s_and_not1_saveexec_b32 s0, s0
	s_cbranch_execz .LBB7_28
.LBB7_94:                               ;   in Loop: Header=BB7_6 Depth=1
	s_mov_b32 s17, exec_lo
	s_mov_b32 s16, exec_lo
	v_mbcnt_lo_u32_b32 v17, s17, 0
                                        ; implicit-def: $vgpr18
	s_delay_alu instid0(VALU_DEP_1)
	v_cmpx_eq_u32_e32 0, v17
	s_cbranch_execz .LBB7_96
; %bb.95:                               ;   in Loop: Header=BB7_6 Depth=1
	s_bcnt1_i32_b32 s17, s17
	s_delay_alu instid0(SALU_CYCLE_1)
	v_mov_b32_e32 v18, s17
	ds_add_rtn_u32 v18, v16, v18 offset:384
.LBB7_96:                               ;   in Loop: Header=BB7_6 Depth=1
	s_or_b32 exec_lo, exec_lo, s16
	s_waitcnt lgkmcnt(0)
	v_readfirstlane_b32 s16, v18
	s_or_b32 s15, s15, exec_lo
	s_delay_alu instid0(VALU_DEP_1)
	v_add_nc_u32_e32 v17, s16, v17
	s_or_b32 exec_lo, exec_lo, s0
	s_and_saveexec_b32 s0, s15
	s_cbranch_execnz .LBB7_29
	s_branch .LBB7_30
.LBB7_97:                               ;   in Loop: Header=BB7_6 Depth=1
	s_mov_b32 s16, 0
	s_mov_b32 s15, exec_lo
                                        ; implicit-def: $vgpr17
	v_cmpx_eq_u32_e64 v18, v23
	s_cbranch_execz .LBB7_103
; %bb.98:                               ;   in Loop: Header=BB7_6 Depth=1
	s_mov_b32 s17, exec_lo
	s_mov_b32 s16, exec_lo
	v_mbcnt_lo_u32_b32 v17, s17, 0
                                        ; implicit-def: $vgpr18
	s_delay_alu instid0(VALU_DEP_1)
	v_cmpx_eq_u32_e32 0, v17
	s_cbranch_execz .LBB7_100
; %bb.99:                               ;   in Loop: Header=BB7_6 Depth=1
	s_bcnt1_i32_b32 s17, s17
	s_delay_alu instid0(SALU_CYCLE_1)
	v_mov_b32_e32 v18, s17
	ds_add_rtn_u32 v18, v16, v18 offset:512
.LBB7_100:                              ;   in Loop: Header=BB7_6 Depth=1
	s_or_b32 exec_lo, exec_lo, s16
	s_waitcnt lgkmcnt(0)
	v_readfirstlane_b32 s16, v18
	s_mov_b32 s17, exec_lo
	s_delay_alu instid0(VALU_DEP_1) | instskip(SKIP_1) | instid1(VALU_DEP_1)
	v_add_nc_u32_e32 v18, s16, v17
	s_mov_b32 s16, 0
                                        ; implicit-def: $vgpr17
	v_cmpx_lt_i32_e64 v18, v22
	s_xor_b32 s17, exec_lo, s17
; %bb.101:                              ;   in Loop: Header=BB7_6 Depth=1
	v_xad_u32 v17, v18, -1, v9
	s_mov_b32 s16, exec_lo
; %bb.102:                              ;   in Loop: Header=BB7_6 Depth=1
	s_or_b32 exec_lo, exec_lo, s17
	s_delay_alu instid0(SALU_CYCLE_1)
	s_and_b32 s16, s16, exec_lo
.LBB7_103:                              ;   in Loop: Header=BB7_6 Depth=1
	s_or_b32 exec_lo, exec_lo, s15
	s_delay_alu instid0(SALU_CYCLE_1)
	s_and_b32 s15, s16, exec_lo
	s_and_not1_saveexec_b32 s0, s0
	s_cbranch_execz .LBB7_32
.LBB7_104:                              ;   in Loop: Header=BB7_6 Depth=1
	s_mov_b32 s17, exec_lo
	s_mov_b32 s16, exec_lo
	v_mbcnt_lo_u32_b32 v17, s17, 0
                                        ; implicit-def: $vgpr18
	s_delay_alu instid0(VALU_DEP_1)
	v_cmpx_eq_u32_e32 0, v17
	s_cbranch_execz .LBB7_106
; %bb.105:                              ;   in Loop: Header=BB7_6 Depth=1
	s_bcnt1_i32_b32 s17, s17
	s_delay_alu instid0(SALU_CYCLE_1)
	v_mov_b32_e32 v18, s17
	ds_add_rtn_u32 v18, v16, v18 offset:384
.LBB7_106:                              ;   in Loop: Header=BB7_6 Depth=1
	s_or_b32 exec_lo, exec_lo, s16
	s_waitcnt lgkmcnt(0)
	v_readfirstlane_b32 s16, v18
	s_or_b32 s15, s15, exec_lo
	s_delay_alu instid0(VALU_DEP_1)
	v_add_nc_u32_e32 v17, s16, v17
	s_or_b32 exec_lo, exec_lo, s0
	s_and_saveexec_b32 s0, s15
	s_cbranch_execnz .LBB7_33
	s_branch .LBB7_34
.LBB7_107:                              ;   in Loop: Header=BB7_6 Depth=1
	s_mov_b32 s16, 0
	s_mov_b32 s15, exec_lo
                                        ; implicit-def: $vgpr17
	v_cmpx_eq_u32_e64 v18, v23
	s_cbranch_execz .LBB7_113
; %bb.108:                              ;   in Loop: Header=BB7_6 Depth=1
	s_mov_b32 s17, exec_lo
	s_mov_b32 s16, exec_lo
	v_mbcnt_lo_u32_b32 v17, s17, 0
                                        ; implicit-def: $vgpr18
	s_delay_alu instid0(VALU_DEP_1)
	v_cmpx_eq_u32_e32 0, v17
	s_cbranch_execz .LBB7_110
; %bb.109:                              ;   in Loop: Header=BB7_6 Depth=1
	s_bcnt1_i32_b32 s17, s17
	s_delay_alu instid0(SALU_CYCLE_1)
	v_mov_b32_e32 v18, s17
	ds_add_rtn_u32 v18, v16, v18 offset:512
.LBB7_110:                              ;   in Loop: Header=BB7_6 Depth=1
	s_or_b32 exec_lo, exec_lo, s16
	s_waitcnt lgkmcnt(0)
	v_readfirstlane_b32 s16, v18
	s_mov_b32 s17, exec_lo
	s_delay_alu instid0(VALU_DEP_1) | instskip(SKIP_1) | instid1(VALU_DEP_1)
	v_add_nc_u32_e32 v18, s16, v17
	s_mov_b32 s16, 0
                                        ; implicit-def: $vgpr17
	v_cmpx_lt_i32_e64 v18, v22
	s_xor_b32 s17, exec_lo, s17
; %bb.111:                              ;   in Loop: Header=BB7_6 Depth=1
	v_xad_u32 v17, v18, -1, v9
	s_mov_b32 s16, exec_lo
; %bb.112:                              ;   in Loop: Header=BB7_6 Depth=1
	s_or_b32 exec_lo, exec_lo, s17
	s_delay_alu instid0(SALU_CYCLE_1)
	s_and_b32 s16, s16, exec_lo
.LBB7_113:                              ;   in Loop: Header=BB7_6 Depth=1
	s_or_b32 exec_lo, exec_lo, s15
	s_delay_alu instid0(SALU_CYCLE_1)
	s_and_b32 s15, s16, exec_lo
	s_and_not1_saveexec_b32 s0, s0
	s_cbranch_execz .LBB7_36
.LBB7_114:                              ;   in Loop: Header=BB7_6 Depth=1
	s_mov_b32 s17, exec_lo
	s_mov_b32 s16, exec_lo
	v_mbcnt_lo_u32_b32 v17, s17, 0
                                        ; implicit-def: $vgpr18
	s_delay_alu instid0(VALU_DEP_1)
	v_cmpx_eq_u32_e32 0, v17
	s_cbranch_execz .LBB7_116
; %bb.115:                              ;   in Loop: Header=BB7_6 Depth=1
	s_bcnt1_i32_b32 s17, s17
	s_delay_alu instid0(SALU_CYCLE_1)
	v_mov_b32_e32 v18, s17
	ds_add_rtn_u32 v18, v16, v18 offset:384
.LBB7_116:                              ;   in Loop: Header=BB7_6 Depth=1
	s_or_b32 exec_lo, exec_lo, s16
	s_waitcnt lgkmcnt(0)
	v_readfirstlane_b32 s16, v18
	s_or_b32 s15, s15, exec_lo
	s_delay_alu instid0(VALU_DEP_1)
	v_add_nc_u32_e32 v17, s16, v17
	s_or_b32 exec_lo, exec_lo, s0
	s_and_saveexec_b32 s0, s15
	s_cbranch_execz .LBB7_5
.LBB7_117:                              ;   in Loop: Header=BB7_6 Depth=1
	s_delay_alu instid0(VALU_DEP_1) | instskip(NEXT) | instid1(VALU_DEP_1)
	v_ashrrev_i32_e32 v18, 31, v17
	v_lshlrev_b64 v[17:18], 2, v[17:18]
	s_delay_alu instid0(VALU_DEP_1) | instskip(SKIP_1) | instid1(VALU_DEP_2)
	v_add_co_u32 v25, vcc_lo, v4, v17
	s_waitcnt vmcnt(1) lgkmcnt(1)
	v_add_co_ci_u32_e32 v26, vcc_lo, v5, v18, vcc_lo
	v_add_co_u32 v17, vcc_lo, v6, v17
	v_add_co_ci_u32_e32 v18, vcc_lo, v7, v18, vcc_lo
	flat_store_b32 v[25:26], v15
	s_waitcnt vmcnt(0) lgkmcnt(1)
	flat_store_b32 v[17:18], v24
	s_branch .LBB7_5
.LBB7_118:
	s_or_b32 exec_lo, exec_lo, s11
.LBB7_119:
	s_delay_alu instid0(SALU_CYCLE_1) | instskip(NEXT) | instid1(SALU_CYCLE_1)
	s_or_b32 exec_lo, exec_lo, s3
	s_mov_b32 s3, exec_lo
	v_cmpx_lt_i32_e64 v10, v8
	s_cbranch_execz .LBB7_136
; %bb.120:
	v_mov_b32_e32 v11, 0
	v_lshlrev_b32_e64 v16, v19, -1
	s_mov_b32 s4, 0
	s_lshl_b32 s5, s2, 2
	s_delay_alu instid0(VALU_DEP_2)
	v_lshlrev_b64 v[12:13], 2, v[10:11]
	s_branch .LBB7_122
.LBB7_121:                              ;   in Loop: Header=BB7_122 Depth=1
	s_or_b32 exec_lo, exec_lo, s0
	v_add_nc_u32_e32 v10, s2, v10
	v_add_co_u32 v12, s0, v12, s5
	s_delay_alu instid0(VALU_DEP_1) | instskip(NEXT) | instid1(VALU_DEP_3)
	v_add_co_ci_u32_e64 v13, s0, 0, v13, s0
	v_cmp_ge_i32_e32 vcc_lo, v10, v8
	s_or_b32 s4, vcc_lo, s4
	s_delay_alu instid0(SALU_CYCLE_1)
	s_and_not1_b32 exec_lo, exec_lo, s4
	s_cbranch_execz .LBB7_136
.LBB7_122:                              ; =>This Inner Loop Header: Depth=1
	s_delay_alu instid0(VALU_DEP_1) | instskip(NEXT) | instid1(VALU_DEP_2)
	v_add_co_u32 v14, vcc_lo, v0, v12
	v_add_co_ci_u32_e32 v15, vcc_lo, v1, v13, vcc_lo
	s_mov_b32 s6, 0
	s_mov_b32 s0, exec_lo
	flat_load_b32 v17, v[14:15]
	v_add_co_u32 v14, vcc_lo, v2, v12
	v_add_co_ci_u32_e32 v15, vcc_lo, v3, v13, vcc_lo
	s_waitcnt vmcnt(1) lgkmcnt(1)
	flat_load_b32 v18, v[14:15]
	s_waitcnt vmcnt(1) lgkmcnt(1)
	v_cmp_gt_i32_e32 vcc_lo, 0, v17
	v_cndmask_b32_e64 v14, 0x7fffffff, 0, vcc_lo
	s_delay_alu instid0(VALU_DEP_1) | instskip(NEXT) | instid1(VALU_DEP_1)
	v_xor_b32_e32 v14, v14, v17
	v_and_b32_e32 v15, v14, v16
                                        ; implicit-def: $vgpr14
	s_delay_alu instid0(VALU_DEP_1)
	v_cmpx_ge_u32_e64 v15, v23
	s_xor_b32 s0, exec_lo, s0
	s_cbranch_execnz .LBB7_125
; %bb.123:                              ;   in Loop: Header=BB7_122 Depth=1
	s_and_not1_saveexec_b32 s0, s0
	s_cbranch_execnz .LBB7_132
.LBB7_124:                              ;   in Loop: Header=BB7_122 Depth=1
	s_or_b32 exec_lo, exec_lo, s0
	s_and_saveexec_b32 s0, s6
	s_cbranch_execz .LBB7_121
	s_branch .LBB7_135
.LBB7_125:                              ;   in Loop: Header=BB7_122 Depth=1
	s_mov_b32 s7, 0
	s_mov_b32 s6, exec_lo
                                        ; implicit-def: $vgpr14
	v_cmpx_eq_u32_e64 v15, v23
	s_cbranch_execz .LBB7_131
; %bb.126:                              ;   in Loop: Header=BB7_122 Depth=1
	s_mov_b32 s10, exec_lo
	s_mov_b32 s7, exec_lo
	v_mbcnt_lo_u32_b32 v14, s10, 0
                                        ; implicit-def: $vgpr15
	s_delay_alu instid0(VALU_DEP_1)
	v_cmpx_eq_u32_e32 0, v14
	s_cbranch_execz .LBB7_128
; %bb.127:                              ;   in Loop: Header=BB7_122 Depth=1
	s_bcnt1_i32_b32 s10, s10
	s_delay_alu instid0(SALU_CYCLE_1)
	v_mov_b32_e32 v15, s10
	ds_add_rtn_u32 v15, v11, v15 offset:512
.LBB7_128:                              ;   in Loop: Header=BB7_122 Depth=1
	s_or_b32 exec_lo, exec_lo, s7
	s_waitcnt lgkmcnt(0)
	v_readfirstlane_b32 s7, v15
	s_mov_b32 s10, exec_lo
	s_delay_alu instid0(VALU_DEP_1) | instskip(SKIP_1) | instid1(VALU_DEP_1)
	v_add_nc_u32_e32 v15, s7, v14
	s_mov_b32 s7, 0
                                        ; implicit-def: $vgpr14
	v_cmpx_lt_i32_e64 v15, v22
	s_xor_b32 s10, exec_lo, s10
; %bb.129:                              ;   in Loop: Header=BB7_122 Depth=1
	v_xad_u32 v14, v15, -1, v9
	s_mov_b32 s7, exec_lo
; %bb.130:                              ;   in Loop: Header=BB7_122 Depth=1
	s_or_b32 exec_lo, exec_lo, s10
	s_delay_alu instid0(SALU_CYCLE_1)
	s_and_b32 s7, s7, exec_lo
.LBB7_131:                              ;   in Loop: Header=BB7_122 Depth=1
	s_or_b32 exec_lo, exec_lo, s6
	s_delay_alu instid0(SALU_CYCLE_1)
	s_and_b32 s6, s7, exec_lo
	s_and_not1_saveexec_b32 s0, s0
	s_cbranch_execz .LBB7_124
.LBB7_132:                              ;   in Loop: Header=BB7_122 Depth=1
	s_mov_b32 s10, exec_lo
	s_mov_b32 s7, exec_lo
	v_mbcnt_lo_u32_b32 v14, s10, 0
                                        ; implicit-def: $vgpr15
	s_delay_alu instid0(VALU_DEP_1)
	v_cmpx_eq_u32_e32 0, v14
	s_cbranch_execz .LBB7_134
; %bb.133:                              ;   in Loop: Header=BB7_122 Depth=1
	s_bcnt1_i32_b32 s10, s10
	s_delay_alu instid0(SALU_CYCLE_1)
	v_mov_b32_e32 v15, s10
	ds_add_rtn_u32 v15, v11, v15 offset:384
.LBB7_134:                              ;   in Loop: Header=BB7_122 Depth=1
	s_or_b32 exec_lo, exec_lo, s7
	s_waitcnt lgkmcnt(0)
	v_readfirstlane_b32 s7, v15
	s_or_b32 s6, s6, exec_lo
	s_delay_alu instid0(VALU_DEP_1)
	v_add_nc_u32_e32 v14, s7, v14
	s_or_b32 exec_lo, exec_lo, s0
	s_and_saveexec_b32 s0, s6
	s_cbranch_execz .LBB7_121
.LBB7_135:                              ;   in Loop: Header=BB7_122 Depth=1
	s_delay_alu instid0(VALU_DEP_1) | instskip(NEXT) | instid1(VALU_DEP_1)
	v_ashrrev_i32_e32 v15, 31, v14
	v_lshlrev_b64 v[14:15], 2, v[14:15]
	s_delay_alu instid0(VALU_DEP_1) | instskip(NEXT) | instid1(VALU_DEP_2)
	v_add_co_u32 v19, vcc_lo, v4, v14
	v_add_co_ci_u32_e32 v20, vcc_lo, v5, v15, vcc_lo
	v_add_co_u32 v14, vcc_lo, v6, v14
	v_add_co_ci_u32_e32 v15, vcc_lo, v7, v15, vcc_lo
	flat_store_b32 v[19:20], v17
	s_waitcnt vmcnt(0) lgkmcnt(1)
	flat_store_b32 v[14:15], v18
	s_branch .LBB7_121
.LBB7_136:
	s_or_b32 exec_lo, exec_lo, s3
                                        ; implicit-def: $vgpr19
                                        ; implicit-def: $vgpr0
                                        ; implicit-def: $vgpr1
                                        ; implicit-def: $vgpr4
                                        ; implicit-def: $vgpr5
                                        ; implicit-def: $vgpr6
                                        ; implicit-def: $vgpr7
                                        ; implicit-def: $vgpr8
                                        ; implicit-def: $vgpr9
                                        ; implicit-def: $vgpr22_vgpr23
                                        ; implicit-def: $vgpr24
	s_and_not1_saveexec_b32 s0, s1
	s_cbranch_execz .LBB7_2
.LBB7_137:
	s_load_b32 s1, s[8:9], 0x0
	v_dual_mov_b32 v25, 0 :: v_dual_and_b32 v2, 15, v0
	v_lshlrev_b32_e64 v33, v19, -1
	s_waitcnt vmcnt(0) lgkmcnt(0)
	v_mov_b32_e32 v28, v24
	s_delay_alu instid0(VALU_DEP_3) | instskip(NEXT) | instid1(VALU_DEP_1)
	v_sub_nc_u32_e32 v11, 16, v2
	v_lshrrev_b32_e32 v11, 2, v11
	v_mov_b32_e32 v3, v25
	s_delay_alu instid0(VALU_DEP_1)
	v_cmp_ne_u64_e32 vcc_lo, 0, v[2:3]
	s_cmp_lt_u32 s12, s1
	s_cselect_b32 s1, 12, 18
	v_cndmask_b32_e32 v2, 0, v11, vcc_lo
	s_add_u32 s2, s8, s1
	s_addc_u32 s3, s9, 0
	global_load_u16 v10, v25, s[2:3]
	v_min_i32_e32 v2, v2, v8
	s_mov_b32 s2, 0
	s_delay_alu instid0(VALU_DEP_1) | instskip(NEXT) | instid1(VALU_DEP_1)
	v_sub_nc_u32_e32 v3, v8, v2
	v_ashrrev_i32_e32 v11, 31, v3
	s_delay_alu instid0(VALU_DEP_1) | instskip(SKIP_2) | instid1(VALU_DEP_2)
	v_lshrrev_b32_e32 v11, 30, v11
	s_waitcnt vmcnt(0)
	v_and_b32_e32 v34, 0xffff, v10
	v_add_nc_u32_e32 v10, v3, v11
	v_ashrrev_i32_e32 v3, 31, v2
	s_delay_alu instid0(VALU_DEP_3) | instskip(NEXT) | instid1(VALU_DEP_3)
	v_mul_lo_u32 v37, v34, 3
	v_ashrrev_i32_e32 v26, 2, v10
	s_delay_alu instid0(VALU_DEP_3) | instskip(SKIP_1) | instid1(VALU_DEP_3)
	v_lshlrev_b64 v[10:11], 2, v[2:3]
	v_lshlrev_b32_e32 v36, 2, v34
	v_ashrrev_i32_e32 v27, 31, v26
	v_add_co_u32 v30, s1, v37, v24
	s_delay_alu instid0(VALU_DEP_4) | instskip(SKIP_3) | instid1(VALU_DEP_2)
	v_add_co_u32 v3, vcc_lo, v0, v10
	v_add_co_ci_u32_e64 v31, null, 0, 0, s1
	v_add_co_ci_u32_e32 v35, vcc_lo, v1, v11, vcc_lo
	s_mov_b32 s1, exec_lo
	v_cmpx_lt_u64_e64 v[30:31], v[26:27]
	s_cbranch_execz .LBB7_365
; %bb.138:
	v_dual_mov_b32 v29, v25 :: v_dual_lshlrev_b32 v38, 4, v34
	v_mov_b32_e32 v28, v24
	s_branch .LBB7_140
.LBB7_139:                              ;   in Loop: Header=BB7_140 Depth=1
	s_or_b32 exec_lo, exec_lo, s3
	v_add_nc_u32_e32 v28, v36, v28
	s_delay_alu instid0(VALU_DEP_1) | instskip(SKIP_1) | instid1(VALU_DEP_2)
	v_ashrrev_i32_e32 v29, 31, v28
	v_add_co_u32 v30, vcc_lo, v37, v28
	v_add_co_ci_u32_e32 v31, vcc_lo, 0, v29, vcc_lo
	s_delay_alu instid0(VALU_DEP_1) | instskip(SKIP_1) | instid1(SALU_CYCLE_1)
	v_cmp_ge_u64_e32 vcc_lo, v[30:31], v[26:27]
	s_or_b32 s2, vcc_lo, s2
	s_and_not1_b32 exec_lo, exec_lo, s2
	s_cbranch_execz .LBB7_364
.LBB7_140:                              ; =>This Inner Loop Header: Depth=1
	s_delay_alu instid0(VALU_DEP_1) | instskip(SKIP_2) | instid1(VALU_DEP_1)
	v_lshlrev_b64 v[10:11], 4, v[28:29]
	s_mov_b32 s4, 0
	s_mov_b32 s3, exec_lo
	v_add_co_u32 v14, vcc_lo, v3, v10
	s_delay_alu instid0(VALU_DEP_2) | instskip(NEXT) | instid1(VALU_DEP_2)
	v_add_co_ci_u32_e32 v15, vcc_lo, v35, v11, vcc_lo
	v_add_co_u32 v18, vcc_lo, v14, v38
	flat_load_b128 v[10:13], v[14:15]
	v_add_co_ci_u32_e32 v19, vcc_lo, 0, v15, vcc_lo
	flat_load_b128 v[14:17], v[18:19]
	s_waitcnt vmcnt(1) lgkmcnt(1)
	v_cmp_gt_i32_e32 vcc_lo, 0, v10
	v_cndmask_b32_e64 v20, 0x7fffffff, 0, vcc_lo
	s_delay_alu instid0(VALU_DEP_1) | instskip(NEXT) | instid1(VALU_DEP_1)
	v_xor_b32_e32 v20, v20, v10
	v_and_b32_e32 v21, v20, v33
                                        ; implicit-def: $vgpr20
	s_delay_alu instid0(VALU_DEP_1)
	v_cmpx_ge_u32_e64 v21, v23
	s_xor_b32 s3, exec_lo, s3
	s_cbranch_execnz .LBB7_223
; %bb.141:                              ;   in Loop: Header=BB7_140 Depth=1
	s_and_not1_saveexec_b32 s3, s3
	s_cbranch_execnz .LBB7_230
.LBB7_142:                              ;   in Loop: Header=BB7_140 Depth=1
	s_or_b32 exec_lo, exec_lo, s3
	v_lshl_add_u32 v29, v28, 2, v2
	s_and_saveexec_b32 s3, s4
	s_cbranch_execz .LBB7_144
.LBB7_143:                              ;   in Loop: Header=BB7_140 Depth=1
	v_ashrrev_i32_e32 v21, 31, v20
	s_delay_alu instid0(VALU_DEP_1) | instskip(NEXT) | instid1(VALU_DEP_1)
	v_lshlrev_b64 v[20:21], 2, v[20:21]
	v_add_co_u32 v48, vcc_lo, v4, v20
	s_delay_alu instid0(VALU_DEP_2)
	v_add_co_ci_u32_e32 v49, vcc_lo, v5, v21, vcc_lo
	v_add_co_u32 v20, vcc_lo, v6, v20
	v_add_co_ci_u32_e32 v21, vcc_lo, v7, v21, vcc_lo
	flat_store_b32 v[48:49], v10
	flat_store_b32 v[20:21], v29
.LBB7_144:                              ;   in Loop: Header=BB7_140 Depth=1
	s_or_b32 exec_lo, exec_lo, s3
	v_cmp_gt_i32_e32 vcc_lo, 0, v11
	s_mov_b32 s4, 0
	s_mov_b32 s3, exec_lo
                                        ; implicit-def: $vgpr20
	v_cndmask_b32_e64 v10, 0x7fffffff, 0, vcc_lo
	s_delay_alu instid0(VALU_DEP_1) | instskip(NEXT) | instid1(VALU_DEP_1)
	v_xor_b32_e32 v10, v10, v11
	v_and_b32_e32 v10, v10, v33
	s_delay_alu instid0(VALU_DEP_1)
	v_cmpx_ge_u32_e64 v10, v23
	s_xor_b32 s3, exec_lo, s3
	s_cbranch_execnz .LBB7_233
; %bb.145:                              ;   in Loop: Header=BB7_140 Depth=1
	s_and_not1_saveexec_b32 s3, s3
	s_cbranch_execnz .LBB7_240
.LBB7_146:                              ;   in Loop: Header=BB7_140 Depth=1
	s_or_b32 exec_lo, exec_lo, s3
	s_and_saveexec_b32 s3, s4
	s_cbranch_execz .LBB7_148
.LBB7_147:                              ;   in Loop: Header=BB7_140 Depth=1
	v_ashrrev_i32_e32 v21, 31, v20
	v_add_nc_u32_e32 v10, 1, v29
	s_delay_alu instid0(VALU_DEP_2) | instskip(NEXT) | instid1(VALU_DEP_1)
	v_lshlrev_b64 v[20:21], 2, v[20:21]
	v_add_co_u32 v48, vcc_lo, v4, v20
	s_delay_alu instid0(VALU_DEP_2)
	v_add_co_ci_u32_e32 v49, vcc_lo, v5, v21, vcc_lo
	v_add_co_u32 v20, vcc_lo, v6, v20
	v_add_co_ci_u32_e32 v21, vcc_lo, v7, v21, vcc_lo
	flat_store_b32 v[48:49], v11
	flat_store_b32 v[20:21], v10
.LBB7_148:                              ;   in Loop: Header=BB7_140 Depth=1
	s_or_b32 exec_lo, exec_lo, s3
	v_cmp_gt_i32_e32 vcc_lo, 0, v12
	s_mov_b32 s4, 0
	s_mov_b32 s3, exec_lo
	v_cndmask_b32_e64 v10, 0x7fffffff, 0, vcc_lo
	s_delay_alu instid0(VALU_DEP_1) | instskip(NEXT) | instid1(VALU_DEP_1)
	v_xor_b32_e32 v10, v10, v12
	v_and_b32_e32 v11, v10, v33
                                        ; implicit-def: $vgpr10
	s_delay_alu instid0(VALU_DEP_1)
	v_cmpx_ge_u32_e64 v11, v23
	s_xor_b32 s3, exec_lo, s3
	s_cbranch_execnz .LBB7_243
; %bb.149:                              ;   in Loop: Header=BB7_140 Depth=1
	s_and_not1_saveexec_b32 s3, s3
	s_cbranch_execnz .LBB7_250
.LBB7_150:                              ;   in Loop: Header=BB7_140 Depth=1
	s_or_b32 exec_lo, exec_lo, s3
	s_and_saveexec_b32 s3, s4
	s_cbranch_execz .LBB7_152
.LBB7_151:                              ;   in Loop: Header=BB7_140 Depth=1
	v_ashrrev_i32_e32 v11, 31, v10
	v_add_nc_u32_e32 v32, 2, v29
	s_delay_alu instid0(VALU_DEP_2) | instskip(NEXT) | instid1(VALU_DEP_1)
	v_lshlrev_b64 v[10:11], 2, v[10:11]
	v_add_co_u32 v20, vcc_lo, v4, v10
	s_delay_alu instid0(VALU_DEP_2)
	v_add_co_ci_u32_e32 v21, vcc_lo, v5, v11, vcc_lo
	v_add_co_u32 v10, vcc_lo, v6, v10
	v_add_co_ci_u32_e32 v11, vcc_lo, v7, v11, vcc_lo
	flat_store_b32 v[20:21], v12
	flat_store_b32 v[10:11], v32
.LBB7_152:                              ;   in Loop: Header=BB7_140 Depth=1
	s_or_b32 exec_lo, exec_lo, s3
	v_cmp_gt_i32_e32 vcc_lo, 0, v13
	s_mov_b32 s4, 0
	s_mov_b32 s3, exec_lo
	v_cndmask_b32_e64 v10, 0x7fffffff, 0, vcc_lo
	s_delay_alu instid0(VALU_DEP_1) | instskip(NEXT) | instid1(VALU_DEP_1)
	v_xor_b32_e32 v10, v10, v13
	v_and_b32_e32 v11, v10, v33
                                        ; implicit-def: $vgpr10
	s_delay_alu instid0(VALU_DEP_1)
	v_cmpx_ge_u32_e64 v11, v23
	s_xor_b32 s3, exec_lo, s3
	s_cbranch_execnz .LBB7_253
; %bb.153:                              ;   in Loop: Header=BB7_140 Depth=1
	s_and_not1_saveexec_b32 s3, s3
	s_cbranch_execnz .LBB7_260
.LBB7_154:                              ;   in Loop: Header=BB7_140 Depth=1
	s_or_b32 exec_lo, exec_lo, s3
	s_and_saveexec_b32 s3, s4
	s_cbranch_execz .LBB7_156
.LBB7_155:                              ;   in Loop: Header=BB7_140 Depth=1
	v_ashrrev_i32_e32 v11, 31, v10
	v_add_nc_u32_e32 v12, 3, v29
	s_delay_alu instid0(VALU_DEP_2) | instskip(NEXT) | instid1(VALU_DEP_1)
	v_lshlrev_b64 v[10:11], 2, v[10:11]
	v_add_co_u32 v20, vcc_lo, v4, v10
	s_delay_alu instid0(VALU_DEP_2)
	v_add_co_ci_u32_e32 v21, vcc_lo, v5, v11, vcc_lo
	v_add_co_u32 v10, vcc_lo, v6, v10
	v_add_co_ci_u32_e32 v11, vcc_lo, v7, v11, vcc_lo
	flat_store_b32 v[20:21], v13
	flat_store_b32 v[10:11], v12
.LBB7_156:                              ;   in Loop: Header=BB7_140 Depth=1
	s_or_b32 exec_lo, exec_lo, s3
	v_lshlrev_b64 v[10:11], 4, v[30:31]
	v_add_co_u32 v12, vcc_lo, v18, v38
	v_add_co_ci_u32_e32 v13, vcc_lo, 0, v19, vcc_lo
	s_mov_b32 s4, 0
	s_delay_alu instid0(VALU_DEP_3) | instskip(NEXT) | instid1(VALU_DEP_4)
	v_add_co_u32 v10, vcc_lo, v3, v10
	v_add_co_ci_u32_e32 v11, vcc_lo, v35, v11, vcc_lo
	s_waitcnt vmcnt(0) lgkmcnt(0)
	v_cmp_gt_i32_e32 vcc_lo, 0, v14
	s_mov_b32 s3, exec_lo
	s_clause 0x1
	flat_load_b128 v[18:21], v[12:13]
	flat_load_b128 v[10:13], v[10:11]
                                        ; implicit-def: $vgpr31
	v_cndmask_b32_e64 v29, 0x7fffffff, 0, vcc_lo
	s_delay_alu instid0(VALU_DEP_1) | instskip(NEXT) | instid1(VALU_DEP_1)
	v_xor_b32_e32 v29, v29, v14
	v_and_b32_e32 v29, v29, v33
	s_delay_alu instid0(VALU_DEP_1)
	v_cmpx_ge_u32_e64 v29, v23
	s_xor_b32 s3, exec_lo, s3
	s_cbranch_execz .LBB7_164
; %bb.157:                              ;   in Loop: Header=BB7_140 Depth=1
	s_mov_b32 s5, 0
	s_mov_b32 s4, exec_lo
                                        ; implicit-def: $vgpr31
	v_cmpx_eq_u32_e64 v29, v23
	s_cbranch_execz .LBB7_163
; %bb.158:                              ;   in Loop: Header=BB7_140 Depth=1
	s_mov_b32 s6, exec_lo
	s_mov_b32 s5, exec_lo
	v_mbcnt_lo_u32_b32 v29, s6, 0
                                        ; implicit-def: $vgpr31
	s_delay_alu instid0(VALU_DEP_1)
	v_cmpx_eq_u32_e32 0, v29
	s_cbranch_execz .LBB7_160
; %bb.159:                              ;   in Loop: Header=BB7_140 Depth=1
	s_bcnt1_i32_b32 s6, s6
	s_delay_alu instid0(SALU_CYCLE_1)
	v_mov_b32_e32 v31, s6
	ds_add_rtn_u32 v31, v25, v31 offset:512
.LBB7_160:                              ;   in Loop: Header=BB7_140 Depth=1
	s_or_b32 exec_lo, exec_lo, s5
	s_waitcnt lgkmcnt(0)
	v_readfirstlane_b32 s5, v31
	s_mov_b32 s6, exec_lo
                                        ; implicit-def: $vgpr31
	s_delay_alu instid0(VALU_DEP_1) | instskip(SKIP_1) | instid1(VALU_DEP_1)
	v_add_nc_u32_e32 v29, s5, v29
	s_mov_b32 s5, 0
	v_cmpx_lt_i32_e64 v29, v22
	s_xor_b32 s6, exec_lo, s6
; %bb.161:                              ;   in Loop: Header=BB7_140 Depth=1
	v_xad_u32 v31, v29, -1, v9
	s_mov_b32 s5, exec_lo
; %bb.162:                              ;   in Loop: Header=BB7_140 Depth=1
	s_or_b32 exec_lo, exec_lo, s6
	s_delay_alu instid0(SALU_CYCLE_1)
	s_and_b32 s5, s5, exec_lo
.LBB7_163:                              ;   in Loop: Header=BB7_140 Depth=1
	s_or_b32 exec_lo, exec_lo, s4
	s_delay_alu instid0(SALU_CYCLE_1)
	s_and_b32 s4, s5, exec_lo
.LBB7_164:                              ;   in Loop: Header=BB7_140 Depth=1
	s_and_not1_saveexec_b32 s3, s3
	s_cbranch_execz .LBB7_168
; %bb.165:                              ;   in Loop: Header=BB7_140 Depth=1
	s_mov_b32 s6, exec_lo
	s_mov_b32 s5, exec_lo
	v_mbcnt_lo_u32_b32 v29, s6, 0
                                        ; implicit-def: $vgpr31
	s_delay_alu instid0(VALU_DEP_1)
	v_cmpx_eq_u32_e32 0, v29
	s_cbranch_execz .LBB7_167
; %bb.166:                              ;   in Loop: Header=BB7_140 Depth=1
	s_bcnt1_i32_b32 s6, s6
	s_delay_alu instid0(SALU_CYCLE_1)
	v_mov_b32_e32 v31, s6
	ds_add_rtn_u32 v31, v25, v31 offset:384
.LBB7_167:                              ;   in Loop: Header=BB7_140 Depth=1
	s_or_b32 exec_lo, exec_lo, s5
	s_waitcnt lgkmcnt(0)
	v_readfirstlane_b32 s5, v31
	s_or_b32 s4, s4, exec_lo
	s_delay_alu instid0(VALU_DEP_1)
	v_add_nc_u32_e32 v31, s5, v29
.LBB7_168:                              ;   in Loop: Header=BB7_140 Depth=1
	s_or_b32 exec_lo, exec_lo, s3
	v_add_co_u32 v29, null, v28, v34
	s_delay_alu instid0(VALU_DEP_1)
	v_lshl_add_u32 v39, v29, 2, v2
	s_and_saveexec_b32 s3, s4
	s_cbranch_execz .LBB7_170
; %bb.169:                              ;   in Loop: Header=BB7_140 Depth=1
	v_ashrrev_i32_e32 v32, 31, v31
	s_delay_alu instid0(VALU_DEP_1) | instskip(NEXT) | instid1(VALU_DEP_1)
	v_lshlrev_b64 v[31:32], 2, v[31:32]
	v_add_co_u32 v48, vcc_lo, v4, v31
	s_delay_alu instid0(VALU_DEP_2)
	v_add_co_ci_u32_e32 v49, vcc_lo, v5, v32, vcc_lo
	v_add_co_u32 v31, vcc_lo, v6, v31
	v_add_co_ci_u32_e32 v32, vcc_lo, v7, v32, vcc_lo
	flat_store_b32 v[48:49], v14
	flat_store_b32 v[31:32], v39
.LBB7_170:                              ;   in Loop: Header=BB7_140 Depth=1
	s_or_b32 exec_lo, exec_lo, s3
	v_cmp_gt_i32_e32 vcc_lo, 0, v15
	s_mov_b32 s4, 0
	s_mov_b32 s3, exec_lo
                                        ; implicit-def: $vgpr31
	v_cndmask_b32_e64 v14, 0x7fffffff, 0, vcc_lo
	s_delay_alu instid0(VALU_DEP_1) | instskip(NEXT) | instid1(VALU_DEP_1)
	v_xor_b32_e32 v14, v14, v15
	v_and_b32_e32 v14, v14, v33
	s_delay_alu instid0(VALU_DEP_1)
	v_cmpx_ge_u32_e64 v14, v23
	s_xor_b32 s3, exec_lo, s3
	s_cbranch_execnz .LBB7_263
; %bb.171:                              ;   in Loop: Header=BB7_140 Depth=1
	s_and_not1_saveexec_b32 s3, s3
	s_cbranch_execnz .LBB7_270
.LBB7_172:                              ;   in Loop: Header=BB7_140 Depth=1
	s_or_b32 exec_lo, exec_lo, s3
	s_and_saveexec_b32 s3, s4
	s_cbranch_execz .LBB7_174
.LBB7_173:                              ;   in Loop: Header=BB7_140 Depth=1
	v_ashrrev_i32_e32 v32, 31, v31
	v_add_nc_u32_e32 v14, 1, v39
	s_delay_alu instid0(VALU_DEP_2) | instskip(NEXT) | instid1(VALU_DEP_1)
	v_lshlrev_b64 v[31:32], 2, v[31:32]
	v_add_co_u32 v48, vcc_lo, v4, v31
	s_delay_alu instid0(VALU_DEP_2)
	v_add_co_ci_u32_e32 v49, vcc_lo, v5, v32, vcc_lo
	v_add_co_u32 v31, vcc_lo, v6, v31
	v_add_co_ci_u32_e32 v32, vcc_lo, v7, v32, vcc_lo
	flat_store_b32 v[48:49], v15
	flat_store_b32 v[31:32], v14
.LBB7_174:                              ;   in Loop: Header=BB7_140 Depth=1
	s_or_b32 exec_lo, exec_lo, s3
	v_cmp_gt_i32_e32 vcc_lo, 0, v16
	s_mov_b32 s4, 0
	s_mov_b32 s3, exec_lo
	v_cndmask_b32_e64 v14, 0x7fffffff, 0, vcc_lo
	s_delay_alu instid0(VALU_DEP_1) | instskip(NEXT) | instid1(VALU_DEP_1)
	v_xor_b32_e32 v14, v14, v16
	v_and_b32_e32 v15, v14, v33
                                        ; implicit-def: $vgpr14
	s_delay_alu instid0(VALU_DEP_1)
	v_cmpx_ge_u32_e64 v15, v23
	s_xor_b32 s3, exec_lo, s3
	s_cbranch_execnz .LBB7_273
; %bb.175:                              ;   in Loop: Header=BB7_140 Depth=1
	s_and_not1_saveexec_b32 s3, s3
	s_cbranch_execnz .LBB7_280
.LBB7_176:                              ;   in Loop: Header=BB7_140 Depth=1
	s_or_b32 exec_lo, exec_lo, s3
	s_and_saveexec_b32 s3, s4
	s_cbranch_execz .LBB7_178
.LBB7_177:                              ;   in Loop: Header=BB7_140 Depth=1
	v_ashrrev_i32_e32 v15, 31, v14
	v_add_nc_u32_e32 v48, 2, v39
	s_delay_alu instid0(VALU_DEP_2) | instskip(NEXT) | instid1(VALU_DEP_1)
	v_lshlrev_b64 v[14:15], 2, v[14:15]
	v_add_co_u32 v31, vcc_lo, v4, v14
	s_delay_alu instid0(VALU_DEP_2)
	v_add_co_ci_u32_e32 v32, vcc_lo, v5, v15, vcc_lo
	v_add_co_u32 v14, vcc_lo, v6, v14
	v_add_co_ci_u32_e32 v15, vcc_lo, v7, v15, vcc_lo
	flat_store_b32 v[31:32], v16
	flat_store_b32 v[14:15], v48
.LBB7_178:                              ;   in Loop: Header=BB7_140 Depth=1
	s_or_b32 exec_lo, exec_lo, s3
	v_cmp_gt_i32_e32 vcc_lo, 0, v17
	s_mov_b32 s4, 0
	s_mov_b32 s3, exec_lo
	v_cndmask_b32_e64 v14, 0x7fffffff, 0, vcc_lo
	s_delay_alu instid0(VALU_DEP_1) | instskip(NEXT) | instid1(VALU_DEP_1)
	v_xor_b32_e32 v14, v14, v17
	v_and_b32_e32 v15, v14, v33
                                        ; implicit-def: $vgpr14
	s_delay_alu instid0(VALU_DEP_1)
	v_cmpx_ge_u32_e64 v15, v23
	s_xor_b32 s3, exec_lo, s3
	s_cbranch_execnz .LBB7_283
; %bb.179:                              ;   in Loop: Header=BB7_140 Depth=1
	s_and_not1_saveexec_b32 s3, s3
	s_cbranch_execnz .LBB7_290
.LBB7_180:                              ;   in Loop: Header=BB7_140 Depth=1
	s_or_b32 exec_lo, exec_lo, s3
	s_and_saveexec_b32 s3, s4
	s_cbranch_execz .LBB7_182
.LBB7_181:                              ;   in Loop: Header=BB7_140 Depth=1
	v_ashrrev_i32_e32 v15, 31, v14
	v_add_nc_u32_e32 v16, 3, v39
	s_delay_alu instid0(VALU_DEP_2) | instskip(NEXT) | instid1(VALU_DEP_1)
	v_lshlrev_b64 v[14:15], 2, v[14:15]
	v_add_co_u32 v31, vcc_lo, v4, v14
	s_delay_alu instid0(VALU_DEP_2)
	v_add_co_ci_u32_e32 v32, vcc_lo, v5, v15, vcc_lo
	v_add_co_u32 v14, vcc_lo, v6, v14
	v_add_co_ci_u32_e32 v15, vcc_lo, v7, v15, vcc_lo
	flat_store_b32 v[31:32], v17
	flat_store_b32 v[14:15], v16
.LBB7_182:                              ;   in Loop: Header=BB7_140 Depth=1
	s_or_b32 exec_lo, exec_lo, s3
	s_waitcnt vmcnt(1) lgkmcnt(1)
	v_cmp_gt_i32_e32 vcc_lo, 0, v18
	s_mov_b32 s4, 0
	s_mov_b32 s3, exec_lo
	v_cndmask_b32_e64 v14, 0x7fffffff, 0, vcc_lo
	s_delay_alu instid0(VALU_DEP_1) | instskip(NEXT) | instid1(VALU_DEP_1)
	v_xor_b32_e32 v14, v14, v18
	v_and_b32_e32 v15, v14, v33
                                        ; implicit-def: $vgpr14
	s_delay_alu instid0(VALU_DEP_1)
	v_cmpx_ge_u32_e64 v15, v23
	s_xor_b32 s3, exec_lo, s3
	s_cbranch_execz .LBB7_190
; %bb.183:                              ;   in Loop: Header=BB7_140 Depth=1
	s_mov_b32 s5, 0
	s_mov_b32 s4, exec_lo
                                        ; implicit-def: $vgpr14
	v_cmpx_eq_u32_e64 v15, v23
	s_cbranch_execz .LBB7_189
; %bb.184:                              ;   in Loop: Header=BB7_140 Depth=1
	s_mov_b32 s6, exec_lo
	s_mov_b32 s5, exec_lo
	v_mbcnt_lo_u32_b32 v14, s6, 0
                                        ; implicit-def: $vgpr15
	s_delay_alu instid0(VALU_DEP_1)
	v_cmpx_eq_u32_e32 0, v14
	s_cbranch_execz .LBB7_186
; %bb.185:                              ;   in Loop: Header=BB7_140 Depth=1
	s_bcnt1_i32_b32 s6, s6
	s_delay_alu instid0(SALU_CYCLE_1)
	v_mov_b32_e32 v15, s6
	ds_add_rtn_u32 v15, v25, v15 offset:512
.LBB7_186:                              ;   in Loop: Header=BB7_140 Depth=1
	s_or_b32 exec_lo, exec_lo, s5
	s_waitcnt lgkmcnt(0)
	v_readfirstlane_b32 s5, v15
	s_mov_b32 s6, exec_lo
	s_delay_alu instid0(VALU_DEP_1) | instskip(SKIP_1) | instid1(VALU_DEP_1)
	v_add_nc_u32_e32 v15, s5, v14
	s_mov_b32 s5, 0
                                        ; implicit-def: $vgpr14
	v_cmpx_lt_i32_e64 v15, v22
	s_xor_b32 s6, exec_lo, s6
; %bb.187:                              ;   in Loop: Header=BB7_140 Depth=1
	v_xad_u32 v14, v15, -1, v9
	s_mov_b32 s5, exec_lo
; %bb.188:                              ;   in Loop: Header=BB7_140 Depth=1
	s_or_b32 exec_lo, exec_lo, s6
	s_delay_alu instid0(SALU_CYCLE_1)
	s_and_b32 s5, s5, exec_lo
.LBB7_189:                              ;   in Loop: Header=BB7_140 Depth=1
	s_or_b32 exec_lo, exec_lo, s4
	s_delay_alu instid0(SALU_CYCLE_1)
	s_and_b32 s4, s5, exec_lo
.LBB7_190:                              ;   in Loop: Header=BB7_140 Depth=1
	s_and_not1_saveexec_b32 s3, s3
	s_cbranch_execz .LBB7_194
; %bb.191:                              ;   in Loop: Header=BB7_140 Depth=1
	s_mov_b32 s6, exec_lo
	s_mov_b32 s5, exec_lo
	v_mbcnt_lo_u32_b32 v14, s6, 0
                                        ; implicit-def: $vgpr15
	s_delay_alu instid0(VALU_DEP_1)
	v_cmpx_eq_u32_e32 0, v14
	s_cbranch_execz .LBB7_193
; %bb.192:                              ;   in Loop: Header=BB7_140 Depth=1
	s_bcnt1_i32_b32 s6, s6
	s_delay_alu instid0(SALU_CYCLE_1)
	v_mov_b32_e32 v15, s6
	ds_add_rtn_u32 v15, v25, v15 offset:384
.LBB7_193:                              ;   in Loop: Header=BB7_140 Depth=1
	s_or_b32 exec_lo, exec_lo, s5
	s_waitcnt lgkmcnt(0)
	v_readfirstlane_b32 s5, v15
	s_or_b32 s4, s4, exec_lo
	s_delay_alu instid0(VALU_DEP_1)
	v_add_nc_u32_e32 v14, s5, v14
.LBB7_194:                              ;   in Loop: Header=BB7_140 Depth=1
	s_or_b32 exec_lo, exec_lo, s3
	v_add_nc_u32_e32 v15, v29, v34
	s_delay_alu instid0(VALU_DEP_1)
	v_lshl_add_u32 v16, v15, 2, v2
	s_and_saveexec_b32 s3, s4
	s_cbranch_execz .LBB7_196
; %bb.195:                              ;   in Loop: Header=BB7_140 Depth=1
	v_ashrrev_i32_e32 v15, 31, v14
	s_delay_alu instid0(VALU_DEP_1) | instskip(NEXT) | instid1(VALU_DEP_1)
	v_lshlrev_b64 v[14:15], 2, v[14:15]
	v_add_co_u32 v31, vcc_lo, v4, v14
	s_delay_alu instid0(VALU_DEP_2)
	v_add_co_ci_u32_e32 v32, vcc_lo, v5, v15, vcc_lo
	v_add_co_u32 v14, vcc_lo, v6, v14
	v_add_co_ci_u32_e32 v15, vcc_lo, v7, v15, vcc_lo
	flat_store_b32 v[31:32], v18
	flat_store_b32 v[14:15], v16
.LBB7_196:                              ;   in Loop: Header=BB7_140 Depth=1
	s_or_b32 exec_lo, exec_lo, s3
	v_cmp_gt_i32_e32 vcc_lo, 0, v19
	s_mov_b32 s4, 0
	s_mov_b32 s3, exec_lo
	v_cndmask_b32_e64 v14, 0x7fffffff, 0, vcc_lo
	s_delay_alu instid0(VALU_DEP_1) | instskip(NEXT) | instid1(VALU_DEP_1)
	v_xor_b32_e32 v14, v14, v19
	v_and_b32_e32 v15, v14, v33
                                        ; implicit-def: $vgpr14
	s_delay_alu instid0(VALU_DEP_1)
	v_cmpx_ge_u32_e64 v15, v23
	s_xor_b32 s3, exec_lo, s3
	s_cbranch_execnz .LBB7_293
; %bb.197:                              ;   in Loop: Header=BB7_140 Depth=1
	s_and_not1_saveexec_b32 s3, s3
	s_cbranch_execnz .LBB7_300
.LBB7_198:                              ;   in Loop: Header=BB7_140 Depth=1
	s_or_b32 exec_lo, exec_lo, s3
	s_and_saveexec_b32 s3, s4
	s_cbranch_execz .LBB7_200
.LBB7_199:                              ;   in Loop: Header=BB7_140 Depth=1
	v_ashrrev_i32_e32 v15, 31, v14
	v_add_nc_u32_e32 v29, 1, v16
	s_delay_alu instid0(VALU_DEP_2) | instskip(NEXT) | instid1(VALU_DEP_1)
	v_lshlrev_b64 v[14:15], 2, v[14:15]
	v_add_co_u32 v17, vcc_lo, v4, v14
	s_delay_alu instid0(VALU_DEP_2)
	v_add_co_ci_u32_e32 v18, vcc_lo, v5, v15, vcc_lo
	v_add_co_u32 v14, vcc_lo, v6, v14
	v_add_co_ci_u32_e32 v15, vcc_lo, v7, v15, vcc_lo
	flat_store_b32 v[17:18], v19
	flat_store_b32 v[14:15], v29
.LBB7_200:                              ;   in Loop: Header=BB7_140 Depth=1
	s_or_b32 exec_lo, exec_lo, s3
	v_cmp_gt_i32_e32 vcc_lo, 0, v20
	s_mov_b32 s4, 0
	s_mov_b32 s3, exec_lo
	v_cndmask_b32_e64 v14, 0x7fffffff, 0, vcc_lo
	s_delay_alu instid0(VALU_DEP_1) | instskip(NEXT) | instid1(VALU_DEP_1)
	v_xor_b32_e32 v14, v14, v20
	v_and_b32_e32 v15, v14, v33
                                        ; implicit-def: $vgpr14
	s_delay_alu instid0(VALU_DEP_1)
	v_cmpx_ge_u32_e64 v15, v23
	s_xor_b32 s3, exec_lo, s3
	s_cbranch_execnz .LBB7_303
; %bb.201:                              ;   in Loop: Header=BB7_140 Depth=1
	s_and_not1_saveexec_b32 s3, s3
	s_cbranch_execnz .LBB7_310
.LBB7_202:                              ;   in Loop: Header=BB7_140 Depth=1
	s_or_b32 exec_lo, exec_lo, s3
	s_and_saveexec_b32 s3, s4
	s_cbranch_execz .LBB7_204
.LBB7_203:                              ;   in Loop: Header=BB7_140 Depth=1
	v_ashrrev_i32_e32 v15, 31, v14
	v_add_nc_u32_e32 v19, 2, v16
	s_delay_alu instid0(VALU_DEP_2) | instskip(NEXT) | instid1(VALU_DEP_1)
	v_lshlrev_b64 v[14:15], 2, v[14:15]
	v_add_co_u32 v17, vcc_lo, v4, v14
	s_delay_alu instid0(VALU_DEP_2)
	v_add_co_ci_u32_e32 v18, vcc_lo, v5, v15, vcc_lo
	v_add_co_u32 v14, vcc_lo, v6, v14
	v_add_co_ci_u32_e32 v15, vcc_lo, v7, v15, vcc_lo
	flat_store_b32 v[17:18], v20
	flat_store_b32 v[14:15], v19
.LBB7_204:                              ;   in Loop: Header=BB7_140 Depth=1
	s_or_b32 exec_lo, exec_lo, s3
	v_cmp_gt_i32_e32 vcc_lo, 0, v21
	s_mov_b32 s4, 0
	s_mov_b32 s3, exec_lo
	v_cndmask_b32_e64 v14, 0x7fffffff, 0, vcc_lo
	s_delay_alu instid0(VALU_DEP_1) | instskip(NEXT) | instid1(VALU_DEP_1)
	v_xor_b32_e32 v14, v14, v21
	v_and_b32_e32 v15, v14, v33
                                        ; implicit-def: $vgpr14
	s_delay_alu instid0(VALU_DEP_1)
	v_cmpx_ge_u32_e64 v15, v23
	s_xor_b32 s3, exec_lo, s3
	s_cbranch_execnz .LBB7_313
; %bb.205:                              ;   in Loop: Header=BB7_140 Depth=1
	s_and_not1_saveexec_b32 s3, s3
	s_cbranch_execnz .LBB7_320
.LBB7_206:                              ;   in Loop: Header=BB7_140 Depth=1
	s_or_b32 exec_lo, exec_lo, s3
	s_and_saveexec_b32 s3, s4
	s_cbranch_execz .LBB7_208
.LBB7_207:                              ;   in Loop: Header=BB7_140 Depth=1
	v_ashrrev_i32_e32 v15, 31, v14
	v_add_nc_u32_e32 v18, 3, v16
	s_delay_alu instid0(VALU_DEP_2) | instskip(NEXT) | instid1(VALU_DEP_1)
	v_lshlrev_b64 v[14:15], 2, v[14:15]
	v_add_co_u32 v16, vcc_lo, v4, v14
	s_delay_alu instid0(VALU_DEP_2)
	v_add_co_ci_u32_e32 v17, vcc_lo, v5, v15, vcc_lo
	v_add_co_u32 v14, vcc_lo, v6, v14
	v_add_co_ci_u32_e32 v15, vcc_lo, v7, v15, vcc_lo
	flat_store_b32 v[16:17], v21
	flat_store_b32 v[14:15], v18
.LBB7_208:                              ;   in Loop: Header=BB7_140 Depth=1
	s_or_b32 exec_lo, exec_lo, s3
	s_waitcnt vmcnt(0) lgkmcnt(0)
	v_cmp_gt_i32_e32 vcc_lo, 0, v10
	s_mov_b32 s4, 0
	s_mov_b32 s3, exec_lo
	v_cndmask_b32_e64 v14, 0x7fffffff, 0, vcc_lo
	s_delay_alu instid0(VALU_DEP_1) | instskip(NEXT) | instid1(VALU_DEP_1)
	v_xor_b32_e32 v14, v14, v10
	v_and_b32_e32 v15, v14, v33
                                        ; implicit-def: $vgpr14
	s_delay_alu instid0(VALU_DEP_1)
	v_cmpx_ge_u32_e64 v15, v23
	s_xor_b32 s3, exec_lo, s3
	s_cbranch_execnz .LBB7_323
; %bb.209:                              ;   in Loop: Header=BB7_140 Depth=1
	s_and_not1_saveexec_b32 s3, s3
	s_cbranch_execnz .LBB7_330
.LBB7_210:                              ;   in Loop: Header=BB7_140 Depth=1
	s_or_b32 exec_lo, exec_lo, s3
	v_lshl_add_u32 v16, v30, 2, v2
	s_and_saveexec_b32 s3, s4
	s_cbranch_execz .LBB7_212
.LBB7_211:                              ;   in Loop: Header=BB7_140 Depth=1
	v_ashrrev_i32_e32 v15, 31, v14
	s_delay_alu instid0(VALU_DEP_1) | instskip(NEXT) | instid1(VALU_DEP_1)
	v_lshlrev_b64 v[14:15], 2, v[14:15]
	v_add_co_u32 v17, vcc_lo, v4, v14
	s_delay_alu instid0(VALU_DEP_2)
	v_add_co_ci_u32_e32 v18, vcc_lo, v5, v15, vcc_lo
	v_add_co_u32 v14, vcc_lo, v6, v14
	v_add_co_ci_u32_e32 v15, vcc_lo, v7, v15, vcc_lo
	flat_store_b32 v[17:18], v10
	flat_store_b32 v[14:15], v16
.LBB7_212:                              ;   in Loop: Header=BB7_140 Depth=1
	s_or_b32 exec_lo, exec_lo, s3
	v_cmp_gt_i32_e32 vcc_lo, 0, v11
	s_mov_b32 s4, 0
	s_mov_b32 s3, exec_lo
                                        ; implicit-def: $vgpr14
	v_cndmask_b32_e64 v10, 0x7fffffff, 0, vcc_lo
	s_delay_alu instid0(VALU_DEP_1) | instskip(NEXT) | instid1(VALU_DEP_1)
	v_xor_b32_e32 v10, v10, v11
	v_and_b32_e32 v10, v10, v33
	s_delay_alu instid0(VALU_DEP_1)
	v_cmpx_ge_u32_e64 v10, v23
	s_xor_b32 s3, exec_lo, s3
	s_cbranch_execnz .LBB7_333
; %bb.213:                              ;   in Loop: Header=BB7_140 Depth=1
	s_and_not1_saveexec_b32 s3, s3
	s_cbranch_execnz .LBB7_340
.LBB7_214:                              ;   in Loop: Header=BB7_140 Depth=1
	s_or_b32 exec_lo, exec_lo, s3
	s_and_saveexec_b32 s3, s4
	s_cbranch_execz .LBB7_216
.LBB7_215:                              ;   in Loop: Header=BB7_140 Depth=1
	v_ashrrev_i32_e32 v15, 31, v14
	v_add_nc_u32_e32 v10, 1, v16
	s_delay_alu instid0(VALU_DEP_2) | instskip(NEXT) | instid1(VALU_DEP_1)
	v_lshlrev_b64 v[14:15], 2, v[14:15]
	v_add_co_u32 v17, vcc_lo, v4, v14
	s_delay_alu instid0(VALU_DEP_2)
	v_add_co_ci_u32_e32 v18, vcc_lo, v5, v15, vcc_lo
	v_add_co_u32 v14, vcc_lo, v6, v14
	v_add_co_ci_u32_e32 v15, vcc_lo, v7, v15, vcc_lo
	flat_store_b32 v[17:18], v11
	flat_store_b32 v[14:15], v10
.LBB7_216:                              ;   in Loop: Header=BB7_140 Depth=1
	s_or_b32 exec_lo, exec_lo, s3
	v_cmp_gt_i32_e32 vcc_lo, 0, v12
	s_mov_b32 s4, 0
	s_mov_b32 s3, exec_lo
	v_cndmask_b32_e64 v10, 0x7fffffff, 0, vcc_lo
	s_delay_alu instid0(VALU_DEP_1) | instskip(NEXT) | instid1(VALU_DEP_1)
	v_xor_b32_e32 v10, v10, v12
	v_and_b32_e32 v11, v10, v33
                                        ; implicit-def: $vgpr10
	s_delay_alu instid0(VALU_DEP_1)
	v_cmpx_ge_u32_e64 v11, v23
	s_xor_b32 s3, exec_lo, s3
	s_cbranch_execnz .LBB7_343
; %bb.217:                              ;   in Loop: Header=BB7_140 Depth=1
	s_and_not1_saveexec_b32 s3, s3
	s_cbranch_execnz .LBB7_350
.LBB7_218:                              ;   in Loop: Header=BB7_140 Depth=1
	s_or_b32 exec_lo, exec_lo, s3
	s_and_saveexec_b32 s3, s4
	s_cbranch_execz .LBB7_220
.LBB7_219:                              ;   in Loop: Header=BB7_140 Depth=1
	v_ashrrev_i32_e32 v11, 31, v10
	v_add_nc_u32_e32 v17, 2, v16
	s_delay_alu instid0(VALU_DEP_2) | instskip(NEXT) | instid1(VALU_DEP_1)
	v_lshlrev_b64 v[10:11], 2, v[10:11]
	v_add_co_u32 v14, vcc_lo, v4, v10
	s_delay_alu instid0(VALU_DEP_2)
	v_add_co_ci_u32_e32 v15, vcc_lo, v5, v11, vcc_lo
	v_add_co_u32 v10, vcc_lo, v6, v10
	v_add_co_ci_u32_e32 v11, vcc_lo, v7, v11, vcc_lo
	flat_store_b32 v[14:15], v12
	flat_store_b32 v[10:11], v17
.LBB7_220:                              ;   in Loop: Header=BB7_140 Depth=1
	s_or_b32 exec_lo, exec_lo, s3
	v_cmp_gt_i32_e32 vcc_lo, 0, v13
	s_mov_b32 s4, 0
	s_mov_b32 s3, exec_lo
	v_cndmask_b32_e64 v10, 0x7fffffff, 0, vcc_lo
	s_delay_alu instid0(VALU_DEP_1) | instskip(NEXT) | instid1(VALU_DEP_1)
	v_xor_b32_e32 v10, v10, v13
	v_and_b32_e32 v11, v10, v33
                                        ; implicit-def: $vgpr10
	s_delay_alu instid0(VALU_DEP_1)
	v_cmpx_ge_u32_e64 v11, v23
	s_xor_b32 s3, exec_lo, s3
	s_cbranch_execnz .LBB7_353
; %bb.221:                              ;   in Loop: Header=BB7_140 Depth=1
	s_and_not1_saveexec_b32 s3, s3
	s_cbranch_execnz .LBB7_360
.LBB7_222:                              ;   in Loop: Header=BB7_140 Depth=1
	s_or_b32 exec_lo, exec_lo, s3
	s_and_saveexec_b32 s3, s4
	s_cbranch_execz .LBB7_139
	s_branch .LBB7_363
.LBB7_223:                              ;   in Loop: Header=BB7_140 Depth=1
	s_mov_b32 s5, 0
	s_mov_b32 s4, exec_lo
                                        ; implicit-def: $vgpr20
	v_cmpx_eq_u32_e64 v21, v23
	s_cbranch_execz .LBB7_229
; %bb.224:                              ;   in Loop: Header=BB7_140 Depth=1
	s_mov_b32 s6, exec_lo
	s_mov_b32 s5, exec_lo
	v_mbcnt_lo_u32_b32 v20, s6, 0
                                        ; implicit-def: $vgpr21
	s_delay_alu instid0(VALU_DEP_1)
	v_cmpx_eq_u32_e32 0, v20
	s_cbranch_execz .LBB7_226
; %bb.225:                              ;   in Loop: Header=BB7_140 Depth=1
	s_bcnt1_i32_b32 s6, s6
	s_delay_alu instid0(SALU_CYCLE_1)
	v_mov_b32_e32 v21, s6
	ds_add_rtn_u32 v21, v25, v21 offset:512
.LBB7_226:                              ;   in Loop: Header=BB7_140 Depth=1
	s_or_b32 exec_lo, exec_lo, s5
	s_waitcnt lgkmcnt(0)
	v_readfirstlane_b32 s5, v21
	s_mov_b32 s6, exec_lo
	s_delay_alu instid0(VALU_DEP_1) | instskip(SKIP_1) | instid1(VALU_DEP_1)
	v_add_nc_u32_e32 v21, s5, v20
	s_mov_b32 s5, 0
                                        ; implicit-def: $vgpr20
	v_cmpx_lt_i32_e64 v21, v22
	s_xor_b32 s6, exec_lo, s6
; %bb.227:                              ;   in Loop: Header=BB7_140 Depth=1
	v_xad_u32 v20, v21, -1, v9
	s_mov_b32 s5, exec_lo
; %bb.228:                              ;   in Loop: Header=BB7_140 Depth=1
	s_or_b32 exec_lo, exec_lo, s6
	s_delay_alu instid0(SALU_CYCLE_1)
	s_and_b32 s5, s5, exec_lo
.LBB7_229:                              ;   in Loop: Header=BB7_140 Depth=1
	s_or_b32 exec_lo, exec_lo, s4
	s_delay_alu instid0(SALU_CYCLE_1)
	s_and_b32 s4, s5, exec_lo
	s_and_not1_saveexec_b32 s3, s3
	s_cbranch_execz .LBB7_142
.LBB7_230:                              ;   in Loop: Header=BB7_140 Depth=1
	s_mov_b32 s6, exec_lo
	s_mov_b32 s5, exec_lo
	v_mbcnt_lo_u32_b32 v20, s6, 0
                                        ; implicit-def: $vgpr21
	s_delay_alu instid0(VALU_DEP_1)
	v_cmpx_eq_u32_e32 0, v20
	s_cbranch_execz .LBB7_232
; %bb.231:                              ;   in Loop: Header=BB7_140 Depth=1
	s_bcnt1_i32_b32 s6, s6
	s_delay_alu instid0(SALU_CYCLE_1)
	v_mov_b32_e32 v21, s6
	ds_add_rtn_u32 v21, v25, v21 offset:384
.LBB7_232:                              ;   in Loop: Header=BB7_140 Depth=1
	s_or_b32 exec_lo, exec_lo, s5
	s_waitcnt lgkmcnt(0)
	v_readfirstlane_b32 s5, v21
	s_or_b32 s4, s4, exec_lo
	s_delay_alu instid0(VALU_DEP_1)
	v_add_nc_u32_e32 v20, s5, v20
	s_or_b32 exec_lo, exec_lo, s3
	v_lshl_add_u32 v29, v28, 2, v2
	s_and_saveexec_b32 s3, s4
	s_cbranch_execnz .LBB7_143
	s_branch .LBB7_144
.LBB7_233:                              ;   in Loop: Header=BB7_140 Depth=1
	s_mov_b32 s5, 0
	s_mov_b32 s4, exec_lo
                                        ; implicit-def: $vgpr20
	v_cmpx_eq_u32_e64 v10, v23
	s_cbranch_execz .LBB7_239
; %bb.234:                              ;   in Loop: Header=BB7_140 Depth=1
	s_mov_b32 s6, exec_lo
	s_mov_b32 s5, exec_lo
	v_mbcnt_lo_u32_b32 v10, s6, 0
                                        ; implicit-def: $vgpr20
	s_delay_alu instid0(VALU_DEP_1)
	v_cmpx_eq_u32_e32 0, v10
	s_cbranch_execz .LBB7_236
; %bb.235:                              ;   in Loop: Header=BB7_140 Depth=1
	s_bcnt1_i32_b32 s6, s6
	s_delay_alu instid0(SALU_CYCLE_1)
	v_mov_b32_e32 v20, s6
	ds_add_rtn_u32 v20, v25, v20 offset:512
.LBB7_236:                              ;   in Loop: Header=BB7_140 Depth=1
	s_or_b32 exec_lo, exec_lo, s5
	s_waitcnt lgkmcnt(0)
	v_readfirstlane_b32 s5, v20
	s_mov_b32 s6, exec_lo
                                        ; implicit-def: $vgpr20
	s_delay_alu instid0(VALU_DEP_1) | instskip(SKIP_1) | instid1(VALU_DEP_1)
	v_add_nc_u32_e32 v10, s5, v10
	s_mov_b32 s5, 0
	v_cmpx_lt_i32_e64 v10, v22
; %bb.237:                              ;   in Loop: Header=BB7_140 Depth=1
	v_xad_u32 v20, v10, -1, v9
	s_mov_b32 s5, exec_lo
; %bb.238:                              ;   in Loop: Header=BB7_140 Depth=1
	s_or_b32 exec_lo, exec_lo, s6
	s_delay_alu instid0(SALU_CYCLE_1)
	s_and_b32 s5, s5, exec_lo
.LBB7_239:                              ;   in Loop: Header=BB7_140 Depth=1
	s_or_b32 exec_lo, exec_lo, s4
	s_delay_alu instid0(SALU_CYCLE_1)
	s_and_b32 s4, s5, exec_lo
	s_and_not1_saveexec_b32 s3, s3
	s_cbranch_execz .LBB7_146
.LBB7_240:                              ;   in Loop: Header=BB7_140 Depth=1
	s_mov_b32 s6, exec_lo
	s_mov_b32 s5, exec_lo
	v_mbcnt_lo_u32_b32 v10, s6, 0
                                        ; implicit-def: $vgpr20
	s_delay_alu instid0(VALU_DEP_1)
	v_cmpx_eq_u32_e32 0, v10
	s_cbranch_execz .LBB7_242
; %bb.241:                              ;   in Loop: Header=BB7_140 Depth=1
	s_bcnt1_i32_b32 s6, s6
	s_delay_alu instid0(SALU_CYCLE_1)
	v_mov_b32_e32 v20, s6
	ds_add_rtn_u32 v20, v25, v20 offset:384
.LBB7_242:                              ;   in Loop: Header=BB7_140 Depth=1
	s_or_b32 exec_lo, exec_lo, s5
	s_waitcnt lgkmcnt(0)
	v_readfirstlane_b32 s5, v20
	s_or_b32 s4, s4, exec_lo
	s_delay_alu instid0(VALU_DEP_1)
	v_add_nc_u32_e32 v20, s5, v10
	s_or_b32 exec_lo, exec_lo, s3
	s_and_saveexec_b32 s3, s4
	s_cbranch_execnz .LBB7_147
	s_branch .LBB7_148
.LBB7_243:                              ;   in Loop: Header=BB7_140 Depth=1
	s_mov_b32 s5, 0
	s_mov_b32 s4, exec_lo
                                        ; implicit-def: $vgpr10
	v_cmpx_eq_u32_e64 v11, v23
	s_cbranch_execz .LBB7_249
; %bb.244:                              ;   in Loop: Header=BB7_140 Depth=1
	s_mov_b32 s6, exec_lo
	s_mov_b32 s5, exec_lo
	v_mbcnt_lo_u32_b32 v10, s6, 0
                                        ; implicit-def: $vgpr11
	s_delay_alu instid0(VALU_DEP_1)
	v_cmpx_eq_u32_e32 0, v10
	s_cbranch_execz .LBB7_246
; %bb.245:                              ;   in Loop: Header=BB7_140 Depth=1
	s_bcnt1_i32_b32 s6, s6
	s_delay_alu instid0(SALU_CYCLE_1)
	v_mov_b32_e32 v11, s6
	ds_add_rtn_u32 v11, v25, v11 offset:512
.LBB7_246:                              ;   in Loop: Header=BB7_140 Depth=1
	s_or_b32 exec_lo, exec_lo, s5
	s_waitcnt lgkmcnt(0)
	v_readfirstlane_b32 s5, v11
	s_mov_b32 s6, exec_lo
	s_delay_alu instid0(VALU_DEP_1) | instskip(SKIP_1) | instid1(VALU_DEP_1)
	v_add_nc_u32_e32 v11, s5, v10
	s_mov_b32 s5, 0
                                        ; implicit-def: $vgpr10
	v_cmpx_lt_i32_e64 v11, v22
; %bb.247:                              ;   in Loop: Header=BB7_140 Depth=1
	v_xad_u32 v10, v11, -1, v9
	s_mov_b32 s5, exec_lo
; %bb.248:                              ;   in Loop: Header=BB7_140 Depth=1
	s_or_b32 exec_lo, exec_lo, s6
	s_delay_alu instid0(SALU_CYCLE_1)
	s_and_b32 s5, s5, exec_lo
.LBB7_249:                              ;   in Loop: Header=BB7_140 Depth=1
	s_or_b32 exec_lo, exec_lo, s4
	s_delay_alu instid0(SALU_CYCLE_1)
	s_and_b32 s4, s5, exec_lo
	s_and_not1_saveexec_b32 s3, s3
	s_cbranch_execz .LBB7_150
.LBB7_250:                              ;   in Loop: Header=BB7_140 Depth=1
	s_mov_b32 s6, exec_lo
	s_mov_b32 s5, exec_lo
	v_mbcnt_lo_u32_b32 v10, s6, 0
                                        ; implicit-def: $vgpr11
	s_delay_alu instid0(VALU_DEP_1)
	v_cmpx_eq_u32_e32 0, v10
	s_cbranch_execz .LBB7_252
; %bb.251:                              ;   in Loop: Header=BB7_140 Depth=1
	s_bcnt1_i32_b32 s6, s6
	s_delay_alu instid0(SALU_CYCLE_1)
	v_mov_b32_e32 v11, s6
	ds_add_rtn_u32 v11, v25, v11 offset:384
.LBB7_252:                              ;   in Loop: Header=BB7_140 Depth=1
	s_or_b32 exec_lo, exec_lo, s5
	s_waitcnt lgkmcnt(0)
	v_readfirstlane_b32 s5, v11
	s_or_b32 s4, s4, exec_lo
	s_delay_alu instid0(VALU_DEP_1)
	v_add_nc_u32_e32 v10, s5, v10
	s_or_b32 exec_lo, exec_lo, s3
	s_and_saveexec_b32 s3, s4
	s_cbranch_execnz .LBB7_151
	s_branch .LBB7_152
.LBB7_253:                              ;   in Loop: Header=BB7_140 Depth=1
	s_mov_b32 s5, 0
	s_mov_b32 s4, exec_lo
                                        ; implicit-def: $vgpr10
	v_cmpx_eq_u32_e64 v11, v23
	s_cbranch_execz .LBB7_259
; %bb.254:                              ;   in Loop: Header=BB7_140 Depth=1
	s_mov_b32 s6, exec_lo
	s_mov_b32 s5, exec_lo
	v_mbcnt_lo_u32_b32 v10, s6, 0
                                        ; implicit-def: $vgpr11
	s_delay_alu instid0(VALU_DEP_1)
	v_cmpx_eq_u32_e32 0, v10
	s_cbranch_execz .LBB7_256
; %bb.255:                              ;   in Loop: Header=BB7_140 Depth=1
	s_bcnt1_i32_b32 s6, s6
	s_delay_alu instid0(SALU_CYCLE_1)
	v_mov_b32_e32 v11, s6
	ds_add_rtn_u32 v11, v25, v11 offset:512
.LBB7_256:                              ;   in Loop: Header=BB7_140 Depth=1
	s_or_b32 exec_lo, exec_lo, s5
	s_waitcnt lgkmcnt(0)
	v_readfirstlane_b32 s5, v11
	s_mov_b32 s6, exec_lo
	s_delay_alu instid0(VALU_DEP_1) | instskip(SKIP_1) | instid1(VALU_DEP_1)
	v_add_nc_u32_e32 v11, s5, v10
	s_mov_b32 s5, 0
                                        ; implicit-def: $vgpr10
	v_cmpx_lt_i32_e64 v11, v22
; %bb.257:                              ;   in Loop: Header=BB7_140 Depth=1
	v_xad_u32 v10, v11, -1, v9
	s_mov_b32 s5, exec_lo
; %bb.258:                              ;   in Loop: Header=BB7_140 Depth=1
	s_or_b32 exec_lo, exec_lo, s6
	s_delay_alu instid0(SALU_CYCLE_1)
	s_and_b32 s5, s5, exec_lo
.LBB7_259:                              ;   in Loop: Header=BB7_140 Depth=1
	s_or_b32 exec_lo, exec_lo, s4
	s_delay_alu instid0(SALU_CYCLE_1)
	s_and_b32 s4, s5, exec_lo
	s_and_not1_saveexec_b32 s3, s3
	s_cbranch_execz .LBB7_154
.LBB7_260:                              ;   in Loop: Header=BB7_140 Depth=1
	s_mov_b32 s6, exec_lo
	s_mov_b32 s5, exec_lo
	v_mbcnt_lo_u32_b32 v10, s6, 0
                                        ; implicit-def: $vgpr11
	s_delay_alu instid0(VALU_DEP_1)
	v_cmpx_eq_u32_e32 0, v10
	s_cbranch_execz .LBB7_262
; %bb.261:                              ;   in Loop: Header=BB7_140 Depth=1
	s_bcnt1_i32_b32 s6, s6
	s_delay_alu instid0(SALU_CYCLE_1)
	v_mov_b32_e32 v11, s6
	ds_add_rtn_u32 v11, v25, v11 offset:384
.LBB7_262:                              ;   in Loop: Header=BB7_140 Depth=1
	s_or_b32 exec_lo, exec_lo, s5
	s_waitcnt lgkmcnt(0)
	v_readfirstlane_b32 s5, v11
	s_or_b32 s4, s4, exec_lo
	s_delay_alu instid0(VALU_DEP_1)
	v_add_nc_u32_e32 v10, s5, v10
	s_or_b32 exec_lo, exec_lo, s3
	s_and_saveexec_b32 s3, s4
	s_cbranch_execnz .LBB7_155
	s_branch .LBB7_156
.LBB7_263:                              ;   in Loop: Header=BB7_140 Depth=1
	s_mov_b32 s5, 0
	s_mov_b32 s4, exec_lo
                                        ; implicit-def: $vgpr31
	v_cmpx_eq_u32_e64 v14, v23
	s_cbranch_execz .LBB7_269
; %bb.264:                              ;   in Loop: Header=BB7_140 Depth=1
	s_mov_b32 s6, exec_lo
	s_mov_b32 s5, exec_lo
	v_mbcnt_lo_u32_b32 v14, s6, 0
                                        ; implicit-def: $vgpr31
	s_delay_alu instid0(VALU_DEP_1)
	v_cmpx_eq_u32_e32 0, v14
	s_cbranch_execz .LBB7_266
; %bb.265:                              ;   in Loop: Header=BB7_140 Depth=1
	s_bcnt1_i32_b32 s6, s6
	s_delay_alu instid0(SALU_CYCLE_1)
	v_mov_b32_e32 v31, s6
	ds_add_rtn_u32 v31, v25, v31 offset:512
.LBB7_266:                              ;   in Loop: Header=BB7_140 Depth=1
	s_or_b32 exec_lo, exec_lo, s5
	s_waitcnt lgkmcnt(0)
	v_readfirstlane_b32 s5, v31
	s_mov_b32 s6, exec_lo
                                        ; implicit-def: $vgpr31
	s_delay_alu instid0(VALU_DEP_1) | instskip(SKIP_1) | instid1(VALU_DEP_1)
	v_add_nc_u32_e32 v14, s5, v14
	s_mov_b32 s5, 0
	v_cmpx_lt_i32_e64 v14, v22
; %bb.267:                              ;   in Loop: Header=BB7_140 Depth=1
	v_xad_u32 v31, v14, -1, v9
	s_mov_b32 s5, exec_lo
; %bb.268:                              ;   in Loop: Header=BB7_140 Depth=1
	s_or_b32 exec_lo, exec_lo, s6
	s_delay_alu instid0(SALU_CYCLE_1)
	s_and_b32 s5, s5, exec_lo
.LBB7_269:                              ;   in Loop: Header=BB7_140 Depth=1
	s_or_b32 exec_lo, exec_lo, s4
	s_delay_alu instid0(SALU_CYCLE_1)
	s_and_b32 s4, s5, exec_lo
	s_and_not1_saveexec_b32 s3, s3
	s_cbranch_execz .LBB7_172
.LBB7_270:                              ;   in Loop: Header=BB7_140 Depth=1
	s_mov_b32 s6, exec_lo
	s_mov_b32 s5, exec_lo
	v_mbcnt_lo_u32_b32 v14, s6, 0
                                        ; implicit-def: $vgpr31
	s_delay_alu instid0(VALU_DEP_1)
	v_cmpx_eq_u32_e32 0, v14
	s_cbranch_execz .LBB7_272
; %bb.271:                              ;   in Loop: Header=BB7_140 Depth=1
	s_bcnt1_i32_b32 s6, s6
	s_delay_alu instid0(SALU_CYCLE_1)
	v_mov_b32_e32 v31, s6
	ds_add_rtn_u32 v31, v25, v31 offset:384
.LBB7_272:                              ;   in Loop: Header=BB7_140 Depth=1
	s_or_b32 exec_lo, exec_lo, s5
	s_waitcnt lgkmcnt(0)
	v_readfirstlane_b32 s5, v31
	s_or_b32 s4, s4, exec_lo
	s_delay_alu instid0(VALU_DEP_1)
	v_add_nc_u32_e32 v31, s5, v14
	s_or_b32 exec_lo, exec_lo, s3
	s_and_saveexec_b32 s3, s4
	s_cbranch_execnz .LBB7_173
	s_branch .LBB7_174
.LBB7_273:                              ;   in Loop: Header=BB7_140 Depth=1
	s_mov_b32 s5, 0
	s_mov_b32 s4, exec_lo
                                        ; implicit-def: $vgpr14
	v_cmpx_eq_u32_e64 v15, v23
	s_cbranch_execz .LBB7_279
; %bb.274:                              ;   in Loop: Header=BB7_140 Depth=1
	s_mov_b32 s6, exec_lo
	s_mov_b32 s5, exec_lo
	v_mbcnt_lo_u32_b32 v14, s6, 0
                                        ; implicit-def: $vgpr15
	s_delay_alu instid0(VALU_DEP_1)
	v_cmpx_eq_u32_e32 0, v14
	s_cbranch_execz .LBB7_276
; %bb.275:                              ;   in Loop: Header=BB7_140 Depth=1
	s_bcnt1_i32_b32 s6, s6
	s_delay_alu instid0(SALU_CYCLE_1)
	v_mov_b32_e32 v15, s6
	ds_add_rtn_u32 v15, v25, v15 offset:512
.LBB7_276:                              ;   in Loop: Header=BB7_140 Depth=1
	s_or_b32 exec_lo, exec_lo, s5
	s_waitcnt lgkmcnt(0)
	v_readfirstlane_b32 s5, v15
	s_mov_b32 s6, exec_lo
	s_delay_alu instid0(VALU_DEP_1) | instskip(SKIP_1) | instid1(VALU_DEP_1)
	v_add_nc_u32_e32 v15, s5, v14
	s_mov_b32 s5, 0
                                        ; implicit-def: $vgpr14
	v_cmpx_lt_i32_e64 v15, v22
; %bb.277:                              ;   in Loop: Header=BB7_140 Depth=1
	v_xad_u32 v14, v15, -1, v9
	s_mov_b32 s5, exec_lo
; %bb.278:                              ;   in Loop: Header=BB7_140 Depth=1
	s_or_b32 exec_lo, exec_lo, s6
	s_delay_alu instid0(SALU_CYCLE_1)
	s_and_b32 s5, s5, exec_lo
.LBB7_279:                              ;   in Loop: Header=BB7_140 Depth=1
	s_or_b32 exec_lo, exec_lo, s4
	s_delay_alu instid0(SALU_CYCLE_1)
	s_and_b32 s4, s5, exec_lo
	s_and_not1_saveexec_b32 s3, s3
	s_cbranch_execz .LBB7_176
.LBB7_280:                              ;   in Loop: Header=BB7_140 Depth=1
	s_mov_b32 s6, exec_lo
	s_mov_b32 s5, exec_lo
	v_mbcnt_lo_u32_b32 v14, s6, 0
                                        ; implicit-def: $vgpr15
	s_delay_alu instid0(VALU_DEP_1)
	v_cmpx_eq_u32_e32 0, v14
	s_cbranch_execz .LBB7_282
; %bb.281:                              ;   in Loop: Header=BB7_140 Depth=1
	s_bcnt1_i32_b32 s6, s6
	s_delay_alu instid0(SALU_CYCLE_1)
	v_mov_b32_e32 v15, s6
	ds_add_rtn_u32 v15, v25, v15 offset:384
.LBB7_282:                              ;   in Loop: Header=BB7_140 Depth=1
	s_or_b32 exec_lo, exec_lo, s5
	s_waitcnt lgkmcnt(0)
	v_readfirstlane_b32 s5, v15
	s_or_b32 s4, s4, exec_lo
	s_delay_alu instid0(VALU_DEP_1)
	v_add_nc_u32_e32 v14, s5, v14
	s_or_b32 exec_lo, exec_lo, s3
	s_and_saveexec_b32 s3, s4
	s_cbranch_execnz .LBB7_177
	s_branch .LBB7_178
.LBB7_283:                              ;   in Loop: Header=BB7_140 Depth=1
	s_mov_b32 s5, 0
	s_mov_b32 s4, exec_lo
                                        ; implicit-def: $vgpr14
	v_cmpx_eq_u32_e64 v15, v23
	s_cbranch_execz .LBB7_289
; %bb.284:                              ;   in Loop: Header=BB7_140 Depth=1
	s_mov_b32 s6, exec_lo
	s_mov_b32 s5, exec_lo
	v_mbcnt_lo_u32_b32 v14, s6, 0
                                        ; implicit-def: $vgpr15
	s_delay_alu instid0(VALU_DEP_1)
	v_cmpx_eq_u32_e32 0, v14
	s_cbranch_execz .LBB7_286
; %bb.285:                              ;   in Loop: Header=BB7_140 Depth=1
	s_bcnt1_i32_b32 s6, s6
	s_delay_alu instid0(SALU_CYCLE_1)
	v_mov_b32_e32 v15, s6
	ds_add_rtn_u32 v15, v25, v15 offset:512
.LBB7_286:                              ;   in Loop: Header=BB7_140 Depth=1
	s_or_b32 exec_lo, exec_lo, s5
	s_waitcnt lgkmcnt(0)
	v_readfirstlane_b32 s5, v15
	s_mov_b32 s6, exec_lo
	s_delay_alu instid0(VALU_DEP_1) | instskip(SKIP_1) | instid1(VALU_DEP_1)
	v_add_nc_u32_e32 v15, s5, v14
	s_mov_b32 s5, 0
                                        ; implicit-def: $vgpr14
	v_cmpx_lt_i32_e64 v15, v22
; %bb.287:                              ;   in Loop: Header=BB7_140 Depth=1
	v_xad_u32 v14, v15, -1, v9
	s_mov_b32 s5, exec_lo
; %bb.288:                              ;   in Loop: Header=BB7_140 Depth=1
	s_or_b32 exec_lo, exec_lo, s6
	s_delay_alu instid0(SALU_CYCLE_1)
	s_and_b32 s5, s5, exec_lo
.LBB7_289:                              ;   in Loop: Header=BB7_140 Depth=1
	s_or_b32 exec_lo, exec_lo, s4
	s_delay_alu instid0(SALU_CYCLE_1)
	s_and_b32 s4, s5, exec_lo
	s_and_not1_saveexec_b32 s3, s3
	s_cbranch_execz .LBB7_180
.LBB7_290:                              ;   in Loop: Header=BB7_140 Depth=1
	s_mov_b32 s6, exec_lo
	s_mov_b32 s5, exec_lo
	v_mbcnt_lo_u32_b32 v14, s6, 0
                                        ; implicit-def: $vgpr15
	s_delay_alu instid0(VALU_DEP_1)
	v_cmpx_eq_u32_e32 0, v14
	s_cbranch_execz .LBB7_292
; %bb.291:                              ;   in Loop: Header=BB7_140 Depth=1
	s_bcnt1_i32_b32 s6, s6
	s_delay_alu instid0(SALU_CYCLE_1)
	v_mov_b32_e32 v15, s6
	ds_add_rtn_u32 v15, v25, v15 offset:384
.LBB7_292:                              ;   in Loop: Header=BB7_140 Depth=1
	s_or_b32 exec_lo, exec_lo, s5
	s_waitcnt lgkmcnt(0)
	v_readfirstlane_b32 s5, v15
	s_or_b32 s4, s4, exec_lo
	s_delay_alu instid0(VALU_DEP_1)
	v_add_nc_u32_e32 v14, s5, v14
	s_or_b32 exec_lo, exec_lo, s3
	s_and_saveexec_b32 s3, s4
	s_cbranch_execnz .LBB7_181
	s_branch .LBB7_182
.LBB7_293:                              ;   in Loop: Header=BB7_140 Depth=1
	s_mov_b32 s5, 0
	s_mov_b32 s4, exec_lo
                                        ; implicit-def: $vgpr14
	v_cmpx_eq_u32_e64 v15, v23
	s_cbranch_execz .LBB7_299
; %bb.294:                              ;   in Loop: Header=BB7_140 Depth=1
	s_mov_b32 s6, exec_lo
	s_mov_b32 s5, exec_lo
	v_mbcnt_lo_u32_b32 v14, s6, 0
                                        ; implicit-def: $vgpr15
	s_delay_alu instid0(VALU_DEP_1)
	v_cmpx_eq_u32_e32 0, v14
	s_cbranch_execz .LBB7_296
; %bb.295:                              ;   in Loop: Header=BB7_140 Depth=1
	s_bcnt1_i32_b32 s6, s6
	s_delay_alu instid0(SALU_CYCLE_1)
	v_mov_b32_e32 v15, s6
	ds_add_rtn_u32 v15, v25, v15 offset:512
.LBB7_296:                              ;   in Loop: Header=BB7_140 Depth=1
	s_or_b32 exec_lo, exec_lo, s5
	s_waitcnt lgkmcnt(0)
	v_readfirstlane_b32 s5, v15
	s_mov_b32 s6, exec_lo
	s_delay_alu instid0(VALU_DEP_1) | instskip(SKIP_1) | instid1(VALU_DEP_1)
	v_add_nc_u32_e32 v15, s5, v14
	s_mov_b32 s5, 0
                                        ; implicit-def: $vgpr14
	v_cmpx_lt_i32_e64 v15, v22
; %bb.297:                              ;   in Loop: Header=BB7_140 Depth=1
	v_xad_u32 v14, v15, -1, v9
	s_mov_b32 s5, exec_lo
; %bb.298:                              ;   in Loop: Header=BB7_140 Depth=1
	s_or_b32 exec_lo, exec_lo, s6
	s_delay_alu instid0(SALU_CYCLE_1)
	s_and_b32 s5, s5, exec_lo
.LBB7_299:                              ;   in Loop: Header=BB7_140 Depth=1
	s_or_b32 exec_lo, exec_lo, s4
	s_delay_alu instid0(SALU_CYCLE_1)
	s_and_b32 s4, s5, exec_lo
	s_and_not1_saveexec_b32 s3, s3
	s_cbranch_execz .LBB7_198
.LBB7_300:                              ;   in Loop: Header=BB7_140 Depth=1
	s_mov_b32 s6, exec_lo
	s_mov_b32 s5, exec_lo
	v_mbcnt_lo_u32_b32 v14, s6, 0
                                        ; implicit-def: $vgpr15
	s_delay_alu instid0(VALU_DEP_1)
	v_cmpx_eq_u32_e32 0, v14
	s_cbranch_execz .LBB7_302
; %bb.301:                              ;   in Loop: Header=BB7_140 Depth=1
	s_bcnt1_i32_b32 s6, s6
	s_delay_alu instid0(SALU_CYCLE_1)
	v_mov_b32_e32 v15, s6
	ds_add_rtn_u32 v15, v25, v15 offset:384
.LBB7_302:                              ;   in Loop: Header=BB7_140 Depth=1
	s_or_b32 exec_lo, exec_lo, s5
	s_waitcnt lgkmcnt(0)
	v_readfirstlane_b32 s5, v15
	s_or_b32 s4, s4, exec_lo
	s_delay_alu instid0(VALU_DEP_1)
	v_add_nc_u32_e32 v14, s5, v14
	s_or_b32 exec_lo, exec_lo, s3
	s_and_saveexec_b32 s3, s4
	s_cbranch_execnz .LBB7_199
	s_branch .LBB7_200
.LBB7_303:                              ;   in Loop: Header=BB7_140 Depth=1
	s_mov_b32 s5, 0
	s_mov_b32 s4, exec_lo
                                        ; implicit-def: $vgpr14
	v_cmpx_eq_u32_e64 v15, v23
	s_cbranch_execz .LBB7_309
; %bb.304:                              ;   in Loop: Header=BB7_140 Depth=1
	s_mov_b32 s6, exec_lo
	s_mov_b32 s5, exec_lo
	v_mbcnt_lo_u32_b32 v14, s6, 0
                                        ; implicit-def: $vgpr15
	s_delay_alu instid0(VALU_DEP_1)
	v_cmpx_eq_u32_e32 0, v14
	s_cbranch_execz .LBB7_306
; %bb.305:                              ;   in Loop: Header=BB7_140 Depth=1
	s_bcnt1_i32_b32 s6, s6
	s_delay_alu instid0(SALU_CYCLE_1)
	v_mov_b32_e32 v15, s6
	ds_add_rtn_u32 v15, v25, v15 offset:512
.LBB7_306:                              ;   in Loop: Header=BB7_140 Depth=1
	s_or_b32 exec_lo, exec_lo, s5
	s_waitcnt lgkmcnt(0)
	v_readfirstlane_b32 s5, v15
	s_mov_b32 s6, exec_lo
	s_delay_alu instid0(VALU_DEP_1) | instskip(SKIP_1) | instid1(VALU_DEP_1)
	v_add_nc_u32_e32 v15, s5, v14
	s_mov_b32 s5, 0
                                        ; implicit-def: $vgpr14
	v_cmpx_lt_i32_e64 v15, v22
; %bb.307:                              ;   in Loop: Header=BB7_140 Depth=1
	v_xad_u32 v14, v15, -1, v9
	s_mov_b32 s5, exec_lo
; %bb.308:                              ;   in Loop: Header=BB7_140 Depth=1
	s_or_b32 exec_lo, exec_lo, s6
	s_delay_alu instid0(SALU_CYCLE_1)
	s_and_b32 s5, s5, exec_lo
.LBB7_309:                              ;   in Loop: Header=BB7_140 Depth=1
	s_or_b32 exec_lo, exec_lo, s4
	s_delay_alu instid0(SALU_CYCLE_1)
	s_and_b32 s4, s5, exec_lo
	s_and_not1_saveexec_b32 s3, s3
	s_cbranch_execz .LBB7_202
.LBB7_310:                              ;   in Loop: Header=BB7_140 Depth=1
	s_mov_b32 s6, exec_lo
	s_mov_b32 s5, exec_lo
	v_mbcnt_lo_u32_b32 v14, s6, 0
                                        ; implicit-def: $vgpr15
	s_delay_alu instid0(VALU_DEP_1)
	v_cmpx_eq_u32_e32 0, v14
	s_cbranch_execz .LBB7_312
; %bb.311:                              ;   in Loop: Header=BB7_140 Depth=1
	s_bcnt1_i32_b32 s6, s6
	s_delay_alu instid0(SALU_CYCLE_1)
	v_mov_b32_e32 v15, s6
	ds_add_rtn_u32 v15, v25, v15 offset:384
.LBB7_312:                              ;   in Loop: Header=BB7_140 Depth=1
	s_or_b32 exec_lo, exec_lo, s5
	s_waitcnt lgkmcnt(0)
	v_readfirstlane_b32 s5, v15
	s_or_b32 s4, s4, exec_lo
	s_delay_alu instid0(VALU_DEP_1)
	v_add_nc_u32_e32 v14, s5, v14
	s_or_b32 exec_lo, exec_lo, s3
	s_and_saveexec_b32 s3, s4
	s_cbranch_execnz .LBB7_203
	s_branch .LBB7_204
.LBB7_313:                              ;   in Loop: Header=BB7_140 Depth=1
	s_mov_b32 s5, 0
	s_mov_b32 s4, exec_lo
                                        ; implicit-def: $vgpr14
	v_cmpx_eq_u32_e64 v15, v23
	s_cbranch_execz .LBB7_319
; %bb.314:                              ;   in Loop: Header=BB7_140 Depth=1
	s_mov_b32 s6, exec_lo
	s_mov_b32 s5, exec_lo
	v_mbcnt_lo_u32_b32 v14, s6, 0
                                        ; implicit-def: $vgpr15
	s_delay_alu instid0(VALU_DEP_1)
	v_cmpx_eq_u32_e32 0, v14
	s_cbranch_execz .LBB7_316
; %bb.315:                              ;   in Loop: Header=BB7_140 Depth=1
	s_bcnt1_i32_b32 s6, s6
	s_delay_alu instid0(SALU_CYCLE_1)
	v_mov_b32_e32 v15, s6
	ds_add_rtn_u32 v15, v25, v15 offset:512
.LBB7_316:                              ;   in Loop: Header=BB7_140 Depth=1
	s_or_b32 exec_lo, exec_lo, s5
	s_waitcnt lgkmcnt(0)
	v_readfirstlane_b32 s5, v15
	s_mov_b32 s6, exec_lo
	s_delay_alu instid0(VALU_DEP_1) | instskip(SKIP_1) | instid1(VALU_DEP_1)
	v_add_nc_u32_e32 v15, s5, v14
	s_mov_b32 s5, 0
                                        ; implicit-def: $vgpr14
	v_cmpx_lt_i32_e64 v15, v22
; %bb.317:                              ;   in Loop: Header=BB7_140 Depth=1
	v_xad_u32 v14, v15, -1, v9
	s_mov_b32 s5, exec_lo
; %bb.318:                              ;   in Loop: Header=BB7_140 Depth=1
	s_or_b32 exec_lo, exec_lo, s6
	s_delay_alu instid0(SALU_CYCLE_1)
	s_and_b32 s5, s5, exec_lo
.LBB7_319:                              ;   in Loop: Header=BB7_140 Depth=1
	s_or_b32 exec_lo, exec_lo, s4
	s_delay_alu instid0(SALU_CYCLE_1)
	s_and_b32 s4, s5, exec_lo
	s_and_not1_saveexec_b32 s3, s3
	s_cbranch_execz .LBB7_206
.LBB7_320:                              ;   in Loop: Header=BB7_140 Depth=1
	s_mov_b32 s6, exec_lo
	s_mov_b32 s5, exec_lo
	v_mbcnt_lo_u32_b32 v14, s6, 0
                                        ; implicit-def: $vgpr15
	s_delay_alu instid0(VALU_DEP_1)
	v_cmpx_eq_u32_e32 0, v14
	s_cbranch_execz .LBB7_322
; %bb.321:                              ;   in Loop: Header=BB7_140 Depth=1
	s_bcnt1_i32_b32 s6, s6
	s_delay_alu instid0(SALU_CYCLE_1)
	v_mov_b32_e32 v15, s6
	ds_add_rtn_u32 v15, v25, v15 offset:384
.LBB7_322:                              ;   in Loop: Header=BB7_140 Depth=1
	s_or_b32 exec_lo, exec_lo, s5
	s_waitcnt lgkmcnt(0)
	v_readfirstlane_b32 s5, v15
	s_or_b32 s4, s4, exec_lo
	s_delay_alu instid0(VALU_DEP_1)
	v_add_nc_u32_e32 v14, s5, v14
	s_or_b32 exec_lo, exec_lo, s3
	s_and_saveexec_b32 s3, s4
	s_cbranch_execnz .LBB7_207
	s_branch .LBB7_208
.LBB7_323:                              ;   in Loop: Header=BB7_140 Depth=1
	s_mov_b32 s5, 0
	s_mov_b32 s4, exec_lo
                                        ; implicit-def: $vgpr14
	v_cmpx_eq_u32_e64 v15, v23
	s_cbranch_execz .LBB7_329
; %bb.324:                              ;   in Loop: Header=BB7_140 Depth=1
	s_mov_b32 s6, exec_lo
	s_mov_b32 s5, exec_lo
	v_mbcnt_lo_u32_b32 v14, s6, 0
                                        ; implicit-def: $vgpr15
	s_delay_alu instid0(VALU_DEP_1)
	v_cmpx_eq_u32_e32 0, v14
	s_cbranch_execz .LBB7_326
; %bb.325:                              ;   in Loop: Header=BB7_140 Depth=1
	s_bcnt1_i32_b32 s6, s6
	s_delay_alu instid0(SALU_CYCLE_1)
	v_mov_b32_e32 v15, s6
	ds_add_rtn_u32 v15, v25, v15 offset:512
.LBB7_326:                              ;   in Loop: Header=BB7_140 Depth=1
	s_or_b32 exec_lo, exec_lo, s5
	s_waitcnt lgkmcnt(0)
	v_readfirstlane_b32 s5, v15
	s_mov_b32 s6, exec_lo
	s_delay_alu instid0(VALU_DEP_1) | instskip(SKIP_1) | instid1(VALU_DEP_1)
	v_add_nc_u32_e32 v15, s5, v14
	s_mov_b32 s5, 0
                                        ; implicit-def: $vgpr14
	v_cmpx_lt_i32_e64 v15, v22
	s_xor_b32 s6, exec_lo, s6
; %bb.327:                              ;   in Loop: Header=BB7_140 Depth=1
	v_xad_u32 v14, v15, -1, v9
	s_mov_b32 s5, exec_lo
; %bb.328:                              ;   in Loop: Header=BB7_140 Depth=1
	s_or_b32 exec_lo, exec_lo, s6
	s_delay_alu instid0(SALU_CYCLE_1)
	s_and_b32 s5, s5, exec_lo
.LBB7_329:                              ;   in Loop: Header=BB7_140 Depth=1
	s_or_b32 exec_lo, exec_lo, s4
	s_delay_alu instid0(SALU_CYCLE_1)
	s_and_b32 s4, s5, exec_lo
	s_and_not1_saveexec_b32 s3, s3
	s_cbranch_execz .LBB7_210
.LBB7_330:                              ;   in Loop: Header=BB7_140 Depth=1
	s_mov_b32 s6, exec_lo
	s_mov_b32 s5, exec_lo
	v_mbcnt_lo_u32_b32 v14, s6, 0
                                        ; implicit-def: $vgpr15
	s_delay_alu instid0(VALU_DEP_1)
	v_cmpx_eq_u32_e32 0, v14
	s_cbranch_execz .LBB7_332
; %bb.331:                              ;   in Loop: Header=BB7_140 Depth=1
	s_bcnt1_i32_b32 s6, s6
	s_delay_alu instid0(SALU_CYCLE_1)
	v_mov_b32_e32 v15, s6
	ds_add_rtn_u32 v15, v25, v15 offset:384
.LBB7_332:                              ;   in Loop: Header=BB7_140 Depth=1
	s_or_b32 exec_lo, exec_lo, s5
	s_waitcnt lgkmcnt(0)
	v_readfirstlane_b32 s5, v15
	s_or_b32 s4, s4, exec_lo
	s_delay_alu instid0(VALU_DEP_1)
	v_add_nc_u32_e32 v14, s5, v14
	s_or_b32 exec_lo, exec_lo, s3
	v_lshl_add_u32 v16, v30, 2, v2
	s_and_saveexec_b32 s3, s4
	s_cbranch_execnz .LBB7_211
	s_branch .LBB7_212
.LBB7_333:                              ;   in Loop: Header=BB7_140 Depth=1
	s_mov_b32 s5, 0
	s_mov_b32 s4, exec_lo
                                        ; implicit-def: $vgpr14
	v_cmpx_eq_u32_e64 v10, v23
	s_cbranch_execz .LBB7_339
; %bb.334:                              ;   in Loop: Header=BB7_140 Depth=1
	s_mov_b32 s6, exec_lo
	s_mov_b32 s5, exec_lo
	v_mbcnt_lo_u32_b32 v10, s6, 0
                                        ; implicit-def: $vgpr14
	s_delay_alu instid0(VALU_DEP_1)
	v_cmpx_eq_u32_e32 0, v10
	s_cbranch_execz .LBB7_336
; %bb.335:                              ;   in Loop: Header=BB7_140 Depth=1
	s_bcnt1_i32_b32 s6, s6
	s_delay_alu instid0(SALU_CYCLE_1)
	v_mov_b32_e32 v14, s6
	ds_add_rtn_u32 v14, v25, v14 offset:512
.LBB7_336:                              ;   in Loop: Header=BB7_140 Depth=1
	s_or_b32 exec_lo, exec_lo, s5
	s_waitcnt lgkmcnt(0)
	v_readfirstlane_b32 s5, v14
	s_mov_b32 s6, exec_lo
                                        ; implicit-def: $vgpr14
	s_delay_alu instid0(VALU_DEP_1) | instskip(SKIP_1) | instid1(VALU_DEP_1)
	v_add_nc_u32_e32 v10, s5, v10
	s_mov_b32 s5, 0
	v_cmpx_lt_i32_e64 v10, v22
; %bb.337:                              ;   in Loop: Header=BB7_140 Depth=1
	v_xad_u32 v14, v10, -1, v9
	s_mov_b32 s5, exec_lo
; %bb.338:                              ;   in Loop: Header=BB7_140 Depth=1
	s_or_b32 exec_lo, exec_lo, s6
	s_delay_alu instid0(SALU_CYCLE_1)
	s_and_b32 s5, s5, exec_lo
.LBB7_339:                              ;   in Loop: Header=BB7_140 Depth=1
	s_or_b32 exec_lo, exec_lo, s4
	s_delay_alu instid0(SALU_CYCLE_1)
	s_and_b32 s4, s5, exec_lo
	s_and_not1_saveexec_b32 s3, s3
	s_cbranch_execz .LBB7_214
.LBB7_340:                              ;   in Loop: Header=BB7_140 Depth=1
	s_mov_b32 s6, exec_lo
	s_mov_b32 s5, exec_lo
	v_mbcnt_lo_u32_b32 v10, s6, 0
                                        ; implicit-def: $vgpr14
	s_delay_alu instid0(VALU_DEP_1)
	v_cmpx_eq_u32_e32 0, v10
	s_cbranch_execz .LBB7_342
; %bb.341:                              ;   in Loop: Header=BB7_140 Depth=1
	s_bcnt1_i32_b32 s6, s6
	s_delay_alu instid0(SALU_CYCLE_1)
	v_mov_b32_e32 v14, s6
	ds_add_rtn_u32 v14, v25, v14 offset:384
.LBB7_342:                              ;   in Loop: Header=BB7_140 Depth=1
	s_or_b32 exec_lo, exec_lo, s5
	s_waitcnt lgkmcnt(0)
	v_readfirstlane_b32 s5, v14
	s_or_b32 s4, s4, exec_lo
	s_delay_alu instid0(VALU_DEP_1)
	v_add_nc_u32_e32 v14, s5, v10
	s_or_b32 exec_lo, exec_lo, s3
	s_and_saveexec_b32 s3, s4
	s_cbranch_execnz .LBB7_215
	s_branch .LBB7_216
.LBB7_343:                              ;   in Loop: Header=BB7_140 Depth=1
	s_mov_b32 s5, 0
	s_mov_b32 s4, exec_lo
                                        ; implicit-def: $vgpr10
	v_cmpx_eq_u32_e64 v11, v23
	s_cbranch_execz .LBB7_349
; %bb.344:                              ;   in Loop: Header=BB7_140 Depth=1
	s_mov_b32 s6, exec_lo
	s_mov_b32 s5, exec_lo
	v_mbcnt_lo_u32_b32 v10, s6, 0
                                        ; implicit-def: $vgpr11
	s_delay_alu instid0(VALU_DEP_1)
	v_cmpx_eq_u32_e32 0, v10
	s_cbranch_execz .LBB7_346
; %bb.345:                              ;   in Loop: Header=BB7_140 Depth=1
	s_bcnt1_i32_b32 s6, s6
	s_delay_alu instid0(SALU_CYCLE_1)
	v_mov_b32_e32 v11, s6
	ds_add_rtn_u32 v11, v25, v11 offset:512
.LBB7_346:                              ;   in Loop: Header=BB7_140 Depth=1
	s_or_b32 exec_lo, exec_lo, s5
	s_waitcnt lgkmcnt(0)
	v_readfirstlane_b32 s5, v11
	s_mov_b32 s6, exec_lo
	s_delay_alu instid0(VALU_DEP_1) | instskip(SKIP_1) | instid1(VALU_DEP_1)
	v_add_nc_u32_e32 v11, s5, v10
	s_mov_b32 s5, 0
                                        ; implicit-def: $vgpr10
	v_cmpx_lt_i32_e64 v11, v22
; %bb.347:                              ;   in Loop: Header=BB7_140 Depth=1
	v_xad_u32 v10, v11, -1, v9
	s_mov_b32 s5, exec_lo
; %bb.348:                              ;   in Loop: Header=BB7_140 Depth=1
	s_or_b32 exec_lo, exec_lo, s6
	s_delay_alu instid0(SALU_CYCLE_1)
	s_and_b32 s5, s5, exec_lo
.LBB7_349:                              ;   in Loop: Header=BB7_140 Depth=1
	s_or_b32 exec_lo, exec_lo, s4
	s_delay_alu instid0(SALU_CYCLE_1)
	s_and_b32 s4, s5, exec_lo
	s_and_not1_saveexec_b32 s3, s3
	s_cbranch_execz .LBB7_218
.LBB7_350:                              ;   in Loop: Header=BB7_140 Depth=1
	s_mov_b32 s6, exec_lo
	s_mov_b32 s5, exec_lo
	v_mbcnt_lo_u32_b32 v10, s6, 0
                                        ; implicit-def: $vgpr11
	s_delay_alu instid0(VALU_DEP_1)
	v_cmpx_eq_u32_e32 0, v10
	s_cbranch_execz .LBB7_352
; %bb.351:                              ;   in Loop: Header=BB7_140 Depth=1
	s_bcnt1_i32_b32 s6, s6
	s_delay_alu instid0(SALU_CYCLE_1)
	v_mov_b32_e32 v11, s6
	ds_add_rtn_u32 v11, v25, v11 offset:384
.LBB7_352:                              ;   in Loop: Header=BB7_140 Depth=1
	s_or_b32 exec_lo, exec_lo, s5
	s_waitcnt lgkmcnt(0)
	v_readfirstlane_b32 s5, v11
	s_or_b32 s4, s4, exec_lo
	s_delay_alu instid0(VALU_DEP_1)
	v_add_nc_u32_e32 v10, s5, v10
	s_or_b32 exec_lo, exec_lo, s3
	s_and_saveexec_b32 s3, s4
	s_cbranch_execnz .LBB7_219
	s_branch .LBB7_220
.LBB7_353:                              ;   in Loop: Header=BB7_140 Depth=1
	s_mov_b32 s5, 0
	s_mov_b32 s4, exec_lo
                                        ; implicit-def: $vgpr10
	v_cmpx_eq_u32_e64 v11, v23
	s_cbranch_execz .LBB7_359
; %bb.354:                              ;   in Loop: Header=BB7_140 Depth=1
	s_mov_b32 s6, exec_lo
	s_mov_b32 s5, exec_lo
	v_mbcnt_lo_u32_b32 v10, s6, 0
                                        ; implicit-def: $vgpr11
	s_delay_alu instid0(VALU_DEP_1)
	v_cmpx_eq_u32_e32 0, v10
	s_cbranch_execz .LBB7_356
; %bb.355:                              ;   in Loop: Header=BB7_140 Depth=1
	s_bcnt1_i32_b32 s6, s6
	s_delay_alu instid0(SALU_CYCLE_1)
	v_mov_b32_e32 v11, s6
	ds_add_rtn_u32 v11, v25, v11 offset:512
.LBB7_356:                              ;   in Loop: Header=BB7_140 Depth=1
	s_or_b32 exec_lo, exec_lo, s5
	s_waitcnt lgkmcnt(0)
	v_readfirstlane_b32 s5, v11
	s_mov_b32 s6, exec_lo
	s_delay_alu instid0(VALU_DEP_1) | instskip(SKIP_1) | instid1(VALU_DEP_1)
	v_add_nc_u32_e32 v11, s5, v10
	s_mov_b32 s5, 0
                                        ; implicit-def: $vgpr10
	v_cmpx_lt_i32_e64 v11, v22
; %bb.357:                              ;   in Loop: Header=BB7_140 Depth=1
	v_xad_u32 v10, v11, -1, v9
	s_mov_b32 s5, exec_lo
; %bb.358:                              ;   in Loop: Header=BB7_140 Depth=1
	s_or_b32 exec_lo, exec_lo, s6
	s_delay_alu instid0(SALU_CYCLE_1)
	s_and_b32 s5, s5, exec_lo
.LBB7_359:                              ;   in Loop: Header=BB7_140 Depth=1
	s_or_b32 exec_lo, exec_lo, s4
	s_delay_alu instid0(SALU_CYCLE_1)
	s_and_b32 s4, s5, exec_lo
	s_and_not1_saveexec_b32 s3, s3
	s_cbranch_execz .LBB7_222
.LBB7_360:                              ;   in Loop: Header=BB7_140 Depth=1
	s_mov_b32 s6, exec_lo
	s_mov_b32 s5, exec_lo
	v_mbcnt_lo_u32_b32 v10, s6, 0
                                        ; implicit-def: $vgpr11
	s_delay_alu instid0(VALU_DEP_1)
	v_cmpx_eq_u32_e32 0, v10
	s_cbranch_execz .LBB7_362
; %bb.361:                              ;   in Loop: Header=BB7_140 Depth=1
	s_bcnt1_i32_b32 s6, s6
	s_delay_alu instid0(SALU_CYCLE_1)
	v_mov_b32_e32 v11, s6
	ds_add_rtn_u32 v11, v25, v11 offset:384
.LBB7_362:                              ;   in Loop: Header=BB7_140 Depth=1
	s_or_b32 exec_lo, exec_lo, s5
	s_waitcnt lgkmcnt(0)
	v_readfirstlane_b32 s5, v11
	s_or_b32 s4, s4, exec_lo
	s_delay_alu instid0(VALU_DEP_1)
	v_add_nc_u32_e32 v10, s5, v10
	s_or_b32 exec_lo, exec_lo, s3
	s_and_saveexec_b32 s3, s4
	s_cbranch_execz .LBB7_139
.LBB7_363:                              ;   in Loop: Header=BB7_140 Depth=1
	s_delay_alu instid0(VALU_DEP_1) | instskip(SKIP_1) | instid1(VALU_DEP_2)
	v_ashrrev_i32_e32 v11, 31, v10
	v_add_nc_u32_e32 v12, 3, v16
	v_lshlrev_b64 v[10:11], 2, v[10:11]
	s_delay_alu instid0(VALU_DEP_1) | instskip(NEXT) | instid1(VALU_DEP_2)
	v_add_co_u32 v14, vcc_lo, v4, v10
	v_add_co_ci_u32_e32 v15, vcc_lo, v5, v11, vcc_lo
	v_add_co_u32 v10, vcc_lo, v6, v10
	v_add_co_ci_u32_e32 v11, vcc_lo, v7, v11, vcc_lo
	flat_store_b32 v[14:15], v13
	flat_store_b32 v[10:11], v12
	s_branch .LBB7_139
.LBB7_364:
	s_or_b32 exec_lo, exec_lo, s2
.LBB7_365:
	s_delay_alu instid0(SALU_CYCLE_1) | instskip(NEXT) | instid1(SALU_CYCLE_1)
	s_or_b32 exec_lo, exec_lo, s1
	s_mov_b32 s1, exec_lo
	v_cmpx_lt_i32_e64 v28, v26
	s_cbranch_execz .LBB7_424
; %bb.366:
	v_lshl_add_u32 v16, v28, 2, v2
	v_mov_b32_e32 v17, 0
	s_mov_b32 s2, 0
	s_branch .LBB7_368
.LBB7_367:                              ;   in Loop: Header=BB7_368 Depth=1
	s_or_b32 exec_lo, exec_lo, s3
	v_add_nc_u32_e32 v28, v28, v34
	v_add_nc_u32_e32 v16, v16, v36
	s_delay_alu instid0(VALU_DEP_2) | instskip(SKIP_1) | instid1(SALU_CYCLE_1)
	v_cmp_ge_i32_e32 vcc_lo, v28, v26
	s_or_b32 s2, vcc_lo, s2
	s_and_not1_b32 exec_lo, exec_lo, s2
	s_cbranch_execz .LBB7_424
.LBB7_368:                              ; =>This Inner Loop Header: Depth=1
	v_ashrrev_i32_e32 v29, 31, v28
	s_mov_b32 s4, 0
	s_mov_b32 s3, exec_lo
	s_delay_alu instid0(VALU_DEP_1) | instskip(NEXT) | instid1(VALU_DEP_1)
	v_lshlrev_b64 v[10:11], 4, v[28:29]
	v_add_co_u32 v10, vcc_lo, v3, v10
	s_delay_alu instid0(VALU_DEP_2) | instskip(SKIP_4) | instid1(VALU_DEP_1)
	v_add_co_ci_u32_e32 v11, vcc_lo, v35, v11, vcc_lo
	flat_load_b128 v[10:13], v[10:11]
	s_waitcnt vmcnt(0) lgkmcnt(0)
	v_cmp_gt_i32_e32 vcc_lo, 0, v10
	v_cndmask_b32_e64 v14, 0x7fffffff, 0, vcc_lo
	v_xor_b32_e32 v14, v14, v10
	s_delay_alu instid0(VALU_DEP_1) | instskip(NEXT) | instid1(VALU_DEP_1)
	v_and_b32_e32 v15, v14, v33
                                        ; implicit-def: $vgpr14
	v_cmpx_ge_u32_e64 v15, v23
	s_xor_b32 s3, exec_lo, s3
	s_cbranch_execnz .LBB7_383
; %bb.369:                              ;   in Loop: Header=BB7_368 Depth=1
	s_and_not1_saveexec_b32 s3, s3
	s_cbranch_execnz .LBB7_390
.LBB7_370:                              ;   in Loop: Header=BB7_368 Depth=1
	s_or_b32 exec_lo, exec_lo, s3
	s_and_saveexec_b32 s3, s4
	s_cbranch_execz .LBB7_372
.LBB7_371:                              ;   in Loop: Header=BB7_368 Depth=1
	v_ashrrev_i32_e32 v15, 31, v14
	s_delay_alu instid0(VALU_DEP_1) | instskip(NEXT) | instid1(VALU_DEP_1)
	v_lshlrev_b64 v[14:15], 2, v[14:15]
	v_add_co_u32 v18, vcc_lo, v4, v14
	s_delay_alu instid0(VALU_DEP_2)
	v_add_co_ci_u32_e32 v19, vcc_lo, v5, v15, vcc_lo
	v_add_co_u32 v14, vcc_lo, v6, v14
	v_add_co_ci_u32_e32 v15, vcc_lo, v7, v15, vcc_lo
	flat_store_b32 v[18:19], v10
	flat_store_b32 v[14:15], v16
.LBB7_372:                              ;   in Loop: Header=BB7_368 Depth=1
	s_or_b32 exec_lo, exec_lo, s3
	v_cmp_gt_i32_e32 vcc_lo, 0, v11
	s_mov_b32 s4, 0
	s_mov_b32 s3, exec_lo
                                        ; implicit-def: $vgpr14
	v_cndmask_b32_e64 v10, 0x7fffffff, 0, vcc_lo
	s_delay_alu instid0(VALU_DEP_1) | instskip(NEXT) | instid1(VALU_DEP_1)
	v_xor_b32_e32 v10, v10, v11
	v_and_b32_e32 v10, v10, v33
	s_delay_alu instid0(VALU_DEP_1)
	v_cmpx_ge_u32_e64 v10, v23
	s_xor_b32 s3, exec_lo, s3
	s_cbranch_execnz .LBB7_393
; %bb.373:                              ;   in Loop: Header=BB7_368 Depth=1
	s_and_not1_saveexec_b32 s3, s3
	s_cbranch_execnz .LBB7_400
.LBB7_374:                              ;   in Loop: Header=BB7_368 Depth=1
	s_or_b32 exec_lo, exec_lo, s3
	s_and_saveexec_b32 s3, s4
	s_cbranch_execz .LBB7_376
.LBB7_375:                              ;   in Loop: Header=BB7_368 Depth=1
	v_ashrrev_i32_e32 v15, 31, v14
	v_add_nc_u32_e32 v10, 1, v16
	s_delay_alu instid0(VALU_DEP_2) | instskip(NEXT) | instid1(VALU_DEP_1)
	v_lshlrev_b64 v[14:15], 2, v[14:15]
	v_add_co_u32 v18, vcc_lo, v4, v14
	s_delay_alu instid0(VALU_DEP_2)
	v_add_co_ci_u32_e32 v19, vcc_lo, v5, v15, vcc_lo
	v_add_co_u32 v14, vcc_lo, v6, v14
	v_add_co_ci_u32_e32 v15, vcc_lo, v7, v15, vcc_lo
	flat_store_b32 v[18:19], v11
	flat_store_b32 v[14:15], v10
.LBB7_376:                              ;   in Loop: Header=BB7_368 Depth=1
	s_or_b32 exec_lo, exec_lo, s3
	v_cmp_gt_i32_e32 vcc_lo, 0, v12
	s_mov_b32 s4, 0
	s_mov_b32 s3, exec_lo
	v_cndmask_b32_e64 v10, 0x7fffffff, 0, vcc_lo
	s_delay_alu instid0(VALU_DEP_1) | instskip(NEXT) | instid1(VALU_DEP_1)
	v_xor_b32_e32 v10, v10, v12
	v_and_b32_e32 v11, v10, v33
                                        ; implicit-def: $vgpr10
	s_delay_alu instid0(VALU_DEP_1)
	v_cmpx_ge_u32_e64 v11, v23
	s_xor_b32 s3, exec_lo, s3
	s_cbranch_execnz .LBB7_403
; %bb.377:                              ;   in Loop: Header=BB7_368 Depth=1
	s_and_not1_saveexec_b32 s3, s3
	s_cbranch_execnz .LBB7_410
.LBB7_378:                              ;   in Loop: Header=BB7_368 Depth=1
	s_or_b32 exec_lo, exec_lo, s3
	s_and_saveexec_b32 s3, s4
	s_cbranch_execz .LBB7_380
.LBB7_379:                              ;   in Loop: Header=BB7_368 Depth=1
	v_ashrrev_i32_e32 v11, 31, v10
	v_add_nc_u32_e32 v18, 2, v16
	s_delay_alu instid0(VALU_DEP_2) | instskip(NEXT) | instid1(VALU_DEP_1)
	v_lshlrev_b64 v[10:11], 2, v[10:11]
	v_add_co_u32 v14, vcc_lo, v4, v10
	s_delay_alu instid0(VALU_DEP_2)
	v_add_co_ci_u32_e32 v15, vcc_lo, v5, v11, vcc_lo
	v_add_co_u32 v10, vcc_lo, v6, v10
	v_add_co_ci_u32_e32 v11, vcc_lo, v7, v11, vcc_lo
	flat_store_b32 v[14:15], v12
	flat_store_b32 v[10:11], v18
.LBB7_380:                              ;   in Loop: Header=BB7_368 Depth=1
	s_or_b32 exec_lo, exec_lo, s3
	v_cmp_gt_i32_e32 vcc_lo, 0, v13
	s_mov_b32 s4, 0
	s_mov_b32 s3, exec_lo
	v_cndmask_b32_e64 v10, 0x7fffffff, 0, vcc_lo
	s_delay_alu instid0(VALU_DEP_1) | instskip(NEXT) | instid1(VALU_DEP_1)
	v_xor_b32_e32 v10, v10, v13
	v_and_b32_e32 v11, v10, v33
                                        ; implicit-def: $vgpr10
	s_delay_alu instid0(VALU_DEP_1)
	v_cmpx_ge_u32_e64 v11, v23
	s_xor_b32 s3, exec_lo, s3
	s_cbranch_execnz .LBB7_413
; %bb.381:                              ;   in Loop: Header=BB7_368 Depth=1
	s_and_not1_saveexec_b32 s3, s3
	s_cbranch_execnz .LBB7_420
.LBB7_382:                              ;   in Loop: Header=BB7_368 Depth=1
	s_or_b32 exec_lo, exec_lo, s3
	s_and_saveexec_b32 s3, s4
	s_cbranch_execz .LBB7_367
	s_branch .LBB7_423
.LBB7_383:                              ;   in Loop: Header=BB7_368 Depth=1
	s_mov_b32 s5, 0
	s_mov_b32 s4, exec_lo
                                        ; implicit-def: $vgpr14
	v_cmpx_eq_u32_e64 v15, v23
	s_cbranch_execz .LBB7_389
; %bb.384:                              ;   in Loop: Header=BB7_368 Depth=1
	s_mov_b32 s6, exec_lo
	s_mov_b32 s5, exec_lo
	v_mbcnt_lo_u32_b32 v14, s6, 0
                                        ; implicit-def: $vgpr15
	s_delay_alu instid0(VALU_DEP_1)
	v_cmpx_eq_u32_e32 0, v14
	s_cbranch_execz .LBB7_386
; %bb.385:                              ;   in Loop: Header=BB7_368 Depth=1
	s_bcnt1_i32_b32 s6, s6
	s_delay_alu instid0(SALU_CYCLE_1)
	v_mov_b32_e32 v15, s6
	ds_add_rtn_u32 v15, v17, v15 offset:512
.LBB7_386:                              ;   in Loop: Header=BB7_368 Depth=1
	s_or_b32 exec_lo, exec_lo, s5
	s_waitcnt lgkmcnt(0)
	v_readfirstlane_b32 s5, v15
	s_mov_b32 s6, exec_lo
	s_delay_alu instid0(VALU_DEP_1) | instskip(SKIP_1) | instid1(VALU_DEP_1)
	v_add_nc_u32_e32 v15, s5, v14
	s_mov_b32 s5, 0
                                        ; implicit-def: $vgpr14
	v_cmpx_lt_i32_e64 v15, v22
	s_xor_b32 s6, exec_lo, s6
; %bb.387:                              ;   in Loop: Header=BB7_368 Depth=1
	v_xad_u32 v14, v15, -1, v9
	s_mov_b32 s5, exec_lo
; %bb.388:                              ;   in Loop: Header=BB7_368 Depth=1
	s_or_b32 exec_lo, exec_lo, s6
	s_delay_alu instid0(SALU_CYCLE_1)
	s_and_b32 s5, s5, exec_lo
.LBB7_389:                              ;   in Loop: Header=BB7_368 Depth=1
	s_or_b32 exec_lo, exec_lo, s4
	s_delay_alu instid0(SALU_CYCLE_1)
	s_and_b32 s4, s5, exec_lo
	s_and_not1_saveexec_b32 s3, s3
	s_cbranch_execz .LBB7_370
.LBB7_390:                              ;   in Loop: Header=BB7_368 Depth=1
	s_mov_b32 s6, exec_lo
	s_mov_b32 s5, exec_lo
	v_mbcnt_lo_u32_b32 v14, s6, 0
                                        ; implicit-def: $vgpr15
	s_delay_alu instid0(VALU_DEP_1)
	v_cmpx_eq_u32_e32 0, v14
	s_cbranch_execz .LBB7_392
; %bb.391:                              ;   in Loop: Header=BB7_368 Depth=1
	s_bcnt1_i32_b32 s6, s6
	s_delay_alu instid0(SALU_CYCLE_1)
	v_mov_b32_e32 v15, s6
	ds_add_rtn_u32 v15, v17, v15 offset:384
.LBB7_392:                              ;   in Loop: Header=BB7_368 Depth=1
	s_or_b32 exec_lo, exec_lo, s5
	s_waitcnt lgkmcnt(0)
	v_readfirstlane_b32 s5, v15
	s_or_b32 s4, s4, exec_lo
	s_delay_alu instid0(VALU_DEP_1)
	v_add_nc_u32_e32 v14, s5, v14
	s_or_b32 exec_lo, exec_lo, s3
	s_and_saveexec_b32 s3, s4
	s_cbranch_execnz .LBB7_371
	s_branch .LBB7_372
.LBB7_393:                              ;   in Loop: Header=BB7_368 Depth=1
	s_mov_b32 s5, 0
	s_mov_b32 s4, exec_lo
                                        ; implicit-def: $vgpr14
	v_cmpx_eq_u32_e64 v10, v23
	s_cbranch_execz .LBB7_399
; %bb.394:                              ;   in Loop: Header=BB7_368 Depth=1
	s_mov_b32 s6, exec_lo
	s_mov_b32 s5, exec_lo
	v_mbcnt_lo_u32_b32 v10, s6, 0
                                        ; implicit-def: $vgpr14
	s_delay_alu instid0(VALU_DEP_1)
	v_cmpx_eq_u32_e32 0, v10
	s_cbranch_execz .LBB7_396
; %bb.395:                              ;   in Loop: Header=BB7_368 Depth=1
	s_bcnt1_i32_b32 s6, s6
	s_delay_alu instid0(SALU_CYCLE_1)
	v_mov_b32_e32 v14, s6
	ds_add_rtn_u32 v14, v17, v14 offset:512
.LBB7_396:                              ;   in Loop: Header=BB7_368 Depth=1
	s_or_b32 exec_lo, exec_lo, s5
	s_waitcnt lgkmcnt(0)
	v_readfirstlane_b32 s5, v14
	s_mov_b32 s6, exec_lo
                                        ; implicit-def: $vgpr14
	s_delay_alu instid0(VALU_DEP_1) | instskip(SKIP_1) | instid1(VALU_DEP_1)
	v_add_nc_u32_e32 v10, s5, v10
	s_mov_b32 s5, 0
	v_cmpx_lt_i32_e64 v10, v22
; %bb.397:                              ;   in Loop: Header=BB7_368 Depth=1
	v_xad_u32 v14, v10, -1, v9
	s_mov_b32 s5, exec_lo
; %bb.398:                              ;   in Loop: Header=BB7_368 Depth=1
	s_or_b32 exec_lo, exec_lo, s6
	s_delay_alu instid0(SALU_CYCLE_1)
	s_and_b32 s5, s5, exec_lo
.LBB7_399:                              ;   in Loop: Header=BB7_368 Depth=1
	s_or_b32 exec_lo, exec_lo, s4
	s_delay_alu instid0(SALU_CYCLE_1)
	s_and_b32 s4, s5, exec_lo
	s_and_not1_saveexec_b32 s3, s3
	s_cbranch_execz .LBB7_374
.LBB7_400:                              ;   in Loop: Header=BB7_368 Depth=1
	s_mov_b32 s6, exec_lo
	s_mov_b32 s5, exec_lo
	v_mbcnt_lo_u32_b32 v10, s6, 0
                                        ; implicit-def: $vgpr14
	s_delay_alu instid0(VALU_DEP_1)
	v_cmpx_eq_u32_e32 0, v10
	s_cbranch_execz .LBB7_402
; %bb.401:                              ;   in Loop: Header=BB7_368 Depth=1
	s_bcnt1_i32_b32 s6, s6
	s_delay_alu instid0(SALU_CYCLE_1)
	v_mov_b32_e32 v14, s6
	ds_add_rtn_u32 v14, v17, v14 offset:384
.LBB7_402:                              ;   in Loop: Header=BB7_368 Depth=1
	s_or_b32 exec_lo, exec_lo, s5
	s_waitcnt lgkmcnt(0)
	v_readfirstlane_b32 s5, v14
	s_or_b32 s4, s4, exec_lo
	s_delay_alu instid0(VALU_DEP_1)
	v_add_nc_u32_e32 v14, s5, v10
	s_or_b32 exec_lo, exec_lo, s3
	s_and_saveexec_b32 s3, s4
	s_cbranch_execnz .LBB7_375
	s_branch .LBB7_376
.LBB7_403:                              ;   in Loop: Header=BB7_368 Depth=1
	s_mov_b32 s5, 0
	s_mov_b32 s4, exec_lo
                                        ; implicit-def: $vgpr10
	v_cmpx_eq_u32_e64 v11, v23
	s_cbranch_execz .LBB7_409
; %bb.404:                              ;   in Loop: Header=BB7_368 Depth=1
	s_mov_b32 s6, exec_lo
	s_mov_b32 s5, exec_lo
	v_mbcnt_lo_u32_b32 v10, s6, 0
                                        ; implicit-def: $vgpr11
	s_delay_alu instid0(VALU_DEP_1)
	v_cmpx_eq_u32_e32 0, v10
	s_cbranch_execz .LBB7_406
; %bb.405:                              ;   in Loop: Header=BB7_368 Depth=1
	s_bcnt1_i32_b32 s6, s6
	s_delay_alu instid0(SALU_CYCLE_1)
	v_mov_b32_e32 v11, s6
	ds_add_rtn_u32 v11, v17, v11 offset:512
.LBB7_406:                              ;   in Loop: Header=BB7_368 Depth=1
	s_or_b32 exec_lo, exec_lo, s5
	s_waitcnt lgkmcnt(0)
	v_readfirstlane_b32 s5, v11
	s_mov_b32 s6, exec_lo
	s_delay_alu instid0(VALU_DEP_1) | instskip(SKIP_1) | instid1(VALU_DEP_1)
	v_add_nc_u32_e32 v11, s5, v10
	s_mov_b32 s5, 0
                                        ; implicit-def: $vgpr10
	v_cmpx_lt_i32_e64 v11, v22
; %bb.407:                              ;   in Loop: Header=BB7_368 Depth=1
	v_xad_u32 v10, v11, -1, v9
	s_mov_b32 s5, exec_lo
; %bb.408:                              ;   in Loop: Header=BB7_368 Depth=1
	s_or_b32 exec_lo, exec_lo, s6
	s_delay_alu instid0(SALU_CYCLE_1)
	s_and_b32 s5, s5, exec_lo
.LBB7_409:                              ;   in Loop: Header=BB7_368 Depth=1
	s_or_b32 exec_lo, exec_lo, s4
	s_delay_alu instid0(SALU_CYCLE_1)
	s_and_b32 s4, s5, exec_lo
	s_and_not1_saveexec_b32 s3, s3
	s_cbranch_execz .LBB7_378
.LBB7_410:                              ;   in Loop: Header=BB7_368 Depth=1
	s_mov_b32 s6, exec_lo
	s_mov_b32 s5, exec_lo
	v_mbcnt_lo_u32_b32 v10, s6, 0
                                        ; implicit-def: $vgpr11
	s_delay_alu instid0(VALU_DEP_1)
	v_cmpx_eq_u32_e32 0, v10
	s_cbranch_execz .LBB7_412
; %bb.411:                              ;   in Loop: Header=BB7_368 Depth=1
	s_bcnt1_i32_b32 s6, s6
	s_delay_alu instid0(SALU_CYCLE_1)
	v_mov_b32_e32 v11, s6
	ds_add_rtn_u32 v11, v17, v11 offset:384
.LBB7_412:                              ;   in Loop: Header=BB7_368 Depth=1
	s_or_b32 exec_lo, exec_lo, s5
	s_waitcnt lgkmcnt(0)
	v_readfirstlane_b32 s5, v11
	s_or_b32 s4, s4, exec_lo
	s_delay_alu instid0(VALU_DEP_1)
	v_add_nc_u32_e32 v10, s5, v10
	s_or_b32 exec_lo, exec_lo, s3
	s_and_saveexec_b32 s3, s4
	s_cbranch_execnz .LBB7_379
	s_branch .LBB7_380
.LBB7_413:                              ;   in Loop: Header=BB7_368 Depth=1
	s_mov_b32 s5, 0
	s_mov_b32 s4, exec_lo
                                        ; implicit-def: $vgpr10
	v_cmpx_eq_u32_e64 v11, v23
	s_cbranch_execz .LBB7_419
; %bb.414:                              ;   in Loop: Header=BB7_368 Depth=1
	s_mov_b32 s6, exec_lo
	s_mov_b32 s5, exec_lo
	v_mbcnt_lo_u32_b32 v10, s6, 0
                                        ; implicit-def: $vgpr11
	s_delay_alu instid0(VALU_DEP_1)
	v_cmpx_eq_u32_e32 0, v10
	s_cbranch_execz .LBB7_416
; %bb.415:                              ;   in Loop: Header=BB7_368 Depth=1
	s_bcnt1_i32_b32 s6, s6
	s_delay_alu instid0(SALU_CYCLE_1)
	v_mov_b32_e32 v11, s6
	ds_add_rtn_u32 v11, v17, v11 offset:512
.LBB7_416:                              ;   in Loop: Header=BB7_368 Depth=1
	s_or_b32 exec_lo, exec_lo, s5
	s_waitcnt lgkmcnt(0)
	v_readfirstlane_b32 s5, v11
	s_mov_b32 s6, exec_lo
	s_delay_alu instid0(VALU_DEP_1) | instskip(SKIP_1) | instid1(VALU_DEP_1)
	v_add_nc_u32_e32 v11, s5, v10
	s_mov_b32 s5, 0
                                        ; implicit-def: $vgpr10
	v_cmpx_lt_i32_e64 v11, v22
; %bb.417:                              ;   in Loop: Header=BB7_368 Depth=1
	v_xad_u32 v10, v11, -1, v9
	s_mov_b32 s5, exec_lo
; %bb.418:                              ;   in Loop: Header=BB7_368 Depth=1
	s_or_b32 exec_lo, exec_lo, s6
	s_delay_alu instid0(SALU_CYCLE_1)
	s_and_b32 s5, s5, exec_lo
.LBB7_419:                              ;   in Loop: Header=BB7_368 Depth=1
	s_or_b32 exec_lo, exec_lo, s4
	s_delay_alu instid0(SALU_CYCLE_1)
	s_and_b32 s4, s5, exec_lo
	s_and_not1_saveexec_b32 s3, s3
	s_cbranch_execz .LBB7_382
.LBB7_420:                              ;   in Loop: Header=BB7_368 Depth=1
	s_mov_b32 s6, exec_lo
	s_mov_b32 s5, exec_lo
	v_mbcnt_lo_u32_b32 v10, s6, 0
                                        ; implicit-def: $vgpr11
	s_delay_alu instid0(VALU_DEP_1)
	v_cmpx_eq_u32_e32 0, v10
	s_cbranch_execz .LBB7_422
; %bb.421:                              ;   in Loop: Header=BB7_368 Depth=1
	s_bcnt1_i32_b32 s6, s6
	s_delay_alu instid0(SALU_CYCLE_1)
	v_mov_b32_e32 v11, s6
	ds_add_rtn_u32 v11, v17, v11 offset:384
.LBB7_422:                              ;   in Loop: Header=BB7_368 Depth=1
	s_or_b32 exec_lo, exec_lo, s5
	s_waitcnt lgkmcnt(0)
	v_readfirstlane_b32 s5, v11
	s_or_b32 s4, s4, exec_lo
	s_delay_alu instid0(VALU_DEP_1)
	v_add_nc_u32_e32 v10, s5, v10
	s_or_b32 exec_lo, exec_lo, s3
	s_and_saveexec_b32 s3, s4
	s_cbranch_execz .LBB7_367
.LBB7_423:                              ;   in Loop: Header=BB7_368 Depth=1
	s_delay_alu instid0(VALU_DEP_1) | instskip(SKIP_1) | instid1(VALU_DEP_2)
	v_ashrrev_i32_e32 v11, 31, v10
	v_add_nc_u32_e32 v12, 3, v16
	v_lshlrev_b64 v[10:11], 2, v[10:11]
	s_delay_alu instid0(VALU_DEP_1) | instskip(NEXT) | instid1(VALU_DEP_2)
	v_add_co_u32 v14, vcc_lo, v4, v10
	v_add_co_ci_u32_e32 v15, vcc_lo, v5, v11, vcc_lo
	v_add_co_u32 v10, vcc_lo, v6, v10
	v_add_co_ci_u32_e32 v11, vcc_lo, v7, v11, vcc_lo
	flat_store_b32 v[14:15], v13
	flat_store_b32 v[10:11], v12
	s_branch .LBB7_367
.LBB7_424:
	s_or_b32 exec_lo, exec_lo, s1
	s_delay_alu instid0(SALU_CYCLE_1)
	s_mov_b32 s1, exec_lo
	v_cmpx_gt_u32_e64 v2, v24
	s_cbranch_execz .LBB7_429
; %bb.425:
	v_lshlrev_b32_e32 v3, 2, v24
	s_mov_b32 s3, 0
	s_mov_b32 s2, exec_lo
	s_delay_alu instid0(VALU_DEP_1)
	v_add_co_u32 v10, vcc_lo, v0, v3
	v_add_co_ci_u32_e32 v11, vcc_lo, 0, v1, vcc_lo
	flat_load_b32 v3, v[10:11]
	s_waitcnt vmcnt(0) lgkmcnt(0)
	v_cmp_gt_i32_e32 vcc_lo, 0, v3
	v_cndmask_b32_e64 v10, 0x7fffffff, 0, vcc_lo
	s_delay_alu instid0(VALU_DEP_1) | instskip(NEXT) | instid1(VALU_DEP_1)
	v_xor_b32_e32 v10, v10, v3
	v_and_b32_e32 v11, v10, v33
                                        ; implicit-def: $vgpr10
	s_delay_alu instid0(VALU_DEP_1)
	v_cmpx_ge_u32_e64 v11, v23
	s_xor_b32 s2, exec_lo, s2
	s_cbranch_execnz .LBB7_435
; %bb.426:
	s_and_not1_saveexec_b32 s2, s2
	s_cbranch_execnz .LBB7_442
.LBB7_427:
	s_or_b32 exec_lo, exec_lo, s2
	s_delay_alu instid0(SALU_CYCLE_1)
	s_and_b32 exec_lo, exec_lo, s3
	s_cbranch_execz .LBB7_429
.LBB7_428:
	v_ashrrev_i32_e32 v11, 31, v10
	s_delay_alu instid0(VALU_DEP_1) | instskip(NEXT) | instid1(VALU_DEP_1)
	v_lshlrev_b64 v[10:11], 2, v[10:11]
	v_add_co_u32 v12, vcc_lo, v4, v10
	s_delay_alu instid0(VALU_DEP_2)
	v_add_co_ci_u32_e32 v13, vcc_lo, v5, v11, vcc_lo
	v_add_co_u32 v10, vcc_lo, v6, v10
	v_add_co_ci_u32_e32 v11, vcc_lo, v7, v11, vcc_lo
	flat_store_b32 v[12:13], v3
	flat_store_b32 v[10:11], v24
.LBB7_429:
	s_or_b32 exec_lo, exec_lo, s1
	v_lshlrev_b32_e32 v3, 2, v26
	s_mov_b32 s1, exec_lo
	s_delay_alu instid0(VALU_DEP_1) | instskip(NEXT) | instid1(VALU_DEP_1)
	v_add3_u32 v2, v2, v24, v3
	v_cmpx_lt_i32_e64 v2, v8
	s_cbranch_execz .LBB7_434
; %bb.430:
	v_ashrrev_i32_e32 v3, 31, v2
	s_mov_b32 s3, 0
	s_mov_b32 s2, exec_lo
	s_delay_alu instid0(VALU_DEP_1) | instskip(NEXT) | instid1(VALU_DEP_1)
	v_lshlrev_b64 v[10:11], 2, v[2:3]
	v_add_co_u32 v0, vcc_lo, v0, v10
	s_delay_alu instid0(VALU_DEP_2) | instskip(SKIP_4) | instid1(VALU_DEP_1)
	v_add_co_ci_u32_e32 v1, vcc_lo, v1, v11, vcc_lo
	flat_load_b32 v3, v[0:1]
	s_waitcnt vmcnt(0) lgkmcnt(0)
	v_cmp_gt_i32_e32 vcc_lo, 0, v3
	v_cndmask_b32_e64 v0, 0x7fffffff, 0, vcc_lo
	v_xor_b32_e32 v0, v0, v3
	s_delay_alu instid0(VALU_DEP_1) | instskip(NEXT) | instid1(VALU_DEP_1)
	v_and_b32_e32 v1, v0, v33
                                        ; implicit-def: $vgpr0
	v_cmpx_ge_u32_e64 v1, v23
	s_xor_b32 s2, exec_lo, s2
	s_cbranch_execnz .LBB7_445
; %bb.431:
	s_and_not1_saveexec_b32 s2, s2
	s_cbranch_execnz .LBB7_452
.LBB7_432:
	s_or_b32 exec_lo, exec_lo, s2
	s_delay_alu instid0(SALU_CYCLE_1)
	s_and_b32 exec_lo, exec_lo, s3
	s_cbranch_execz .LBB7_434
.LBB7_433:
	v_ashrrev_i32_e32 v1, 31, v0
	s_delay_alu instid0(VALU_DEP_1) | instskip(NEXT) | instid1(VALU_DEP_1)
	v_lshlrev_b64 v[0:1], 2, v[0:1]
	v_add_co_u32 v4, vcc_lo, v4, v0
	s_delay_alu instid0(VALU_DEP_2)
	v_add_co_ci_u32_e32 v5, vcc_lo, v5, v1, vcc_lo
	v_add_co_u32 v0, vcc_lo, v6, v0
	v_add_co_ci_u32_e32 v1, vcc_lo, v7, v1, vcc_lo
	flat_store_b32 v[4:5], v3
	flat_store_b32 v[0:1], v2
.LBB7_434:
	s_or_b32 exec_lo, exec_lo, s1
	s_delay_alu instid0(SALU_CYCLE_1)
	s_or_b32 exec_lo, exec_lo, s0
	s_waitcnt lgkmcnt(0)
	s_setpc_b64 s[30:31]
.LBB7_435:
	s_mov_b32 s4, 0
	s_mov_b32 s3, exec_lo
                                        ; implicit-def: $vgpr10
	v_cmpx_eq_u32_e64 v11, v23
	s_cbranch_execz .LBB7_441
; %bb.436:
	s_mov_b32 s6, exec_lo
	s_mov_b32 s5, exec_lo
	v_mbcnt_lo_u32_b32 v10, s6, 0
                                        ; implicit-def: $vgpr11
	s_delay_alu instid0(VALU_DEP_1)
	v_cmpx_eq_u32_e32 0, v10
	s_cbranch_execz .LBB7_438
; %bb.437:
	s_bcnt1_i32_b32 s6, s6
	s_delay_alu instid0(SALU_CYCLE_1)
	v_dual_mov_b32 v11, 0 :: v_dual_mov_b32 v12, s6
	ds_add_rtn_u32 v11, v11, v12 offset:512
.LBB7_438:
	s_or_b32 exec_lo, exec_lo, s5
	s_waitcnt lgkmcnt(0)
	v_readfirstlane_b32 s5, v11
	s_delay_alu instid0(VALU_DEP_1) | instskip(SKIP_1) | instid1(VALU_DEP_1)
	v_add_nc_u32_e32 v11, s5, v10
	s_mov_b32 s5, exec_lo
                                        ; implicit-def: $vgpr10
	v_cmpx_lt_i32_e64 v11, v22
	s_xor_b32 s5, exec_lo, s5
; %bb.439:
	v_xad_u32 v10, v11, -1, v9
	s_mov_b32 s4, exec_lo
; %bb.440:
	s_or_b32 exec_lo, exec_lo, s5
	s_delay_alu instid0(SALU_CYCLE_1)
	s_and_b32 s4, s4, exec_lo
.LBB7_441:
	s_or_b32 exec_lo, exec_lo, s3
	s_delay_alu instid0(SALU_CYCLE_1)
	s_and_b32 s3, s4, exec_lo
	s_and_not1_saveexec_b32 s2, s2
	s_cbranch_execz .LBB7_427
.LBB7_442:
	s_mov_b32 s5, exec_lo
	s_mov_b32 s4, exec_lo
	v_mbcnt_lo_u32_b32 v10, s5, 0
                                        ; implicit-def: $vgpr11
	s_delay_alu instid0(VALU_DEP_1)
	v_cmpx_eq_u32_e32 0, v10
	s_cbranch_execz .LBB7_444
; %bb.443:
	s_bcnt1_i32_b32 s5, s5
	s_delay_alu instid0(SALU_CYCLE_1)
	v_dual_mov_b32 v11, 0 :: v_dual_mov_b32 v12, s5
	ds_add_rtn_u32 v11, v11, v12 offset:384
.LBB7_444:
	s_or_b32 exec_lo, exec_lo, s4
	s_waitcnt lgkmcnt(0)
	v_readfirstlane_b32 s4, v11
	s_or_b32 s3, s3, exec_lo
	s_delay_alu instid0(VALU_DEP_1) | instskip(SKIP_1) | instid1(SALU_CYCLE_1)
	v_add_nc_u32_e32 v10, s4, v10
	s_or_b32 exec_lo, exec_lo, s2
	s_and_b32 exec_lo, exec_lo, s3
	s_cbranch_execnz .LBB7_428
	s_branch .LBB7_429
.LBB7_445:
	s_mov_b32 s4, 0
	s_mov_b32 s3, exec_lo
                                        ; implicit-def: $vgpr0
	v_cmpx_eq_u32_e64 v1, v23
	s_cbranch_execz .LBB7_451
; %bb.446:
	s_mov_b32 s6, exec_lo
	s_mov_b32 s5, exec_lo
	v_mbcnt_lo_u32_b32 v0, s6, 0
                                        ; implicit-def: $vgpr1
	s_delay_alu instid0(VALU_DEP_1)
	v_cmpx_eq_u32_e32 0, v0
	s_cbranch_execz .LBB7_448
; %bb.447:
	s_bcnt1_i32_b32 s6, s6
	s_delay_alu instid0(SALU_CYCLE_1)
	v_dual_mov_b32 v1, 0 :: v_dual_mov_b32 v8, s6
	ds_add_rtn_u32 v1, v1, v8 offset:512
.LBB7_448:
	s_or_b32 exec_lo, exec_lo, s5
	s_waitcnt lgkmcnt(0)
	v_readfirstlane_b32 s5, v1
	s_delay_alu instid0(VALU_DEP_1) | instskip(SKIP_1) | instid1(VALU_DEP_1)
	v_add_nc_u32_e32 v1, s5, v0
	s_mov_b32 s5, exec_lo
                                        ; implicit-def: $vgpr0
	v_cmpx_lt_i32_e64 v1, v22
	s_xor_b32 s5, exec_lo, s5
; %bb.449:
	v_xad_u32 v0, v1, -1, v9
	s_mov_b32 s4, exec_lo
; %bb.450:
	s_or_b32 exec_lo, exec_lo, s5
	s_delay_alu instid0(SALU_CYCLE_1)
	s_and_b32 s4, s4, exec_lo
.LBB7_451:
	s_or_b32 exec_lo, exec_lo, s3
	s_delay_alu instid0(SALU_CYCLE_1)
	s_and_b32 s3, s4, exec_lo
	s_and_not1_saveexec_b32 s2, s2
	s_cbranch_execz .LBB7_432
.LBB7_452:
	s_mov_b32 s5, exec_lo
	s_mov_b32 s4, exec_lo
	v_mbcnt_lo_u32_b32 v0, s5, 0
                                        ; implicit-def: $vgpr1
	s_delay_alu instid0(VALU_DEP_1)
	v_cmpx_eq_u32_e32 0, v0
	s_cbranch_execz .LBB7_454
; %bb.453:
	s_bcnt1_i32_b32 s5, s5
	s_delay_alu instid0(SALU_CYCLE_1)
	v_dual_mov_b32 v1, 0 :: v_dual_mov_b32 v8, s5
	ds_add_rtn_u32 v1, v1, v8 offset:384
.LBB7_454:
	s_or_b32 exec_lo, exec_lo, s4
	s_waitcnt lgkmcnt(0)
	v_readfirstlane_b32 s4, v1
	s_or_b32 s3, s3, exec_lo
	s_delay_alu instid0(VALU_DEP_1) | instskip(SKIP_1) | instid1(SALU_CYCLE_1)
	v_add_nc_u32_e32 v0, s4, v0
	s_or_b32 exec_lo, exec_lo, s2
	s_and_b32 exec_lo, exec_lo, s3
	s_cbranch_execnz .LBB7_433
	s_branch .LBB7_434
.Lfunc_end7:
	.size	_ZN5aiter2ob11last_filterIfiLi11ELb1ELb0EEEvPKT_PKT0_PS2_PS5_S5_S5_PNS0_7CounterIS2_S5_EEbib, .Lfunc_end7-_ZN5aiter2ob11last_filterIfiLi11ELb1ELb0EEEvPKT_PKT0_PS2_PS5_S5_S5_PNS0_7CounterIS2_S5_EEbib
                                        ; -- End function
	.section	.AMDGPU.csdata,"",@progbits
; Function info:
; codeLenInByte = 13472
; NumSgprs: 34
; NumVgprs: 72
; ScratchSize: 0
; MemoryBound: 0
	.section	.text._ZN5aiter2ob27radix_topk_one_block_kernelIfiLi11ELi1024ELb1ELb0ELNS0_5PhaseE0EEEvPKT_PKT0_lS8_S8_S6_PS3_PS6_bPci,"axG",@progbits,_ZN5aiter2ob27radix_topk_one_block_kernelIfiLi11ELi1024ELb1ELb0ELNS0_5PhaseE0EEEvPKT_PKT0_lS8_S8_S6_PS3_PS6_bPci,comdat
	.protected	_ZN5aiter2ob27radix_topk_one_block_kernelIfiLi11ELi1024ELb1ELb0ELNS0_5PhaseE0EEEvPKT_PKT0_lS8_S8_S6_PS3_PS6_bPci ; -- Begin function _ZN5aiter2ob27radix_topk_one_block_kernelIfiLi11ELi1024ELb1ELb0ELNS0_5PhaseE0EEEvPKT_PKT0_lS8_S8_S6_PS3_PS6_bPci
	.globl	_ZN5aiter2ob27radix_topk_one_block_kernelIfiLi11ELi1024ELb1ELb0ELNS0_5PhaseE0EEEvPKT_PKT0_lS8_S8_S6_PS3_PS6_bPci
	.p2align	8
	.type	_ZN5aiter2ob27radix_topk_one_block_kernelIfiLi11ELi1024ELb1ELb0ELNS0_5PhaseE0EEEvPKT_PKT0_lS8_S8_S6_PS3_PS6_bPci,@function
_ZN5aiter2ob27radix_topk_one_block_kernelIfiLi11ELi1024ELb1ELb0ELNS0_5PhaseE0EEEvPKT_PKT0_lS8_S8_S6_PS3_PS6_bPci: ; @_ZN5aiter2ob27radix_topk_one_block_kernelIfiLi11ELi1024ELb1ELb0ELNS0_5PhaseE0EEEvPKT_PKT0_lS8_S8_S6_PS3_PS6_bPci
; %bb.0:
	s_mov_b32 s18, s15
	s_clause 0x1
	s_load_b256 s[8:15], s[0:1], 0x0
	s_load_b64 s[2:3], s[0:1], 0x20
	v_mov_b32_e32 v40, v0
	s_mov_b32 s19, 0
	s_mov_b32 s32, 0
	s_waitcnt lgkmcnt(0)
	s_cmp_eq_u64 s[14:15], 0
	s_cselect_b32 s4, -1, 0
	s_cmp_eq_u64 s[2:3], 0
	s_cselect_b32 s5, -1, 0
	s_delay_alu instid0(SALU_CYCLE_1) | instskip(NEXT) | instid1(SALU_CYCLE_1)
	s_or_b32 s4, s4, s5
	s_and_b32 vcc_lo, exec_lo, s4
	s_mov_b32 s4, s12
	s_cbranch_vccnz .LBB8_2
; %bb.1:
	s_lshl_b64 s[4:5], s[18:19], 2
	s_delay_alu instid0(SALU_CYCLE_1)
	s_add_u32 s2, s2, s4
	s_addc_u32 s3, s3, s5
	s_add_u32 s4, s14, s4
	s_addc_u32 s5, s15, s5
	s_load_b32 s19, s[4:5], 0x0
	s_load_b32 s4, s[2:3], 0x0
.LBB8_2:
	s_load_b32 s26, s[0:1], 0x28
	v_cmp_ne_u32_e64 s3, 0, v40
	v_cmp_eq_u32_e64 s2, 0, v40
	s_waitcnt lgkmcnt(0)
	s_sub_i32 s27, s4, s19
	s_delay_alu instid0(VALU_DEP_1)
	s_and_saveexec_b32 s4, s2
	s_cbranch_execz .LBB8_4
; %bb.3:
	v_dual_mov_b32 v1, s27 :: v_dual_mov_b32 v0, s26
	v_dual_mov_b32 v3, 0 :: v_dual_mov_b32 v2, s27
	ds_store_b128 v3, v[0:3]
	ds_store_2addr_b32 v3, v3, v3 offset0:96 offset1:128
.LBB8_4:
	s_or_b32 exec_lo, exec_lo, s4
	s_load_b128 s[20:23], s[0:1], 0x30
	s_mul_i32 s4, s18, s13
	s_mul_hi_u32 s5, s18, s12
	s_ashr_i32 s7, s19, 31
	s_add_i32 s5, s5, s4
	s_mul_i32 s4, s18, s12
	s_mul_i32 s12, s26, s18
	s_add_u32 s6, s4, s19
	s_addc_u32 s7, s5, s7
	s_ashr_i32 s4, s26, 31
	s_mul_hi_u32 s5, s26, s18
	s_mul_i32 s4, s4, s18
	s_waitcnt lgkmcnt(0)
	s_add_i32 s13, s5, s4
	s_cmp_gt_i32 s27, s26
	s_mov_b32 s4, -1
	s_barrier
	buffer_gl0_inv
	s_cbranch_scc1 .LBB8_11
; %bb.5:
	s_mov_b32 s5, exec_lo
	v_cmpx_gt_i32_e64 s26, v40
	s_cbranch_execz .LBB8_10
; %bb.6:
	v_lshlrev_b32_e32 v2, 2, v40
	s_lshl_b64 s[14:15], s[12:13], 2
	v_mov_b32_e32 v6, v40
	s_delay_alu instid0(VALU_DEP_2) | instskip(NEXT) | instid1(VALU_DEP_1)
	v_add_co_u32 v4, s4, s14, v2
	v_add_co_ci_u32_e64 v5, null, s15, 0, s4
	s_lshl_b64 s[14:15], s[6:7], 2
	s_delay_alu instid0(VALU_DEP_2) | instskip(SKIP_1) | instid1(VALU_DEP_2)
	v_add_co_u32 v0, vcc_lo, s22, v4
	s_add_u32 s4, s8, s14
	v_add_co_ci_u32_e32 v1, vcc_lo, s23, v5, vcc_lo
	s_addc_u32 s14, s9, s15
	v_add_co_u32 v2, s4, s4, v2
	v_add_co_u32 v4, vcc_lo, s20, v4
	v_add_co_ci_u32_e64 v3, null, s14, 0, s4
	v_add_co_ci_u32_e32 v5, vcc_lo, s21, v5, vcc_lo
	s_mov_b32 s14, 0
	s_set_inst_prefetch_distance 0x1
	s_branch .LBB8_8
	.p2align	6
.LBB8_7:                                ;   in Loop: Header=BB8_8 Depth=1
	s_or_b32 exec_lo, exec_lo, s4
	v_add_co_u32 v0, vcc_lo, 0x1000, v0
	v_add_nc_u32_e32 v6, 0x400, v6
	v_add_co_ci_u32_e32 v1, vcc_lo, 0, v1, vcc_lo
	v_add_co_u32 v2, vcc_lo, 0x1000, v2
	v_add_co_ci_u32_e32 v3, vcc_lo, 0, v3, vcc_lo
	s_waitcnt vmcnt(0)
	global_store_b32 v[4:5], v7, off
	v_cmp_le_i32_e32 vcc_lo, s26, v6
	v_add_co_u32 v4, s4, 0x1000, v4
	s_delay_alu instid0(VALU_DEP_1) | instskip(SKIP_1) | instid1(SALU_CYCLE_1)
	v_add_co_ci_u32_e64 v5, s4, 0, v5, s4
	s_or_b32 s14, vcc_lo, s14
	s_and_not1_b32 exec_lo, exec_lo, s14
	s_cbranch_execz .LBB8_10
.LBB8_8:                                ; =>This Inner Loop Header: Depth=1
	v_add_nc_u32_e32 v7, s19, v6
	v_cmp_gt_i32_e32 vcc_lo, s27, v6
	s_delay_alu instid0(VALU_DEP_2)
	v_dual_cndmask_b32 v8, -1, v7 :: v_dual_mov_b32 v7, 0
	global_store_b32 v[0:1], v8, off
	s_and_saveexec_b32 s4, vcc_lo
	s_cbranch_execz .LBB8_7
; %bb.9:                                ;   in Loop: Header=BB8_8 Depth=1
	global_load_b32 v7, v[2:3], off
	s_branch .LBB8_7
.LBB8_10:
	s_set_inst_prefetch_distance 0x2
	s_or_b32 exec_lo, exec_lo, s5
	s_mov_b32 s4, 0
.LBB8_11:
	s_delay_alu instid0(SALU_CYCLE_1)
	s_and_not1_b32 vcc_lo, exec_lo, s4
	s_cbranch_vccnz .LBB8_184
; %bb.12:
	s_load_b32 s4, s[0:1], 0x64
	v_dual_mov_b32 v1, v40 :: v_dual_lshlrev_b32 v4, 2, v40
	s_delay_alu instid0(VALU_DEP_1) | instskip(NEXT) | instid1(VALU_DEP_1)
	v_dual_mov_b32 v0, 0 :: v_dual_add_nc_u32 v27, 0x2380, v4
	v_mov_b32_e32 v2, v27
	s_waitcnt lgkmcnt(0)
	s_and_b32 s24, s4, 0xffff
	s_mov_b32 s4, 0
	s_lshl_b32 s25, s24, 2
.LBB8_13:                               ; =>This Inner Loop Header: Depth=1
	v_add_nc_u32_e32 v1, s24, v1
	ds_store_b32 v2, v0
	v_add_nc_u32_e32 v2, s25, v2
	v_cmp_lt_u32_e32 vcc_lo, 0x7ff, v1
	s_or_b32 s4, vcc_lo, s4
	s_delay_alu instid0(SALU_CYCLE_1)
	s_and_not1_b32 exec_lo, exec_lo, s4
	s_cbranch_execnz .LBB8_13
; %bb.14:
	s_or_b32 exec_lo, exec_lo, s4
	s_and_saveexec_b32 s4, s2
	s_cbranch_execz .LBB8_16
; %bb.15:
	v_mov_b32_e32 v0, 0
	ds_store_b32 v0, v0 offset:128
.LBB8_16:
	s_or_b32 exec_lo, exec_lo, s4
	s_lshl_b64 s[14:15], s[6:7], 2
	s_mov_b32 s5, 0
	s_add_u32 s29, s8, s14
	s_addc_u32 s28, s9, s15
	s_and_b32 s4, s29, 15
	s_mul_i32 s31, s24, 3
	s_sub_i32 s6, 16, s4
	v_dual_mov_b32 v41, 0 :: v_dual_mov_b32 v0, v40
	s_lshr_b32 s6, s6, 2
	s_cmp_lg_u64 s[4:5], 0
	s_waitcnt lgkmcnt(0)
	s_waitcnt_vscnt null, 0x0
	s_cselect_b32 s4, s6, 0
	s_barrier
	s_min_i32 s6, s4, s27
	buffer_gl0_inv
	s_ashr_i32 s7, s6, 31
	s_delay_alu instid0(SALU_CYCLE_1) | instskip(NEXT) | instid1(SALU_CYCLE_1)
	s_lshl_b64 s[16:17], s[6:7], 2
	s_add_u32 s9, s29, s16
	s_addc_u32 s30, s28, s17
	s_sub_i32 s4, s27, s6
	s_delay_alu instid0(SALU_CYCLE_1) | instskip(NEXT) | instid1(SALU_CYCLE_1)
	s_ashr_i32 s7, s4, 31
	s_lshr_b32 s7, s7, 30
	s_delay_alu instid0(SALU_CYCLE_1) | instskip(SKIP_1) | instid1(VALU_DEP_1)
	s_add_i32 s4, s4, s7
	v_add_co_u32 v16, s7, s31, v40
	v_add_co_ci_u32_e64 v17, null, 0, 0, s7
	s_ashr_i32 s16, s4, 2
	s_lshl_b32 s4, s24, 4
	s_ashr_i32 s17, s16, 31
	s_add_u32 s33, s9, s4
	v_cmp_gt_u64_e64 s7, s[16:17], v[16:17]
	s_addc_u32 s34, s30, 0
	s_add_u32 s35, s33, s4
	s_addc_u32 s36, s34, 0
	s_delay_alu instid0(VALU_DEP_1)
	s_and_saveexec_b32 s4, s7
	s_cbranch_execz .LBB8_20
; %bb.17:
	v_dual_mov_b32 v5, 1 :: v_dual_mov_b32 v2, v16
	v_dual_mov_b32 v3, v17 :: v_dual_mov_b32 v0, v40
	v_mov_b32_e32 v1, v41
.LBB8_18:                               ; =>This Inner Loop Header: Depth=1
	s_delay_alu instid0(VALU_DEP_1) | instskip(NEXT) | instid1(VALU_DEP_3)
	v_lshlrev_b64 v[10:11], 4, v[0:1]
	v_lshlrev_b64 v[1:2], 4, v[2:3]
	v_add_nc_u32_e32 v0, s25, v0
	s_delay_alu instid0(VALU_DEP_3) | instskip(NEXT) | instid1(VALU_DEP_4)
	v_add_co_u32 v6, vcc_lo, s9, v10
	v_add_co_ci_u32_e32 v7, vcc_lo, s30, v11, vcc_lo
	v_add_co_u32 v12, vcc_lo, s33, v10
	v_add_co_ci_u32_e32 v13, vcc_lo, s34, v11, vcc_lo
	global_load_b128 v[6:9], v[6:7], off
	v_add_co_u32 v14, vcc_lo, s35, v10
	v_add_co_ci_u32_e32 v15, vcc_lo, s36, v11, vcc_lo
	global_load_b128 v[10:13], v[12:13], off
	v_add_co_u32 v1, vcc_lo, s9, v1
	v_add_co_ci_u32_e32 v2, vcc_lo, s30, v2, vcc_lo
	s_waitcnt vmcnt(1)
	v_cmp_gt_i32_e32 vcc_lo, 0, v6
	v_cndmask_b32_e64 v3, 0x7fe00000, 0, vcc_lo
	v_cmp_gt_i32_e32 vcc_lo, 0, v7
	s_delay_alu instid0(VALU_DEP_2) | instskip(SKIP_2) | instid1(VALU_DEP_3)
	v_xor_b32_e32 v3, v3, v6
	v_cndmask_b32_e64 v18, 0x7fe00000, 0, vcc_lo
	v_cmp_gt_i32_e32 vcc_lo, 0, v8
	v_lshrrev_b32_e32 v3, 19, v3
	s_delay_alu instid0(VALU_DEP_3) | instskip(SKIP_2) | instid1(VALU_DEP_4)
	v_xor_b32_e32 v6, v18, v7
	v_cndmask_b32_e64 v19, 0x7fe00000, 0, vcc_lo
	v_cmp_gt_i32_e32 vcc_lo, 0, v9
	v_and_b32_e32 v3, 0x1ffc, v3
	s_delay_alu instid0(VALU_DEP_4) | instskip(NEXT) | instid1(VALU_DEP_4)
	v_lshrrev_b32_e32 v6, 19, v6
	v_xor_b32_e32 v7, v19, v8
	v_cndmask_b32_e64 v20, 0x7fe00000, 0, vcc_lo
	s_waitcnt vmcnt(0)
	v_cmp_gt_i32_e32 vcc_lo, 0, v10
	v_and_b32_e32 v6, 0x1ffc, v6
	v_lshrrev_b32_e32 v7, 19, v7
	v_xor_b32_e32 v8, v20, v9
	s_delay_alu instid0(VALU_DEP_2) | instskip(NEXT) | instid1(VALU_DEP_2)
	v_and_b32_e32 v7, 0x1ffc, v7
	v_lshrrev_b32_e32 v8, 19, v8
	s_delay_alu instid0(VALU_DEP_1)
	v_and_b32_e32 v8, 0x1ffc, v8
	ds_add_u32 v3, v5 offset:9088
	ds_add_u32 v6, v5 offset:9088
	;; [unrolled: 1-line block ×4, first 2 shown]
	s_clause 0x1
	global_load_b128 v[6:9], v[14:15], off
	global_load_b128 v[18:21], v[1:2], off
	v_cndmask_b32_e64 v1, 0x7fe00000, 0, vcc_lo
	v_cmp_gt_i32_e32 vcc_lo, 0, v11
	s_delay_alu instid0(VALU_DEP_2) | instskip(SKIP_2) | instid1(VALU_DEP_3)
	v_xor_b32_e32 v1, v1, v10
	v_cndmask_b32_e64 v2, 0x7fe00000, 0, vcc_lo
	v_cmp_gt_i32_e32 vcc_lo, 0, v12
	v_lshrrev_b32_e32 v1, 19, v1
	s_delay_alu instid0(VALU_DEP_3) | instskip(SKIP_2) | instid1(VALU_DEP_4)
	v_xor_b32_e32 v2, v2, v11
	v_cndmask_b32_e64 v3, 0x7fe00000, 0, vcc_lo
	v_cmp_gt_i32_e32 vcc_lo, 0, v13
	v_and_b32_e32 v1, 0x1ffc, v1
	s_delay_alu instid0(VALU_DEP_4) | instskip(NEXT) | instid1(VALU_DEP_4)
	v_lshrrev_b32_e32 v2, 19, v2
	v_xor_b32_e32 v3, v3, v12
	v_cndmask_b32_e64 v14, 0x7fe00000, 0, vcc_lo
	s_delay_alu instid0(VALU_DEP_3) | instskip(NEXT) | instid1(VALU_DEP_3)
	v_and_b32_e32 v2, 0x1ffc, v2
	v_lshrrev_b32_e32 v3, 19, v3
	s_delay_alu instid0(VALU_DEP_3) | instskip(NEXT) | instid1(VALU_DEP_2)
	v_xor_b32_e32 v10, v14, v13
	v_and_b32_e32 v3, 0x1ffc, v3
	s_delay_alu instid0(VALU_DEP_2) | instskip(NEXT) | instid1(VALU_DEP_1)
	v_lshrrev_b32_e32 v10, 19, v10
	v_and_b32_e32 v10, 0x1ffc, v10
	ds_add_u32 v1, v5 offset:9088
	ds_add_u32 v2, v5 offset:9088
	;; [unrolled: 1-line block ×4, first 2 shown]
	s_waitcnt vmcnt(1)
	v_cmp_gt_i32_e32 vcc_lo, 0, v6
	v_cndmask_b32_e64 v1, 0x7fe00000, 0, vcc_lo
	v_cmp_gt_i32_e32 vcc_lo, 0, v7
	s_delay_alu instid0(VALU_DEP_2) | instskip(SKIP_2) | instid1(VALU_DEP_3)
	v_xor_b32_e32 v1, v1, v6
	v_cndmask_b32_e64 v2, 0x7fe00000, 0, vcc_lo
	v_cmp_gt_i32_e32 vcc_lo, 0, v8
	v_lshrrev_b32_e32 v1, 19, v1
	s_delay_alu instid0(VALU_DEP_3) | instskip(SKIP_2) | instid1(VALU_DEP_4)
	v_xor_b32_e32 v2, v2, v7
	v_cndmask_b32_e64 v3, 0x7fe00000, 0, vcc_lo
	v_cmp_gt_i32_e32 vcc_lo, 0, v9
	v_and_b32_e32 v1, 0x1ffc, v1
	s_delay_alu instid0(VALU_DEP_4) | instskip(NEXT) | instid1(VALU_DEP_4)
	v_lshrrev_b32_e32 v2, 19, v2
	v_xor_b32_e32 v3, v3, v8
	v_cndmask_b32_e64 v10, 0x7fe00000, 0, vcc_lo
	s_waitcnt vmcnt(0)
	v_cmp_gt_i32_e32 vcc_lo, 0, v18
	v_and_b32_e32 v2, 0x1ffc, v2
	v_lshrrev_b32_e32 v3, 19, v3
	v_xor_b32_e32 v6, v10, v9
	v_cndmask_b32_e64 v11, 0x7fe00000, 0, vcc_lo
	v_cmp_gt_i32_e32 vcc_lo, 0, v19
	s_delay_alu instid0(VALU_DEP_4) | instskip(NEXT) | instid1(VALU_DEP_4)
	v_and_b32_e32 v3, 0x1ffc, v3
	v_lshrrev_b32_e32 v6, 19, v6
	s_delay_alu instid0(VALU_DEP_4) | instskip(SKIP_2) | instid1(VALU_DEP_4)
	v_xor_b32_e32 v7, v11, v18
	v_cndmask_b32_e64 v12, 0x7fe00000, 0, vcc_lo
	v_cmp_gt_i32_e32 vcc_lo, 0, v20
	v_and_b32_e32 v6, 0x1ffc, v6
	s_delay_alu instid0(VALU_DEP_4) | instskip(NEXT) | instid1(VALU_DEP_4)
	v_lshrrev_b32_e32 v7, 19, v7
	v_xor_b32_e32 v8, v12, v19
	v_cndmask_b32_e64 v13, 0x7fe00000, 0, vcc_lo
	v_cmp_gt_i32_e32 vcc_lo, 0, v21
	s_delay_alu instid0(VALU_DEP_4) | instskip(NEXT) | instid1(VALU_DEP_4)
	v_and_b32_e32 v7, 0x1ffc, v7
	v_lshrrev_b32_e32 v8, 19, v8
	s_delay_alu instid0(VALU_DEP_4) | instskip(SKIP_1) | instid1(VALU_DEP_3)
	v_xor_b32_e32 v9, v13, v20
	v_cndmask_b32_e64 v14, 0x7fe00000, 0, vcc_lo
	v_and_b32_e32 v8, 0x1ffc, v8
	s_delay_alu instid0(VALU_DEP_3) | instskip(NEXT) | instid1(VALU_DEP_3)
	v_lshrrev_b32_e32 v9, 19, v9
	v_xor_b32_e32 v10, v14, v21
	s_delay_alu instid0(VALU_DEP_2) | instskip(NEXT) | instid1(VALU_DEP_2)
	v_and_b32_e32 v9, 0x1ffc, v9
	v_lshrrev_b32_e32 v10, 19, v10
	s_delay_alu instid0(VALU_DEP_1)
	v_and_b32_e32 v10, 0x1ffc, v10
	ds_add_u32 v1, v5 offset:9088
	ds_add_u32 v2, v5 offset:9088
	;; [unrolled: 1-line block ×8, first 2 shown]
	v_ashrrev_i32_e32 v1, 31, v0
	v_add_co_u32 v2, vcc_lo, s31, v0
	s_delay_alu instid0(VALU_DEP_2) | instskip(NEXT) | instid1(VALU_DEP_1)
	v_add_co_ci_u32_e32 v3, vcc_lo, 0, v1, vcc_lo
	v_cmp_le_u64_e32 vcc_lo, s[16:17], v[2:3]
	s_or_b32 s5, vcc_lo, s5
	s_delay_alu instid0(SALU_CYCLE_1)
	s_and_not1_b32 exec_lo, exec_lo, s5
	s_cbranch_execnz .LBB8_18
; %bb.19:
	s_or_b32 exec_lo, exec_lo, s5
.LBB8_20:
	s_delay_alu instid0(SALU_CYCLE_1) | instskip(NEXT) | instid1(SALU_CYCLE_1)
	s_or_b32 exec_lo, exec_lo, s4
	s_mov_b32 s4, exec_lo
	v_cmpx_gt_i32_e64 s16, v0
	s_cbranch_execz .LBB8_23
; %bb.21:
	v_mov_b32_e32 v2, 1
	s_mov_b32 s5, 0
.LBB8_22:                               ; =>This Inner Loop Header: Depth=1
	v_ashrrev_i32_e32 v1, 31, v0
	s_delay_alu instid0(VALU_DEP_1) | instskip(SKIP_1) | instid1(VALU_DEP_2)
	v_lshlrev_b64 v[5:6], 4, v[0:1]
	v_add_nc_u32_e32 v0, s24, v0
	v_add_co_u32 v5, vcc_lo, s9, v5
	s_delay_alu instid0(VALU_DEP_3)
	v_add_co_ci_u32_e32 v6, vcc_lo, s30, v6, vcc_lo
	global_load_b128 v[5:8], v[5:6], off
	s_waitcnt vmcnt(0)
	v_cmp_gt_i32_e32 vcc_lo, 0, v5
	v_cndmask_b32_e64 v1, 0x7fe00000, 0, vcc_lo
	v_cmp_gt_i32_e32 vcc_lo, 0, v6
	s_delay_alu instid0(VALU_DEP_2) | instskip(SKIP_2) | instid1(VALU_DEP_3)
	v_xor_b32_e32 v1, v1, v5
	v_cndmask_b32_e64 v3, 0x7fe00000, 0, vcc_lo
	v_cmp_gt_i32_e32 vcc_lo, 0, v7
	v_lshrrev_b32_e32 v1, 19, v1
	s_delay_alu instid0(VALU_DEP_3) | instskip(SKIP_2) | instid1(VALU_DEP_4)
	v_xor_b32_e32 v3, v3, v6
	v_cndmask_b32_e64 v9, 0x7fe00000, 0, vcc_lo
	v_cmp_gt_i32_e32 vcc_lo, 0, v8
	v_and_b32_e32 v1, 0x1ffc, v1
	s_delay_alu instid0(VALU_DEP_4) | instskip(NEXT) | instid1(VALU_DEP_4)
	v_lshrrev_b32_e32 v3, 19, v3
	v_xor_b32_e32 v5, v9, v7
	v_cndmask_b32_e64 v10, 0x7fe00000, 0, vcc_lo
	v_cmp_le_i32_e32 vcc_lo, s16, v0
	s_delay_alu instid0(VALU_DEP_4) | instskip(NEXT) | instid1(VALU_DEP_4)
	v_and_b32_e32 v3, 0x1ffc, v3
	v_lshrrev_b32_e32 v5, 19, v5
	s_delay_alu instid0(VALU_DEP_4) | instskip(SKIP_1) | instid1(VALU_DEP_2)
	v_xor_b32_e32 v6, v10, v8
	s_or_b32 s5, vcc_lo, s5
	v_and_b32_e32 v5, 0x1ffc, v5
	s_delay_alu instid0(VALU_DEP_2) | instskip(NEXT) | instid1(VALU_DEP_1)
	v_lshrrev_b32_e32 v6, 19, v6
	v_and_b32_e32 v6, 0x1ffc, v6
	ds_add_u32 v1, v2 offset:9088
	ds_add_u32 v3, v2 offset:9088
	;; [unrolled: 1-line block ×4, first 2 shown]
	s_and_not1_b32 exec_lo, exec_lo, s5
	s_cbranch_execnz .LBB8_22
.LBB8_23:
	s_or_b32 exec_lo, exec_lo, s4
	v_lshlrev_b32_e32 v42, 2, v40
	v_cmp_gt_u32_e64 s4, s6, v40
	s_delay_alu instid0(VALU_DEP_2) | instskip(NEXT) | instid1(VALU_DEP_1)
	v_add_co_u32 v18, s5, s29, v42
	v_add_co_ci_u32_e64 v19, null, s28, 0, s5
	s_delay_alu instid0(VALU_DEP_3)
	s_and_saveexec_b32 s5, s4
	s_cbranch_execz .LBB8_25
; %bb.24:
	global_load_b32 v0, v[18:19], off
	s_waitcnt vmcnt(0)
	v_cmp_gt_i32_e32 vcc_lo, 0, v0
	v_cndmask_b32_e64 v1, 0x7fe00000, 0, vcc_lo
	s_delay_alu instid0(VALU_DEP_1) | instskip(SKIP_1) | instid1(VALU_DEP_2)
	v_xor_b32_e32 v0, v1, v0
	v_mov_b32_e32 v1, 1
	v_lshrrev_b32_e32 v0, 19, v0
	s_delay_alu instid0(VALU_DEP_1)
	v_and_b32_e32 v0, 0x1ffc, v0
	ds_add_u32 v0, v1 offset:9088
.LBB8_25:
	s_or_b32 exec_lo, exec_lo, s5
	s_lshl_b32 s5, s16, 2
	s_delay_alu instid0(SALU_CYCLE_1) | instskip(NEXT) | instid1(VALU_DEP_1)
	v_add3_u32 v0, s5, s6, v40
	v_ashrrev_i32_e32 v1, 31, v0
	v_cmp_gt_i32_e64 s5, s27, v0
	s_delay_alu instid0(VALU_DEP_2) | instskip(NEXT) | instid1(VALU_DEP_1)
	v_lshlrev_b64 v[1:2], 2, v[0:1]
	v_add_co_u32 v20, vcc_lo, s29, v1
	s_delay_alu instid0(VALU_DEP_2) | instskip(NEXT) | instid1(VALU_DEP_4)
	v_add_co_ci_u32_e32 v21, vcc_lo, s28, v2, vcc_lo
	s_and_saveexec_b32 s6, s5
	s_cbranch_execz .LBB8_27
; %bb.26:
	global_load_b32 v0, v[20:21], off
	s_waitcnt vmcnt(0)
	v_cmp_gt_i32_e32 vcc_lo, 0, v0
	v_cndmask_b32_e64 v1, 0x7fe00000, 0, vcc_lo
	s_delay_alu instid0(VALU_DEP_1) | instskip(SKIP_1) | instid1(VALU_DEP_2)
	v_xor_b32_e32 v0, v1, v0
	v_mov_b32_e32 v1, 1
	v_lshrrev_b32_e32 v0, 19, v0
	s_delay_alu instid0(VALU_DEP_1)
	v_and_b32_e32 v0, 0x1ffc, v0
	ds_add_u32 v0, v1 offset:9088
.LBB8_27:
	s_or_b32 exec_lo, exec_lo, s6
	s_mov_b64 s[38:39], src_shared_base
	s_delay_alu instid0(SALU_CYCLE_1)
	v_dual_mov_b32 v15, s39 :: v_dual_add_nc_u32 v14, 0x3380, v4
	v_dual_mov_b32 v13, s39 :: v_dual_add_nc_u32 v12, 0x2380, v4
	s_waitcnt lgkmcnt(0)
	s_barrier
	buffer_gl0_inv
	flat_load_b32 v0, v[12:13] glc dlc
	s_waitcnt vmcnt(0)
	flat_load_b32 v1, v[14:15] glc dlc
	s_waitcnt vmcnt(0)
	v_or_b32_e32 v2, 0x400, v40
	v_lshrrev_b32_e32 v3, 3, v40
	v_lshlrev_b32_e32 v6, 1, v40
	v_lshrrev_b32_e32 v7, 4, v40
	v_cmp_gt_u32_e64 s6, 32, v40
	v_lshrrev_b32_e32 v2, 3, v2
	v_and_b32_e32 v3, 0x7c, v3
	s_delay_alu instid0(VALU_DEP_2) | instskip(NEXT) | instid1(VALU_DEP_2)
	v_and_b32_e32 v5, 0xfc, v2
	v_add_nc_u32_e32 v2, v4, v3
	s_delay_alu instid0(VALU_DEP_2)
	v_add_nc_u32_e32 v3, v5, v4
	v_add_lshl_u32 v5, v7, v6, 2
	v_mul_u32_u24_e32 v7, 33, v40
	s_waitcnt lgkmcnt(1)
	ds_store_b32 v2, v0 offset:640
	s_waitcnt lgkmcnt(1)
	ds_store_b32 v3, v1 offset:4736
	s_waitcnt lgkmcnt(0)
	s_barrier
	buffer_gl0_inv
	ds_load_2addr_b32 v[0:1], v5 offset0:160 offset1:161
	v_lshl_add_u32 v25, v7, 2, 0x280
	s_waitcnt lgkmcnt(0)
	s_barrier
	buffer_gl0_inv
	v_add_nc_u32_e32 v6, v1, v0
	ds_store_b32 v2, v6 offset:640
	s_waitcnt lgkmcnt(0)
	s_barrier
	buffer_gl0_inv
	s_and_saveexec_b32 s8, s6
	s_cbranch_execz .LBB8_29
; %bb.28:
	ds_load_2addr_b32 v[7:8], v25 offset1:1
	ds_load_2addr_b32 v[9:10], v25 offset0:2 offset1:3
	ds_load_2addr_b32 v[22:23], v25 offset0:4 offset1:5
	;; [unrolled: 1-line block ×15, first 2 shown]
	v_mbcnt_lo_u32_b32 v24, -1, 0
	s_delay_alu instid0(VALU_DEP_1) | instskip(SKIP_3) | instid1(VALU_DEP_1)
	v_bfe_i32 v58, v24, 4, 1
	s_waitcnt lgkmcnt(15)
	v_add_nc_u32_e32 v11, v8, v7
	s_waitcnt lgkmcnt(14)
	v_add3_u32 v11, v11, v9, v10
	s_waitcnt lgkmcnt(13)
	s_delay_alu instid0(VALU_DEP_1) | instskip(SKIP_1) | instid1(VALU_DEP_1)
	v_add3_u32 v11, v11, v22, v23
	s_waitcnt lgkmcnt(12)
	v_add3_u32 v11, v11, v28, v29
	s_waitcnt lgkmcnt(11)
	s_delay_alu instid0(VALU_DEP_1) | instskip(SKIP_1) | instid1(VALU_DEP_1)
	v_add3_u32 v11, v11, v30, v31
	;; [unrolled: 5-line block ×7, first 2 shown]
	s_waitcnt lgkmcnt(0)
	v_add3_u32 v11, v11, v55, v56
	s_delay_alu instid0(VALU_DEP_1) | instskip(SKIP_1) | instid1(VALU_DEP_1)
	v_mov_b32_dpp v57, v11 row_shr:1 row_mask:0xf bank_mask:0xf
	v_and_b32_e32 v26, 15, v24
	v_cmp_ne_u32_e32 vcc_lo, 0, v26
	s_delay_alu instid0(VALU_DEP_3) | instskip(SKIP_1) | instid1(VALU_DEP_2)
	v_cndmask_b32_e32 v57, 0, v57, vcc_lo
	v_cmp_lt_u32_e32 vcc_lo, 1, v26
	v_add_nc_u32_e32 v11, v57, v11
	s_delay_alu instid0(VALU_DEP_1) | instskip(NEXT) | instid1(VALU_DEP_1)
	v_mov_b32_dpp v57, v11 row_shr:2 row_mask:0xf bank_mask:0xf
	v_cndmask_b32_e32 v57, 0, v57, vcc_lo
	v_cmp_lt_u32_e32 vcc_lo, 3, v26
	s_delay_alu instid0(VALU_DEP_2) | instskip(NEXT) | instid1(VALU_DEP_1)
	v_add_nc_u32_e32 v11, v11, v57
	v_mov_b32_dpp v57, v11 row_shr:4 row_mask:0xf bank_mask:0xf
	s_delay_alu instid0(VALU_DEP_1) | instskip(SKIP_1) | instid1(VALU_DEP_2)
	v_cndmask_b32_e32 v57, 0, v57, vcc_lo
	v_cmp_lt_u32_e32 vcc_lo, 7, v26
	v_add_nc_u32_e32 v11, v11, v57
	s_delay_alu instid0(VALU_DEP_1) | instskip(NEXT) | instid1(VALU_DEP_1)
	v_mov_b32_dpp v57, v11 row_shr:8 row_mask:0xf bank_mask:0xf
	v_dual_cndmask_b32 v26, 0, v57 :: v_dual_add_nc_u32 v57, -1, v24
	s_delay_alu instid0(VALU_DEP_1) | instskip(NEXT) | instid1(VALU_DEP_2)
	v_add_nc_u32_e32 v11, v11, v26
	v_cmp_gt_i32_e32 vcc_lo, 0, v57
	ds_swizzle_b32 v26, v11 offset:swizzle(BROADCAST,32,15)
	v_cndmask_b32_e32 v24, v57, v24, vcc_lo
	s_delay_alu instid0(VALU_DEP_1) | instskip(SKIP_2) | instid1(VALU_DEP_1)
	v_lshlrev_b32_e32 v24, 2, v24
	s_waitcnt lgkmcnt(0)
	v_and_b32_e32 v26, v58, v26
	v_add_nc_u32_e32 v11, v11, v26
	ds_bpermute_b32 v11, v24, v11
	s_waitcnt lgkmcnt(0)
	v_add_nc_u32_e32 v7, v11, v7
	s_delay_alu instid0(VALU_DEP_1) | instskip(NEXT) | instid1(VALU_DEP_1)
	v_cndmask_b32_e64 v6, v7, v6, s2
	v_add_nc_u32_e32 v7, v6, v8
	s_delay_alu instid0(VALU_DEP_1) | instskip(NEXT) | instid1(VALU_DEP_1)
	v_add_nc_u32_e32 v8, v7, v9
	v_add_nc_u32_e32 v9, v8, v10
	s_delay_alu instid0(VALU_DEP_1) | instskip(NEXT) | instid1(VALU_DEP_1)
	v_add_nc_u32_e32 v10, v9, v22
	;; [unrolled: 3-line block ×3, first 2 shown]
	v_add_nc_u32_e32 v23, v22, v29
	ds_store_2addr_b32 v25, v6, v7 offset1:1
	ds_store_2addr_b32 v25, v8, v9 offset0:2 offset1:3
	ds_store_2addr_b32 v25, v10, v11 offset0:4 offset1:5
	;; [unrolled: 1-line block ×3, first 2 shown]
	v_add_nc_u32_e32 v24, v23, v30
	s_delay_alu instid0(VALU_DEP_1) | instskip(NEXT) | instid1(VALU_DEP_1)
	v_add_nc_u32_e32 v26, v24, v31
	v_add_nc_u32_e32 v28, v26, v32
	s_delay_alu instid0(VALU_DEP_1) | instskip(NEXT) | instid1(VALU_DEP_1)
	v_add_nc_u32_e32 v29, v28, v33
	v_add_nc_u32_e32 v30, v29, v34
	s_delay_alu instid0(VALU_DEP_1) | instskip(NEXT) | instid1(VALU_DEP_1)
	v_add_nc_u32_e32 v31, v30, v35
	v_add_nc_u32_e32 v32, v31, v36
	s_delay_alu instid0(VALU_DEP_1)
	v_add_nc_u32_e32 v33, v32, v37
	ds_store_2addr_b32 v25, v24, v26 offset0:8 offset1:9
	ds_store_2addr_b32 v25, v28, v29 offset0:10 offset1:11
	;; [unrolled: 1-line block ×4, first 2 shown]
	v_add_nc_u32_e32 v34, v33, v38
	s_delay_alu instid0(VALU_DEP_1) | instskip(NEXT) | instid1(VALU_DEP_1)
	v_add_nc_u32_e32 v35, v34, v39
	v_add_nc_u32_e32 v36, v35, v43
	s_delay_alu instid0(VALU_DEP_1) | instskip(NEXT) | instid1(VALU_DEP_1)
	v_add_nc_u32_e32 v37, v36, v44
	;; [unrolled: 3-line block ×7, first 2 shown]
	v_add_nc_u32_e32 v6, v50, v55
	s_delay_alu instid0(VALU_DEP_1)
	v_add_nc_u32_e32 v7, v6, v56
	ds_store_2addr_b32 v25, v34, v35 offset0:16 offset1:17
	ds_store_2addr_b32 v25, v36, v37 offset0:18 offset1:19
	;; [unrolled: 1-line block ×8, first 2 shown]
.LBB8_29:
	s_or_b32 exec_lo, exec_lo, s8
	v_add_nc_u32_e32 v6, -1, v40
	v_add_nc_u32_e32 v29, 0x280, v3
	v_dual_mov_b32 v3, 0 :: v_dual_add_nc_u32 v28, 0x280, v2
	v_mov_b32_e32 v2, 0
	s_delay_alu instid0(VALU_DEP_4)
	v_lshrrev_b32_e32 v7, 5, v6
	v_add_nc_u32_e32 v30, 0x280, v5
	s_waitcnt lgkmcnt(0)
	s_barrier
	buffer_gl0_inv
	v_add_nc_u32_e32 v6, v7, v6
	s_delay_alu instid0(VALU_DEP_1)
	v_lshl_add_u32 v31, v6, 2, 0x280
	s_and_saveexec_b32 s8, s3
	s_cbranch_execz .LBB8_31
; %bb.30:
	ds_load_b32 v3, v31
.LBB8_31:
	s_or_b32 exec_lo, exec_lo, s8
	v_add_nc_u32_e32 v26, 0x237c, v4
	s_waitcnt lgkmcnt(0)
	v_add_nc_u32_e32 v0, v3, v0
	s_barrier
	buffer_gl0_inv
	v_mov_b32_e32 v3, v26
	v_add_nc_u32_e32 v1, v0, v1
	s_lshl_b32 s38, s24, 21
	s_mov_b32 s37, 0
	v_mov_b32_e32 v4, v40
	ds_store_2addr_b32 v30, v0, v1 offset1:1
	s_waitcnt lgkmcnt(0)
	s_barrier
	buffer_gl0_inv
	ds_load_b32 v0, v28
	ds_load_b32 v1, v29 offset:4096
	s_waitcnt lgkmcnt(1)
	flat_store_b32 v[12:13], v0 dlc
	s_waitcnt_vscnt null, 0x0
	s_waitcnt lgkmcnt(1)
	flat_store_b32 v[14:15], v1 dlc
	s_waitcnt_vscnt null, 0x0
	s_waitcnt lgkmcnt(0)
	s_barrier
	buffer_gl0_inv
	ds_load_b32 v0, v2 offset:12
	v_lshlrev_b32_e32 v1, 21, v40
	s_set_inst_prefetch_distance 0x1
	s_branch .LBB8_33
	.p2align	6
.LBB8_32:                               ;   in Loop: Header=BB8_33 Depth=1
	s_or_b32 exec_lo, exec_lo, s8
	v_add_nc_u32_e32 v4, s24, v4
	v_add_nc_u32_e32 v3, s25, v3
	;; [unrolled: 1-line block ×3, first 2 shown]
	s_delay_alu instid0(VALU_DEP_3) | instskip(SKIP_1) | instid1(SALU_CYCLE_1)
	v_cmp_lt_u32_e32 vcc_lo, 0x7ff, v4
	s_or_b32 s37, vcc_lo, s37
	s_and_not1_b32 exec_lo, exec_lo, s37
	s_cbranch_execz .LBB8_37
.LBB8_33:                               ; =>This Inner Loop Header: Depth=1
	v_mov_b32_e32 v5, 0
	s_mov_b32 s8, exec_lo
	v_cmpx_ne_u32_e32 0, v4
	s_cbranch_execz .LBB8_35
; %bb.34:                               ;   in Loop: Header=BB8_33 Depth=1
	ds_load_b32 v5, v3
.LBB8_35:                               ;   in Loop: Header=BB8_33 Depth=1
	s_or_b32 exec_lo, exec_lo, s8
	ds_load_b32 v6, v3 offset:4
	s_waitcnt lgkmcnt(1)
	v_cmp_gt_i32_e32 vcc_lo, s26, v5
	s_waitcnt lgkmcnt(0)
	v_cmp_le_i32_e64 s8, s26, v6
	s_delay_alu instid0(VALU_DEP_1) | instskip(NEXT) | instid1(SALU_CYCLE_1)
	s_and_b32 s39, vcc_lo, s8
	s_and_saveexec_b32 s8, s39
	s_cbranch_execz .LBB8_32
; %bb.36:                               ;   in Loop: Header=BB8_33 Depth=1
	v_sub_nc_u32_e32 v7, s26, v5
	v_sub_nc_u32_e32 v8, v6, v5
	v_or_b32_e32 v0, v0, v1
	ds_store_b64 v2, v[7:8]
	ds_store_b32 v2, v0 offset:12
	s_branch .LBB8_32
.LBB8_37:
	s_set_inst_prefetch_distance 0x2
	s_or_b32 exec_lo, exec_lo, s37
	s_and_saveexec_b32 s8, s2
	s_cbranch_execz .LBB8_39
; %bb.38:
	v_mov_b32_e32 v0, 0
	ds_load_b32 v1, v0 offset:4
	s_waitcnt lgkmcnt(0)
	ds_store_b32 v0, v1 offset:8
.LBB8_39:
	s_or_b32 exec_lo, exec_lo, s8
	v_mov_b32_e32 v0, 0
	s_waitcnt lgkmcnt(0)
	s_barrier
	buffer_gl0_inv
	s_mov_b32 s37, 0
	ds_load_b64 v[22:23], v0
	s_waitcnt lgkmcnt(0)
	v_cmp_eq_u32_e32 vcc_lo, v23, v22
	s_cbranch_vccnz .LBB8_180
; %bb.40:
	v_dual_mov_b32 v1, v27 :: v_dual_mov_b32 v2, v40
	s_mov_b32 s8, 0
.LBB8_41:                               ; =>This Inner Loop Header: Depth=1
	s_delay_alu instid0(VALU_DEP_1) | instskip(SKIP_4) | instid1(SALU_CYCLE_1)
	v_add_nc_u32_e32 v2, s24, v2
	ds_store_b32 v1, v0
	v_add_nc_u32_e32 v1, s25, v1
	v_cmp_lt_u32_e32 vcc_lo, 0x7ff, v2
	s_or_b32 s8, vcc_lo, s8
	s_and_not1_b32 exec_lo, exec_lo, s8
	s_cbranch_execnz .LBB8_41
; %bb.42:
	s_or_b32 exec_lo, exec_lo, s8
	s_and_saveexec_b32 s8, s2
	s_cbranch_execz .LBB8_44
; %bb.43:
	v_mov_b32_e32 v0, 0
	ds_store_b32 v0, v0 offset:128
.LBB8_44:
	s_or_b32 exec_lo, exec_lo, s8
	v_dual_mov_b32 v0, 0 :: v_dual_mov_b32 v23, v40
	s_waitcnt lgkmcnt(0)
	s_barrier
	buffer_gl0_inv
	ds_load_b32 v32, v0 offset:12
	s_and_saveexec_b32 s8, s7
	s_cbranch_execz .LBB8_80
; %bb.45:
	v_dual_mov_b32 v33, 1 :: v_dual_mov_b32 v8, v16
	v_mov_b32_e32 v9, v17
	v_dual_mov_b32 v23, v40 :: v_dual_mov_b32 v24, v41
	s_mov_b32 s37, 0
	s_branch .LBB8_47
.LBB8_46:                               ;   in Loop: Header=BB8_47 Depth=1
	s_or_b32 exec_lo, exec_lo, s38
	v_add_nc_u32_e32 v23, s25, v23
	s_delay_alu instid0(VALU_DEP_1) | instskip(SKIP_1) | instid1(VALU_DEP_2)
	v_ashrrev_i32_e32 v24, 31, v23
	v_add_co_u32 v8, vcc_lo, s31, v23
	v_add_co_ci_u32_e32 v9, vcc_lo, 0, v24, vcc_lo
	s_delay_alu instid0(VALU_DEP_1) | instskip(SKIP_1) | instid1(SALU_CYCLE_1)
	v_cmp_le_u64_e32 vcc_lo, s[16:17], v[8:9]
	s_or_b32 s37, vcc_lo, s37
	s_and_not1_b32 exec_lo, exec_lo, s37
	s_cbranch_execz .LBB8_79
.LBB8_47:                               ; =>This Inner Loop Header: Depth=1
	s_delay_alu instid0(VALU_DEP_1) | instskip(SKIP_1) | instid1(VALU_DEP_1)
	v_lshlrev_b64 v[10:11], 4, v[23:24]
	s_mov_b32 s38, exec_lo
	v_add_co_u32 v0, vcc_lo, s9, v10
	s_delay_alu instid0(VALU_DEP_2)
	v_add_co_ci_u32_e32 v1, vcc_lo, s30, v11, vcc_lo
	v_add_co_u32 v4, vcc_lo, s33, v10
	v_add_co_ci_u32_e32 v5, vcc_lo, s34, v11, vcc_lo
	s_clause 0x1
	global_load_b128 v[0:3], v[0:1], off
	global_load_b128 v[4:7], v[4:5], off
	s_waitcnt vmcnt(1)
	v_cmp_gt_i32_e32 vcc_lo, 0, v0
	v_cndmask_b32_e64 v24, 0x7fffffff, 0, vcc_lo
	s_delay_alu instid0(VALU_DEP_1) | instskip(NEXT) | instid1(VALU_DEP_1)
	v_xor_b32_e32 v0, v24, v0
	v_and_b32_e32 v24, 0xffe00000, v0
	s_waitcnt lgkmcnt(0)
	s_delay_alu instid0(VALU_DEP_1)
	v_cmpx_eq_u32_e64 v24, v32
	s_cbranch_execz .LBB8_49
; %bb.48:                               ;   in Loop: Header=BB8_47 Depth=1
	v_lshrrev_b32_e32 v0, 8, v0
	s_delay_alu instid0(VALU_DEP_1)
	v_and_b32_e32 v0, 0x1ffc, v0
	ds_add_u32 v0, v33 offset:9088
.LBB8_49:                               ;   in Loop: Header=BB8_47 Depth=1
	s_or_b32 exec_lo, exec_lo, s38
	v_cmp_gt_i32_e32 vcc_lo, 0, v1
	s_mov_b32 s38, exec_lo
	v_cndmask_b32_e64 v0, 0x7fffffff, 0, vcc_lo
	s_delay_alu instid0(VALU_DEP_1) | instskip(NEXT) | instid1(VALU_DEP_1)
	v_xor_b32_e32 v0, v0, v1
	v_and_b32_e32 v1, 0xffe00000, v0
	s_delay_alu instid0(VALU_DEP_1)
	v_cmpx_eq_u32_e64 v1, v32
	s_cbranch_execz .LBB8_51
; %bb.50:                               ;   in Loop: Header=BB8_47 Depth=1
	v_lshrrev_b32_e32 v0, 8, v0
	s_delay_alu instid0(VALU_DEP_1)
	v_and_b32_e32 v0, 0x1ffc, v0
	ds_add_u32 v0, v33 offset:9088
.LBB8_51:                               ;   in Loop: Header=BB8_47 Depth=1
	s_or_b32 exec_lo, exec_lo, s38
	v_cmp_gt_i32_e32 vcc_lo, 0, v2
	s_mov_b32 s38, exec_lo
	v_cndmask_b32_e64 v0, 0x7fffffff, 0, vcc_lo
	s_delay_alu instid0(VALU_DEP_1) | instskip(NEXT) | instid1(VALU_DEP_1)
	v_xor_b32_e32 v0, v0, v2
	v_and_b32_e32 v1, 0xffe00000, v0
	;; [unrolled: 16-line block ×3, first 2 shown]
	s_delay_alu instid0(VALU_DEP_1)
	v_cmpx_eq_u32_e64 v1, v32
	s_cbranch_execz .LBB8_55
; %bb.54:                               ;   in Loop: Header=BB8_47 Depth=1
	v_lshrrev_b32_e32 v0, 8, v0
	s_delay_alu instid0(VALU_DEP_1)
	v_and_b32_e32 v0, 0x1ffc, v0
	ds_add_u32 v0, v33 offset:9088
.LBB8_55:                               ;   in Loop: Header=BB8_47 Depth=1
	s_or_b32 exec_lo, exec_lo, s38
	v_lshlrev_b64 v[0:1], 4, v[8:9]
	v_add_co_u32 v2, vcc_lo, s35, v10
	v_add_co_ci_u32_e32 v3, vcc_lo, s36, v11, vcc_lo
	s_mov_b32 s38, exec_lo
	s_delay_alu instid0(VALU_DEP_3) | instskip(NEXT) | instid1(VALU_DEP_4)
	v_add_co_u32 v0, vcc_lo, s9, v0
	v_add_co_ci_u32_e32 v1, vcc_lo, s30, v1, vcc_lo
	s_waitcnt vmcnt(0)
	v_cmp_gt_i32_e32 vcc_lo, 0, v4
	s_clause 0x1
	global_load_b128 v[8:11], v[2:3], off
	global_load_b128 v[0:3], v[0:1], off
	v_cndmask_b32_e64 v24, 0x7fffffff, 0, vcc_lo
	s_delay_alu instid0(VALU_DEP_1) | instskip(NEXT) | instid1(VALU_DEP_1)
	v_xor_b32_e32 v4, v24, v4
	v_and_b32_e32 v24, 0xffe00000, v4
	s_delay_alu instid0(VALU_DEP_1)
	v_cmpx_eq_u32_e64 v24, v32
	s_cbranch_execz .LBB8_57
; %bb.56:                               ;   in Loop: Header=BB8_47 Depth=1
	v_lshrrev_b32_e32 v4, 8, v4
	s_delay_alu instid0(VALU_DEP_1)
	v_and_b32_e32 v4, 0x1ffc, v4
	ds_add_u32 v4, v33 offset:9088
.LBB8_57:                               ;   in Loop: Header=BB8_47 Depth=1
	s_or_b32 exec_lo, exec_lo, s38
	v_cmp_gt_i32_e32 vcc_lo, 0, v5
	s_mov_b32 s38, exec_lo
	v_cndmask_b32_e64 v4, 0x7fffffff, 0, vcc_lo
	s_delay_alu instid0(VALU_DEP_1) | instskip(NEXT) | instid1(VALU_DEP_1)
	v_xor_b32_e32 v4, v4, v5
	v_and_b32_e32 v5, 0xffe00000, v4
	s_delay_alu instid0(VALU_DEP_1)
	v_cmpx_eq_u32_e64 v5, v32
	s_cbranch_execz .LBB8_59
; %bb.58:                               ;   in Loop: Header=BB8_47 Depth=1
	v_lshrrev_b32_e32 v4, 8, v4
	s_delay_alu instid0(VALU_DEP_1)
	v_and_b32_e32 v4, 0x1ffc, v4
	ds_add_u32 v4, v33 offset:9088
.LBB8_59:                               ;   in Loop: Header=BB8_47 Depth=1
	s_or_b32 exec_lo, exec_lo, s38
	v_cmp_gt_i32_e32 vcc_lo, 0, v6
	s_mov_b32 s38, exec_lo
	;; [unrolled: 16-line block ×3, first 2 shown]
	v_cndmask_b32_e64 v4, 0x7fffffff, 0, vcc_lo
	s_delay_alu instid0(VALU_DEP_1) | instskip(NEXT) | instid1(VALU_DEP_1)
	v_xor_b32_e32 v4, v4, v7
	v_and_b32_e32 v5, 0xffe00000, v4
	s_delay_alu instid0(VALU_DEP_1)
	v_cmpx_eq_u32_e64 v5, v32
	s_cbranch_execz .LBB8_63
; %bb.62:                               ;   in Loop: Header=BB8_47 Depth=1
	v_lshrrev_b32_e32 v4, 8, v4
	s_delay_alu instid0(VALU_DEP_1)
	v_and_b32_e32 v4, 0x1ffc, v4
	ds_add_u32 v4, v33 offset:9088
.LBB8_63:                               ;   in Loop: Header=BB8_47 Depth=1
	s_or_b32 exec_lo, exec_lo, s38
	s_waitcnt vmcnt(1)
	v_cmp_gt_i32_e32 vcc_lo, 0, v8
	s_mov_b32 s38, exec_lo
	v_cndmask_b32_e64 v4, 0x7fffffff, 0, vcc_lo
	s_delay_alu instid0(VALU_DEP_1) | instskip(NEXT) | instid1(VALU_DEP_1)
	v_xor_b32_e32 v4, v4, v8
	v_and_b32_e32 v5, 0xffe00000, v4
	s_delay_alu instid0(VALU_DEP_1)
	v_cmpx_eq_u32_e64 v5, v32
	s_cbranch_execz .LBB8_65
; %bb.64:                               ;   in Loop: Header=BB8_47 Depth=1
	v_lshrrev_b32_e32 v4, 8, v4
	s_delay_alu instid0(VALU_DEP_1)
	v_and_b32_e32 v4, 0x1ffc, v4
	ds_add_u32 v4, v33 offset:9088
.LBB8_65:                               ;   in Loop: Header=BB8_47 Depth=1
	s_or_b32 exec_lo, exec_lo, s38
	v_cmp_gt_i32_e32 vcc_lo, 0, v9
	s_mov_b32 s38, exec_lo
	v_cndmask_b32_e64 v4, 0x7fffffff, 0, vcc_lo
	s_delay_alu instid0(VALU_DEP_1) | instskip(NEXT) | instid1(VALU_DEP_1)
	v_xor_b32_e32 v4, v4, v9
	v_and_b32_e32 v5, 0xffe00000, v4
	s_delay_alu instid0(VALU_DEP_1)
	v_cmpx_eq_u32_e64 v5, v32
	s_cbranch_execz .LBB8_67
; %bb.66:                               ;   in Loop: Header=BB8_47 Depth=1
	v_lshrrev_b32_e32 v4, 8, v4
	s_delay_alu instid0(VALU_DEP_1)
	v_and_b32_e32 v4, 0x1ffc, v4
	ds_add_u32 v4, v33 offset:9088
.LBB8_67:                               ;   in Loop: Header=BB8_47 Depth=1
	s_or_b32 exec_lo, exec_lo, s38
	;; [unrolled: 16-line block ×4, first 2 shown]
	s_waitcnt vmcnt(0)
	v_cmp_gt_i32_e32 vcc_lo, 0, v0
	s_mov_b32 s38, exec_lo
	v_cndmask_b32_e64 v4, 0x7fffffff, 0, vcc_lo
	s_delay_alu instid0(VALU_DEP_1) | instskip(NEXT) | instid1(VALU_DEP_1)
	v_xor_b32_e32 v0, v4, v0
	v_and_b32_e32 v4, 0xffe00000, v0
	s_delay_alu instid0(VALU_DEP_1)
	v_cmpx_eq_u32_e64 v4, v32
	s_cbranch_execz .LBB8_73
; %bb.72:                               ;   in Loop: Header=BB8_47 Depth=1
	v_lshrrev_b32_e32 v0, 8, v0
	s_delay_alu instid0(VALU_DEP_1)
	v_and_b32_e32 v0, 0x1ffc, v0
	ds_add_u32 v0, v33 offset:9088
.LBB8_73:                               ;   in Loop: Header=BB8_47 Depth=1
	s_or_b32 exec_lo, exec_lo, s38
	v_cmp_gt_i32_e32 vcc_lo, 0, v1
	s_mov_b32 s38, exec_lo
	v_cndmask_b32_e64 v0, 0x7fffffff, 0, vcc_lo
	s_delay_alu instid0(VALU_DEP_1) | instskip(NEXT) | instid1(VALU_DEP_1)
	v_xor_b32_e32 v0, v0, v1
	v_and_b32_e32 v1, 0xffe00000, v0
	s_delay_alu instid0(VALU_DEP_1)
	v_cmpx_eq_u32_e64 v1, v32
	s_cbranch_execz .LBB8_75
; %bb.74:                               ;   in Loop: Header=BB8_47 Depth=1
	v_lshrrev_b32_e32 v0, 8, v0
	s_delay_alu instid0(VALU_DEP_1)
	v_and_b32_e32 v0, 0x1ffc, v0
	ds_add_u32 v0, v33 offset:9088
.LBB8_75:                               ;   in Loop: Header=BB8_47 Depth=1
	s_or_b32 exec_lo, exec_lo, s38
	;; [unrolled: 16-line block ×3, first 2 shown]
	v_cmp_gt_i32_e32 vcc_lo, 0, v3
	s_mov_b32 s38, exec_lo
	v_cndmask_b32_e64 v0, 0x7fffffff, 0, vcc_lo
	s_delay_alu instid0(VALU_DEP_1) | instskip(NEXT) | instid1(VALU_DEP_1)
	v_xor_b32_e32 v0, v0, v3
	v_and_b32_e32 v1, 0xffe00000, v0
	s_delay_alu instid0(VALU_DEP_1)
	v_cmpx_eq_u32_e64 v1, v32
	s_cbranch_execz .LBB8_46
; %bb.78:                               ;   in Loop: Header=BB8_47 Depth=1
	v_lshrrev_b32_e32 v0, 8, v0
	s_delay_alu instid0(VALU_DEP_1)
	v_and_b32_e32 v0, 0x1ffc, v0
	ds_add_u32 v0, v33 offset:9088
	s_branch .LBB8_46
.LBB8_79:
	s_or_b32 exec_lo, exec_lo, s37
.LBB8_80:
	s_delay_alu instid0(SALU_CYCLE_1) | instskip(NEXT) | instid1(SALU_CYCLE_1)
	s_or_b32 exec_lo, exec_lo, s8
	s_mov_b32 s8, exec_lo
	v_cmpx_gt_i32_e64 s16, v23
	s_cbranch_execz .LBB8_91
; %bb.81:
	v_mov_b32_e32 v4, 1
	s_mov_b32 s37, 0
	s_branch .LBB8_83
.LBB8_82:                               ;   in Loop: Header=BB8_83 Depth=1
	s_or_b32 exec_lo, exec_lo, s38
	v_add_nc_u32_e32 v23, s24, v23
	s_delay_alu instid0(VALU_DEP_1) | instskip(SKIP_1) | instid1(SALU_CYCLE_1)
	v_cmp_le_i32_e32 vcc_lo, s16, v23
	s_or_b32 s37, vcc_lo, s37
	s_and_not1_b32 exec_lo, exec_lo, s37
	s_cbranch_execz .LBB8_91
.LBB8_83:                               ; =>This Inner Loop Header: Depth=1
	v_ashrrev_i32_e32 v24, 31, v23
	s_mov_b32 s38, exec_lo
	s_delay_alu instid0(VALU_DEP_1) | instskip(NEXT) | instid1(VALU_DEP_1)
	v_lshlrev_b64 v[0:1], 4, v[23:24]
	v_add_co_u32 v0, vcc_lo, s9, v0
	s_delay_alu instid0(VALU_DEP_2) | instskip(SKIP_4) | instid1(VALU_DEP_1)
	v_add_co_ci_u32_e32 v1, vcc_lo, s30, v1, vcc_lo
	global_load_b128 v[0:3], v[0:1], off
	s_waitcnt vmcnt(0)
	v_cmp_gt_i32_e32 vcc_lo, 0, v0
	v_cndmask_b32_e64 v5, 0x7fffffff, 0, vcc_lo
	v_xor_b32_e32 v0, v5, v0
	s_delay_alu instid0(VALU_DEP_1) | instskip(SKIP_1) | instid1(VALU_DEP_1)
	v_and_b32_e32 v5, 0xffe00000, v0
	s_waitcnt lgkmcnt(0)
	v_cmpx_eq_u32_e64 v5, v32
	s_cbranch_execz .LBB8_85
; %bb.84:                               ;   in Loop: Header=BB8_83 Depth=1
	v_lshrrev_b32_e32 v0, 8, v0
	s_delay_alu instid0(VALU_DEP_1)
	v_and_b32_e32 v0, 0x1ffc, v0
	ds_add_u32 v0, v4 offset:9088
.LBB8_85:                               ;   in Loop: Header=BB8_83 Depth=1
	s_or_b32 exec_lo, exec_lo, s38
	v_cmp_gt_i32_e32 vcc_lo, 0, v1
	s_mov_b32 s38, exec_lo
	v_cndmask_b32_e64 v0, 0x7fffffff, 0, vcc_lo
	s_delay_alu instid0(VALU_DEP_1) | instskip(NEXT) | instid1(VALU_DEP_1)
	v_xor_b32_e32 v0, v0, v1
	v_and_b32_e32 v1, 0xffe00000, v0
	s_delay_alu instid0(VALU_DEP_1)
	v_cmpx_eq_u32_e64 v1, v32
	s_cbranch_execz .LBB8_87
; %bb.86:                               ;   in Loop: Header=BB8_83 Depth=1
	v_lshrrev_b32_e32 v0, 8, v0
	s_delay_alu instid0(VALU_DEP_1)
	v_and_b32_e32 v0, 0x1ffc, v0
	ds_add_u32 v0, v4 offset:9088
.LBB8_87:                               ;   in Loop: Header=BB8_83 Depth=1
	s_or_b32 exec_lo, exec_lo, s38
	v_cmp_gt_i32_e32 vcc_lo, 0, v2
	s_mov_b32 s38, exec_lo
	v_cndmask_b32_e64 v0, 0x7fffffff, 0, vcc_lo
	s_delay_alu instid0(VALU_DEP_1) | instskip(NEXT) | instid1(VALU_DEP_1)
	v_xor_b32_e32 v0, v0, v2
	v_and_b32_e32 v1, 0xffe00000, v0
	s_delay_alu instid0(VALU_DEP_1)
	;; [unrolled: 16-line block ×3, first 2 shown]
	v_cmpx_eq_u32_e64 v1, v32
	s_cbranch_execz .LBB8_82
; %bb.90:                               ;   in Loop: Header=BB8_83 Depth=1
	v_lshrrev_b32_e32 v0, 8, v0
	s_delay_alu instid0(VALU_DEP_1)
	v_and_b32_e32 v0, 0x1ffc, v0
	ds_add_u32 v0, v4 offset:9088
	s_branch .LBB8_82
.LBB8_91:
	s_or_b32 exec_lo, exec_lo, s8
	s_and_saveexec_b32 s8, s4
	s_cbranch_execz .LBB8_94
; %bb.92:
	global_load_b32 v0, v[18:19], off
	s_waitcnt vmcnt(0)
	v_cmp_gt_i32_e32 vcc_lo, 0, v0
	v_cndmask_b32_e64 v1, 0x7fffffff, 0, vcc_lo
	s_delay_alu instid0(VALU_DEP_1) | instskip(NEXT) | instid1(VALU_DEP_1)
	v_xor_b32_e32 v0, v1, v0
	v_and_b32_e32 v1, 0xffe00000, v0
	s_waitcnt lgkmcnt(0)
	s_delay_alu instid0(VALU_DEP_1)
	v_cmp_eq_u32_e32 vcc_lo, v1, v32
	s_and_b32 exec_lo, exec_lo, vcc_lo
	s_cbranch_execz .LBB8_94
; %bb.93:
	v_lshrrev_b32_e32 v0, 8, v0
	s_delay_alu instid0(VALU_DEP_1)
	v_dual_mov_b32 v1, 1 :: v_dual_and_b32 v0, 0x1ffc, v0
	ds_add_u32 v0, v1 offset:9088
.LBB8_94:
	s_or_b32 exec_lo, exec_lo, s8
	s_and_saveexec_b32 s8, s5
	s_cbranch_execz .LBB8_97
; %bb.95:
	global_load_b32 v0, v[20:21], off
	s_waitcnt vmcnt(0)
	v_cmp_gt_i32_e32 vcc_lo, 0, v0
	v_cndmask_b32_e64 v1, 0x7fffffff, 0, vcc_lo
	s_delay_alu instid0(VALU_DEP_1) | instskip(NEXT) | instid1(VALU_DEP_1)
	v_xor_b32_e32 v0, v1, v0
	v_and_b32_e32 v1, 0xffe00000, v0
	s_waitcnt lgkmcnt(0)
	s_delay_alu instid0(VALU_DEP_1)
	v_cmp_eq_u32_e32 vcc_lo, v1, v32
	s_and_b32 exec_lo, exec_lo, vcc_lo
	s_cbranch_execz .LBB8_97
; %bb.96:
	v_lshrrev_b32_e32 v0, 8, v0
	s_delay_alu instid0(VALU_DEP_1)
	v_dual_mov_b32 v1, 1 :: v_dual_and_b32 v0, 0x1ffc, v0
	ds_add_u32 v0, v1 offset:9088
.LBB8_97:
	s_or_b32 exec_lo, exec_lo, s8
	s_waitcnt lgkmcnt(0)
	s_barrier
	buffer_gl0_inv
	flat_load_b32 v0, v[12:13] glc dlc
	s_waitcnt vmcnt(0)
	flat_load_b32 v1, v[14:15] glc dlc
	s_waitcnt vmcnt(0) lgkmcnt(1)
	ds_store_b32 v28, v0
	s_waitcnt lgkmcnt(1)
	ds_store_b32 v29, v1 offset:4096
	s_waitcnt lgkmcnt(0)
	s_barrier
	buffer_gl0_inv
	ds_load_2addr_b32 v[0:1], v30 offset1:1
	s_waitcnt lgkmcnt(0)
	s_barrier
	buffer_gl0_inv
	v_add_nc_u32_e32 v2, v1, v0
	ds_store_b32 v28, v2
	s_waitcnt lgkmcnt(0)
	s_barrier
	buffer_gl0_inv
	s_and_saveexec_b32 s8, s6
	s_cbranch_execz .LBB8_99
; %bb.98:
	ds_load_2addr_b32 v[3:4], v25 offset1:1
	ds_load_2addr_b32 v[5:6], v25 offset0:2 offset1:3
	ds_load_2addr_b32 v[7:8], v25 offset0:4 offset1:5
	;; [unrolled: 1-line block ×15, first 2 shown]
	v_mbcnt_lo_u32_b32 v57, -1, 0
	s_delay_alu instid0(VALU_DEP_1) | instskip(SKIP_3) | instid1(VALU_DEP_1)
	v_bfe_i32 v60, v57, 4, 1
	s_waitcnt lgkmcnt(15)
	v_add_nc_u32_e32 v11, v4, v3
	s_waitcnt lgkmcnt(14)
	v_add3_u32 v11, v11, v5, v6
	s_waitcnt lgkmcnt(13)
	s_delay_alu instid0(VALU_DEP_1) | instskip(SKIP_1) | instid1(VALU_DEP_1)
	v_add3_u32 v11, v11, v7, v8
	s_waitcnt lgkmcnt(12)
	v_add3_u32 v11, v11, v9, v10
	s_waitcnt lgkmcnt(11)
	s_delay_alu instid0(VALU_DEP_1) | instskip(SKIP_1) | instid1(VALU_DEP_1)
	v_add3_u32 v11, v11, v23, v24
	;; [unrolled: 5-line block ×7, first 2 shown]
	s_waitcnt lgkmcnt(0)
	v_add3_u32 v11, v11, v55, v56
	s_delay_alu instid0(VALU_DEP_1) | instskip(SKIP_1) | instid1(VALU_DEP_1)
	v_mov_b32_dpp v59, v11 row_shr:1 row_mask:0xf bank_mask:0xf
	v_and_b32_e32 v58, 15, v57
	v_cmp_ne_u32_e32 vcc_lo, 0, v58
	s_delay_alu instid0(VALU_DEP_3) | instskip(SKIP_1) | instid1(VALU_DEP_2)
	v_cndmask_b32_e32 v59, 0, v59, vcc_lo
	v_cmp_lt_u32_e32 vcc_lo, 1, v58
	v_add_nc_u32_e32 v11, v59, v11
	s_delay_alu instid0(VALU_DEP_1) | instskip(NEXT) | instid1(VALU_DEP_1)
	v_mov_b32_dpp v59, v11 row_shr:2 row_mask:0xf bank_mask:0xf
	v_cndmask_b32_e32 v59, 0, v59, vcc_lo
	v_cmp_lt_u32_e32 vcc_lo, 3, v58
	s_delay_alu instid0(VALU_DEP_2) | instskip(NEXT) | instid1(VALU_DEP_1)
	v_add_nc_u32_e32 v11, v11, v59
	v_mov_b32_dpp v59, v11 row_shr:4 row_mask:0xf bank_mask:0xf
	s_delay_alu instid0(VALU_DEP_1) | instskip(SKIP_1) | instid1(VALU_DEP_2)
	v_cndmask_b32_e32 v59, 0, v59, vcc_lo
	v_cmp_lt_u32_e32 vcc_lo, 7, v58
	v_add_nc_u32_e32 v11, v11, v59
	s_delay_alu instid0(VALU_DEP_1) | instskip(NEXT) | instid1(VALU_DEP_1)
	v_mov_b32_dpp v59, v11 row_shr:8 row_mask:0xf bank_mask:0xf
	v_dual_cndmask_b32 v58, 0, v59 :: v_dual_add_nc_u32 v59, -1, v57
	s_delay_alu instid0(VALU_DEP_1) | instskip(NEXT) | instid1(VALU_DEP_2)
	v_add_nc_u32_e32 v11, v11, v58
	v_cmp_gt_i32_e32 vcc_lo, 0, v59
	ds_swizzle_b32 v58, v11 offset:swizzle(BROADCAST,32,15)
	v_cndmask_b32_e32 v57, v59, v57, vcc_lo
	s_delay_alu instid0(VALU_DEP_1) | instskip(SKIP_2) | instid1(VALU_DEP_1)
	v_lshlrev_b32_e32 v57, 2, v57
	s_waitcnt lgkmcnt(0)
	v_and_b32_e32 v58, v60, v58
	v_add_nc_u32_e32 v11, v11, v58
	ds_bpermute_b32 v11, v57, v11
	s_waitcnt lgkmcnt(0)
	v_add_nc_u32_e32 v3, v11, v3
	s_delay_alu instid0(VALU_DEP_1) | instskip(NEXT) | instid1(VALU_DEP_1)
	v_cndmask_b32_e64 v2, v3, v2, s2
	v_add_nc_u32_e32 v3, v2, v4
	s_delay_alu instid0(VALU_DEP_1) | instskip(NEXT) | instid1(VALU_DEP_1)
	v_add_nc_u32_e32 v4, v3, v5
	v_add_nc_u32_e32 v5, v4, v6
	s_delay_alu instid0(VALU_DEP_1) | instskip(NEXT) | instid1(VALU_DEP_1)
	v_add_nc_u32_e32 v6, v5, v7
	;; [unrolled: 3-line block ×3, first 2 shown]
	v_add_nc_u32_e32 v9, v8, v10
	ds_store_2addr_b32 v25, v2, v3 offset1:1
	ds_store_2addr_b32 v25, v4, v5 offset0:2 offset1:3
	ds_store_2addr_b32 v25, v6, v7 offset0:4 offset1:5
	;; [unrolled: 1-line block ×3, first 2 shown]
	v_add_nc_u32_e32 v10, v9, v23
	s_delay_alu instid0(VALU_DEP_1) | instskip(NEXT) | instid1(VALU_DEP_1)
	v_add_nc_u32_e32 v11, v10, v24
	v_add_nc_u32_e32 v23, v11, v32
	s_delay_alu instid0(VALU_DEP_1) | instskip(NEXT) | instid1(VALU_DEP_1)
	v_add_nc_u32_e32 v24, v23, v33
	;; [unrolled: 3-line block ×3, first 2 shown]
	v_add_nc_u32_e32 v34, v33, v36
	s_delay_alu instid0(VALU_DEP_1)
	v_add_nc_u32_e32 v35, v34, v37
	ds_store_2addr_b32 v25, v10, v11 offset0:8 offset1:9
	ds_store_2addr_b32 v25, v23, v24 offset0:10 offset1:11
	;; [unrolled: 1-line block ×4, first 2 shown]
	v_add_nc_u32_e32 v36, v35, v38
	s_delay_alu instid0(VALU_DEP_1) | instskip(NEXT) | instid1(VALU_DEP_1)
	v_add_nc_u32_e32 v37, v36, v39
	v_add_nc_u32_e32 v38, v37, v43
	s_delay_alu instid0(VALU_DEP_1) | instskip(NEXT) | instid1(VALU_DEP_1)
	v_add_nc_u32_e32 v39, v38, v44
	;; [unrolled: 3-line block ×7, first 2 shown]
	v_add_nc_u32_e32 v2, v52, v55
	s_delay_alu instid0(VALU_DEP_1)
	v_add_nc_u32_e32 v3, v2, v56
	ds_store_2addr_b32 v25, v36, v37 offset0:16 offset1:17
	ds_store_2addr_b32 v25, v38, v39 offset0:18 offset1:19
	;; [unrolled: 1-line block ×8, first 2 shown]
.LBB8_99:
	s_or_b32 exec_lo, exec_lo, s8
	v_dual_mov_b32 v2, 0 :: v_dual_mov_b32 v3, 0
	s_waitcnt lgkmcnt(0)
	s_barrier
	buffer_gl0_inv
	s_and_saveexec_b32 s8, s3
	s_cbranch_execz .LBB8_101
; %bb.100:
	ds_load_b32 v3, v31
.LBB8_101:
	s_or_b32 exec_lo, exec_lo, s8
	s_waitcnt lgkmcnt(0)
	v_dual_mov_b32 v3, v26 :: v_dual_add_nc_u32 v0, v3, v0
	s_barrier
	buffer_gl0_inv
	v_add_nc_u32_e32 v1, v0, v1
	s_lshl_b32 s38, s24, 10
	s_mov_b32 s37, 0
	v_mov_b32_e32 v4, v40
	ds_store_2addr_b32 v30, v0, v1 offset1:1
	s_waitcnt lgkmcnt(0)
	s_barrier
	buffer_gl0_inv
	ds_load_b32 v0, v28
	ds_load_b32 v1, v29 offset:4096
	s_waitcnt lgkmcnt(1)
	flat_store_b32 v[12:13], v0 dlc
	s_waitcnt_vscnt null, 0x0
	s_waitcnt lgkmcnt(1)
	flat_store_b32 v[14:15], v1 dlc
	s_waitcnt_vscnt null, 0x0
	s_waitcnt lgkmcnt(0)
	s_barrier
	buffer_gl0_inv
	ds_load_b32 v0, v2 offset:12
	v_lshlrev_b32_e32 v1, 10, v40
	s_set_inst_prefetch_distance 0x1
	s_branch .LBB8_103
	.p2align	6
.LBB8_102:                              ;   in Loop: Header=BB8_103 Depth=1
	s_or_b32 exec_lo, exec_lo, s8
	v_add_nc_u32_e32 v4, s24, v4
	v_add_nc_u32_e32 v1, s38, v1
	;; [unrolled: 1-line block ×3, first 2 shown]
	s_delay_alu instid0(VALU_DEP_3) | instskip(SKIP_1) | instid1(SALU_CYCLE_1)
	v_cmp_lt_u32_e32 vcc_lo, 0x7ff, v4
	s_or_b32 s37, vcc_lo, s37
	s_and_not1_b32 exec_lo, exec_lo, s37
	s_cbranch_execz .LBB8_107
.LBB8_103:                              ; =>This Inner Loop Header: Depth=1
	v_mov_b32_e32 v5, 0
	s_mov_b32 s8, exec_lo
	v_cmpx_ne_u32_e32 0, v4
	s_cbranch_execz .LBB8_105
; %bb.104:                              ;   in Loop: Header=BB8_103 Depth=1
	ds_load_b32 v5, v3
.LBB8_105:                              ;   in Loop: Header=BB8_103 Depth=1
	s_or_b32 exec_lo, exec_lo, s8
	ds_load_b32 v6, v3 offset:4
	s_waitcnt lgkmcnt(1)
	v_cmp_gt_i32_e32 vcc_lo, v22, v5
	s_waitcnt lgkmcnt(0)
	v_cmp_ge_i32_e64 s8, v6, v22
	s_delay_alu instid0(VALU_DEP_1) | instskip(NEXT) | instid1(SALU_CYCLE_1)
	s_and_b32 s39, vcc_lo, s8
	s_and_saveexec_b32 s8, s39
	s_cbranch_execz .LBB8_102
; %bb.106:                              ;   in Loop: Header=BB8_103 Depth=1
	v_sub_nc_u32_e32 v7, v22, v5
	v_sub_nc_u32_e32 v8, v6, v5
	v_or_b32_e32 v0, v0, v1
	ds_store_b64 v2, v[7:8]
	ds_store_b32 v2, v0 offset:12
	s_branch .LBB8_102
.LBB8_107:
	s_set_inst_prefetch_distance 0x2
	s_or_b32 exec_lo, exec_lo, s37
	s_and_saveexec_b32 s8, s2
	s_cbranch_execz .LBB8_109
; %bb.108:
	v_mov_b32_e32 v0, 0
	ds_load_b32 v1, v0 offset:4
	s_waitcnt lgkmcnt(0)
	ds_store_b32 v0, v1 offset:8
.LBB8_109:
	s_or_b32 exec_lo, exec_lo, s8
	v_mov_b32_e32 v0, 0
	s_waitcnt lgkmcnt(0)
	s_barrier
	buffer_gl0_inv
	s_mov_b32 s37, 1
	ds_load_b64 v[22:23], v0
	s_waitcnt lgkmcnt(0)
	v_cmp_eq_u32_e32 vcc_lo, v23, v22
	s_cbranch_vccnz .LBB8_180
; %bb.110:
	v_mov_b32_e32 v1, v40
	s_mov_b32 s8, 0
.LBB8_111:                              ; =>This Inner Loop Header: Depth=1
	s_delay_alu instid0(VALU_DEP_1) | instskip(SKIP_4) | instid1(SALU_CYCLE_1)
	v_add_nc_u32_e32 v1, s24, v1
	ds_store_b32 v27, v0
	v_add_nc_u32_e32 v27, s25, v27
	v_cmp_lt_u32_e32 vcc_lo, 0x7ff, v1
	s_or_b32 s8, vcc_lo, s8
	s_and_not1_b32 exec_lo, exec_lo, s8
	s_cbranch_execnz .LBB8_111
; %bb.112:
	s_or_b32 exec_lo, exec_lo, s8
	s_and_saveexec_b32 s8, s2
	s_cbranch_execz .LBB8_114
; %bb.113:
	v_mov_b32_e32 v0, 0
	ds_store_b32 v0, v0 offset:128
.LBB8_114:
	s_or_b32 exec_lo, exec_lo, s8
	v_dual_mov_b32 v0, 0 :: v_dual_mov_b32 v23, v40
	s_waitcnt lgkmcnt(0)
	s_barrier
	buffer_gl0_inv
	ds_load_b32 v27, v0 offset:12
	s_and_saveexec_b32 s8, s7
	s_cbranch_execz .LBB8_150
; %bb.115:
	v_dual_mov_b32 v32, 1 :: v_dual_mov_b32 v23, v40
	v_mov_b32_e32 v24, v41
	s_mov_b32 s7, 0
	s_branch .LBB8_117
.LBB8_116:                              ;   in Loop: Header=BB8_117 Depth=1
	s_or_b32 exec_lo, exec_lo, s37
	v_add_nc_u32_e32 v23, s25, v23
	s_delay_alu instid0(VALU_DEP_1) | instskip(SKIP_1) | instid1(VALU_DEP_2)
	v_ashrrev_i32_e32 v24, 31, v23
	v_add_co_u32 v16, vcc_lo, s31, v23
	v_add_co_ci_u32_e32 v17, vcc_lo, 0, v24, vcc_lo
	s_delay_alu instid0(VALU_DEP_1) | instskip(SKIP_1) | instid1(SALU_CYCLE_1)
	v_cmp_le_u64_e32 vcc_lo, s[16:17], v[16:17]
	s_or_b32 s7, vcc_lo, s7
	s_and_not1_b32 exec_lo, exec_lo, s7
	s_cbranch_execz .LBB8_149
.LBB8_117:                              ; =>This Inner Loop Header: Depth=1
	s_delay_alu instid0(VALU_DEP_1) | instskip(SKIP_1) | instid1(VALU_DEP_1)
	v_lshlrev_b64 v[8:9], 4, v[23:24]
	s_mov_b32 s37, exec_lo
	v_add_co_u32 v0, vcc_lo, s9, v8
	s_delay_alu instid0(VALU_DEP_2)
	v_add_co_ci_u32_e32 v1, vcc_lo, s30, v9, vcc_lo
	v_add_co_u32 v4, vcc_lo, s33, v8
	v_add_co_ci_u32_e32 v5, vcc_lo, s34, v9, vcc_lo
	s_clause 0x1
	global_load_b128 v[0:3], v[0:1], off
	global_load_b128 v[4:7], v[4:5], off
	s_waitcnt vmcnt(1)
	v_cmp_gt_i32_e32 vcc_lo, 0, v0
	v_cndmask_b32_e64 v10, 0x7fffffff, 0, vcc_lo
	s_delay_alu instid0(VALU_DEP_1) | instskip(NEXT) | instid1(VALU_DEP_1)
	v_xor_b32_e32 v0, v10, v0
	v_and_b32_e32 v10, 0xfffffc00, v0
	s_waitcnt lgkmcnt(0)
	s_delay_alu instid0(VALU_DEP_1)
	v_cmpx_eq_u32_e64 v10, v27
	s_cbranch_execz .LBB8_119
; %bb.118:                              ;   in Loop: Header=BB8_117 Depth=1
	v_and_b32_e32 v0, 0x7ff, v0
	s_delay_alu instid0(VALU_DEP_1)
	v_lshlrev_b32_e32 v0, 2, v0
	ds_add_u32 v0, v32 offset:9088
.LBB8_119:                              ;   in Loop: Header=BB8_117 Depth=1
	s_or_b32 exec_lo, exec_lo, s37
	v_cmp_gt_i32_e32 vcc_lo, 0, v1
	s_mov_b32 s37, exec_lo
	v_cndmask_b32_e64 v0, 0x7fffffff, 0, vcc_lo
	s_delay_alu instid0(VALU_DEP_1) | instskip(NEXT) | instid1(VALU_DEP_1)
	v_xor_b32_e32 v0, v0, v1
	v_and_b32_e32 v1, 0xfffffc00, v0
	s_delay_alu instid0(VALU_DEP_1)
	v_cmpx_eq_u32_e64 v1, v27
	s_cbranch_execz .LBB8_121
; %bb.120:                              ;   in Loop: Header=BB8_117 Depth=1
	v_and_b32_e32 v0, 0x7ff, v0
	s_delay_alu instid0(VALU_DEP_1)
	v_lshlrev_b32_e32 v0, 2, v0
	ds_add_u32 v0, v32 offset:9088
.LBB8_121:                              ;   in Loop: Header=BB8_117 Depth=1
	s_or_b32 exec_lo, exec_lo, s37
	v_cmp_gt_i32_e32 vcc_lo, 0, v2
	s_mov_b32 s37, exec_lo
	v_cndmask_b32_e64 v0, 0x7fffffff, 0, vcc_lo
	s_delay_alu instid0(VALU_DEP_1) | instskip(NEXT) | instid1(VALU_DEP_1)
	v_xor_b32_e32 v0, v0, v2
	v_and_b32_e32 v1, 0xfffffc00, v0
	;; [unrolled: 16-line block ×3, first 2 shown]
	s_delay_alu instid0(VALU_DEP_1)
	v_cmpx_eq_u32_e64 v1, v27
	s_cbranch_execz .LBB8_125
; %bb.124:                              ;   in Loop: Header=BB8_117 Depth=1
	v_and_b32_e32 v0, 0x7ff, v0
	s_delay_alu instid0(VALU_DEP_1)
	v_lshlrev_b32_e32 v0, 2, v0
	ds_add_u32 v0, v32 offset:9088
.LBB8_125:                              ;   in Loop: Header=BB8_117 Depth=1
	s_or_b32 exec_lo, exec_lo, s37
	v_lshlrev_b64 v[0:1], 4, v[16:17]
	v_add_co_u32 v2, vcc_lo, s35, v8
	v_add_co_ci_u32_e32 v3, vcc_lo, s36, v9, vcc_lo
	s_mov_b32 s37, exec_lo
	s_delay_alu instid0(VALU_DEP_3) | instskip(NEXT) | instid1(VALU_DEP_4)
	v_add_co_u32 v0, vcc_lo, s9, v0
	v_add_co_ci_u32_e32 v1, vcc_lo, s30, v1, vcc_lo
	s_waitcnt vmcnt(0)
	v_cmp_gt_i32_e32 vcc_lo, 0, v4
	s_clause 0x1
	global_load_b128 v[8:11], v[2:3], off
	global_load_b128 v[0:3], v[0:1], off
	v_cndmask_b32_e64 v16, 0x7fffffff, 0, vcc_lo
	s_delay_alu instid0(VALU_DEP_1) | instskip(NEXT) | instid1(VALU_DEP_1)
	v_xor_b32_e32 v4, v16, v4
	v_and_b32_e32 v16, 0xfffffc00, v4
	s_delay_alu instid0(VALU_DEP_1)
	v_cmpx_eq_u32_e64 v16, v27
	s_cbranch_execz .LBB8_127
; %bb.126:                              ;   in Loop: Header=BB8_117 Depth=1
	v_and_b32_e32 v4, 0x7ff, v4
	s_delay_alu instid0(VALU_DEP_1)
	v_lshlrev_b32_e32 v4, 2, v4
	ds_add_u32 v4, v32 offset:9088
.LBB8_127:                              ;   in Loop: Header=BB8_117 Depth=1
	s_or_b32 exec_lo, exec_lo, s37
	v_cmp_gt_i32_e32 vcc_lo, 0, v5
	s_mov_b32 s37, exec_lo
	v_cndmask_b32_e64 v4, 0x7fffffff, 0, vcc_lo
	s_delay_alu instid0(VALU_DEP_1) | instskip(NEXT) | instid1(VALU_DEP_1)
	v_xor_b32_e32 v4, v4, v5
	v_and_b32_e32 v5, 0xfffffc00, v4
	s_delay_alu instid0(VALU_DEP_1)
	v_cmpx_eq_u32_e64 v5, v27
	s_cbranch_execz .LBB8_129
; %bb.128:                              ;   in Loop: Header=BB8_117 Depth=1
	v_and_b32_e32 v4, 0x7ff, v4
	s_delay_alu instid0(VALU_DEP_1)
	v_lshlrev_b32_e32 v4, 2, v4
	ds_add_u32 v4, v32 offset:9088
.LBB8_129:                              ;   in Loop: Header=BB8_117 Depth=1
	s_or_b32 exec_lo, exec_lo, s37
	v_cmp_gt_i32_e32 vcc_lo, 0, v6
	s_mov_b32 s37, exec_lo
	;; [unrolled: 16-line block ×3, first 2 shown]
	v_cndmask_b32_e64 v4, 0x7fffffff, 0, vcc_lo
	s_delay_alu instid0(VALU_DEP_1) | instskip(NEXT) | instid1(VALU_DEP_1)
	v_xor_b32_e32 v4, v4, v7
	v_and_b32_e32 v5, 0xfffffc00, v4
	s_delay_alu instid0(VALU_DEP_1)
	v_cmpx_eq_u32_e64 v5, v27
	s_cbranch_execz .LBB8_133
; %bb.132:                              ;   in Loop: Header=BB8_117 Depth=1
	v_and_b32_e32 v4, 0x7ff, v4
	s_delay_alu instid0(VALU_DEP_1)
	v_lshlrev_b32_e32 v4, 2, v4
	ds_add_u32 v4, v32 offset:9088
.LBB8_133:                              ;   in Loop: Header=BB8_117 Depth=1
	s_or_b32 exec_lo, exec_lo, s37
	s_waitcnt vmcnt(1)
	v_cmp_gt_i32_e32 vcc_lo, 0, v8
	s_mov_b32 s37, exec_lo
	v_cndmask_b32_e64 v4, 0x7fffffff, 0, vcc_lo
	s_delay_alu instid0(VALU_DEP_1) | instskip(NEXT) | instid1(VALU_DEP_1)
	v_xor_b32_e32 v4, v4, v8
	v_and_b32_e32 v5, 0xfffffc00, v4
	s_delay_alu instid0(VALU_DEP_1)
	v_cmpx_eq_u32_e64 v5, v27
	s_cbranch_execz .LBB8_135
; %bb.134:                              ;   in Loop: Header=BB8_117 Depth=1
	v_and_b32_e32 v4, 0x7ff, v4
	s_delay_alu instid0(VALU_DEP_1)
	v_lshlrev_b32_e32 v4, 2, v4
	ds_add_u32 v4, v32 offset:9088
.LBB8_135:                              ;   in Loop: Header=BB8_117 Depth=1
	s_or_b32 exec_lo, exec_lo, s37
	v_cmp_gt_i32_e32 vcc_lo, 0, v9
	s_mov_b32 s37, exec_lo
	v_cndmask_b32_e64 v4, 0x7fffffff, 0, vcc_lo
	s_delay_alu instid0(VALU_DEP_1) | instskip(NEXT) | instid1(VALU_DEP_1)
	v_xor_b32_e32 v4, v4, v9
	v_and_b32_e32 v5, 0xfffffc00, v4
	s_delay_alu instid0(VALU_DEP_1)
	v_cmpx_eq_u32_e64 v5, v27
	s_cbranch_execz .LBB8_137
; %bb.136:                              ;   in Loop: Header=BB8_117 Depth=1
	v_and_b32_e32 v4, 0x7ff, v4
	s_delay_alu instid0(VALU_DEP_1)
	v_lshlrev_b32_e32 v4, 2, v4
	ds_add_u32 v4, v32 offset:9088
.LBB8_137:                              ;   in Loop: Header=BB8_117 Depth=1
	s_or_b32 exec_lo, exec_lo, s37
	;; [unrolled: 16-line block ×4, first 2 shown]
	s_waitcnt vmcnt(0)
	v_cmp_gt_i32_e32 vcc_lo, 0, v0
	s_mov_b32 s37, exec_lo
	v_cndmask_b32_e64 v4, 0x7fffffff, 0, vcc_lo
	s_delay_alu instid0(VALU_DEP_1) | instskip(NEXT) | instid1(VALU_DEP_1)
	v_xor_b32_e32 v0, v4, v0
	v_and_b32_e32 v4, 0xfffffc00, v0
	s_delay_alu instid0(VALU_DEP_1)
	v_cmpx_eq_u32_e64 v4, v27
	s_cbranch_execz .LBB8_143
; %bb.142:                              ;   in Loop: Header=BB8_117 Depth=1
	v_and_b32_e32 v0, 0x7ff, v0
	s_delay_alu instid0(VALU_DEP_1)
	v_lshlrev_b32_e32 v0, 2, v0
	ds_add_u32 v0, v32 offset:9088
.LBB8_143:                              ;   in Loop: Header=BB8_117 Depth=1
	s_or_b32 exec_lo, exec_lo, s37
	v_cmp_gt_i32_e32 vcc_lo, 0, v1
	s_mov_b32 s37, exec_lo
	v_cndmask_b32_e64 v0, 0x7fffffff, 0, vcc_lo
	s_delay_alu instid0(VALU_DEP_1) | instskip(NEXT) | instid1(VALU_DEP_1)
	v_xor_b32_e32 v0, v0, v1
	v_and_b32_e32 v1, 0xfffffc00, v0
	s_delay_alu instid0(VALU_DEP_1)
	v_cmpx_eq_u32_e64 v1, v27
	s_cbranch_execz .LBB8_145
; %bb.144:                              ;   in Loop: Header=BB8_117 Depth=1
	v_and_b32_e32 v0, 0x7ff, v0
	s_delay_alu instid0(VALU_DEP_1)
	v_lshlrev_b32_e32 v0, 2, v0
	ds_add_u32 v0, v32 offset:9088
.LBB8_145:                              ;   in Loop: Header=BB8_117 Depth=1
	s_or_b32 exec_lo, exec_lo, s37
	;; [unrolled: 16-line block ×3, first 2 shown]
	v_cmp_gt_i32_e32 vcc_lo, 0, v3
	s_mov_b32 s37, exec_lo
	v_cndmask_b32_e64 v0, 0x7fffffff, 0, vcc_lo
	s_delay_alu instid0(VALU_DEP_1) | instskip(NEXT) | instid1(VALU_DEP_1)
	v_xor_b32_e32 v0, v0, v3
	v_and_b32_e32 v1, 0xfffffc00, v0
	s_delay_alu instid0(VALU_DEP_1)
	v_cmpx_eq_u32_e64 v1, v27
	s_cbranch_execz .LBB8_116
; %bb.148:                              ;   in Loop: Header=BB8_117 Depth=1
	v_and_b32_e32 v0, 0x7ff, v0
	s_delay_alu instid0(VALU_DEP_1)
	v_lshlrev_b32_e32 v0, 2, v0
	ds_add_u32 v0, v32 offset:9088
	s_branch .LBB8_116
.LBB8_149:
	s_or_b32 exec_lo, exec_lo, s7
.LBB8_150:
	s_delay_alu instid0(SALU_CYCLE_1) | instskip(NEXT) | instid1(SALU_CYCLE_1)
	s_or_b32 exec_lo, exec_lo, s8
	s_mov_b32 s7, exec_lo
	v_cmpx_gt_i32_e64 s16, v23
	s_cbranch_execz .LBB8_161
; %bb.151:
	v_mov_b32_e32 v4, 1
	s_mov_b32 s8, 0
	s_branch .LBB8_153
.LBB8_152:                              ;   in Loop: Header=BB8_153 Depth=1
	s_or_b32 exec_lo, exec_lo, s17
	v_add_nc_u32_e32 v23, s24, v23
	s_delay_alu instid0(VALU_DEP_1) | instskip(SKIP_1) | instid1(SALU_CYCLE_1)
	v_cmp_le_i32_e32 vcc_lo, s16, v23
	s_or_b32 s8, vcc_lo, s8
	s_and_not1_b32 exec_lo, exec_lo, s8
	s_cbranch_execz .LBB8_161
.LBB8_153:                              ; =>This Inner Loop Header: Depth=1
	v_ashrrev_i32_e32 v24, 31, v23
	s_mov_b32 s17, exec_lo
	s_delay_alu instid0(VALU_DEP_1) | instskip(NEXT) | instid1(VALU_DEP_1)
	v_lshlrev_b64 v[0:1], 4, v[23:24]
	v_add_co_u32 v0, vcc_lo, s9, v0
	s_delay_alu instid0(VALU_DEP_2) | instskip(SKIP_4) | instid1(VALU_DEP_1)
	v_add_co_ci_u32_e32 v1, vcc_lo, s30, v1, vcc_lo
	global_load_b128 v[0:3], v[0:1], off
	s_waitcnt vmcnt(0)
	v_cmp_gt_i32_e32 vcc_lo, 0, v0
	v_cndmask_b32_e64 v5, 0x7fffffff, 0, vcc_lo
	v_xor_b32_e32 v0, v5, v0
	s_delay_alu instid0(VALU_DEP_1) | instskip(SKIP_1) | instid1(VALU_DEP_1)
	v_and_b32_e32 v5, 0xfffffc00, v0
	s_waitcnt lgkmcnt(0)
	v_cmpx_eq_u32_e64 v5, v27
	s_cbranch_execz .LBB8_155
; %bb.154:                              ;   in Loop: Header=BB8_153 Depth=1
	v_and_b32_e32 v0, 0x7ff, v0
	s_delay_alu instid0(VALU_DEP_1)
	v_lshlrev_b32_e32 v0, 2, v0
	ds_add_u32 v0, v4 offset:9088
.LBB8_155:                              ;   in Loop: Header=BB8_153 Depth=1
	s_or_b32 exec_lo, exec_lo, s17
	v_cmp_gt_i32_e32 vcc_lo, 0, v1
	s_mov_b32 s17, exec_lo
	v_cndmask_b32_e64 v0, 0x7fffffff, 0, vcc_lo
	s_delay_alu instid0(VALU_DEP_1) | instskip(NEXT) | instid1(VALU_DEP_1)
	v_xor_b32_e32 v0, v0, v1
	v_and_b32_e32 v1, 0xfffffc00, v0
	s_delay_alu instid0(VALU_DEP_1)
	v_cmpx_eq_u32_e64 v1, v27
	s_cbranch_execz .LBB8_157
; %bb.156:                              ;   in Loop: Header=BB8_153 Depth=1
	v_and_b32_e32 v0, 0x7ff, v0
	s_delay_alu instid0(VALU_DEP_1)
	v_lshlrev_b32_e32 v0, 2, v0
	ds_add_u32 v0, v4 offset:9088
.LBB8_157:                              ;   in Loop: Header=BB8_153 Depth=1
	s_or_b32 exec_lo, exec_lo, s17
	v_cmp_gt_i32_e32 vcc_lo, 0, v2
	s_mov_b32 s17, exec_lo
	v_cndmask_b32_e64 v0, 0x7fffffff, 0, vcc_lo
	s_delay_alu instid0(VALU_DEP_1) | instskip(NEXT) | instid1(VALU_DEP_1)
	v_xor_b32_e32 v0, v0, v2
	v_and_b32_e32 v1, 0xfffffc00, v0
	s_delay_alu instid0(VALU_DEP_1)
	;; [unrolled: 16-line block ×3, first 2 shown]
	v_cmpx_eq_u32_e64 v1, v27
	s_cbranch_execz .LBB8_152
; %bb.160:                              ;   in Loop: Header=BB8_153 Depth=1
	v_and_b32_e32 v0, 0x7ff, v0
	s_delay_alu instid0(VALU_DEP_1)
	v_lshlrev_b32_e32 v0, 2, v0
	ds_add_u32 v0, v4 offset:9088
	s_branch .LBB8_152
.LBB8_161:
	s_or_b32 exec_lo, exec_lo, s7
	s_and_saveexec_b32 s7, s4
	s_cbranch_execz .LBB8_164
; %bb.162:
	global_load_b32 v0, v[18:19], off
	s_waitcnt vmcnt(0)
	v_cmp_gt_i32_e32 vcc_lo, 0, v0
	v_cndmask_b32_e64 v1, 0x7fffffff, 0, vcc_lo
	s_delay_alu instid0(VALU_DEP_1) | instskip(NEXT) | instid1(VALU_DEP_1)
	v_xor_b32_e32 v0, v1, v0
	v_and_b32_e32 v1, 0xfffffc00, v0
	s_waitcnt lgkmcnt(0)
	s_delay_alu instid0(VALU_DEP_1)
	v_cmp_eq_u32_e32 vcc_lo, v1, v27
	s_and_b32 exec_lo, exec_lo, vcc_lo
	s_cbranch_execz .LBB8_164
; %bb.163:
	v_dual_mov_b32 v1, 1 :: v_dual_and_b32 v0, 0x7ff, v0
	s_delay_alu instid0(VALU_DEP_1)
	v_lshlrev_b32_e32 v0, 2, v0
	ds_add_u32 v0, v1 offset:9088
.LBB8_164:
	s_or_b32 exec_lo, exec_lo, s7
	s_and_saveexec_b32 s4, s5
	s_cbranch_execz .LBB8_167
; %bb.165:
	global_load_b32 v0, v[20:21], off
	s_waitcnt vmcnt(0)
	v_cmp_gt_i32_e32 vcc_lo, 0, v0
	v_cndmask_b32_e64 v1, 0x7fffffff, 0, vcc_lo
	s_delay_alu instid0(VALU_DEP_1) | instskip(NEXT) | instid1(VALU_DEP_1)
	v_xor_b32_e32 v0, v1, v0
	v_and_b32_e32 v1, 0xfffffc00, v0
	s_waitcnt lgkmcnt(0)
	s_delay_alu instid0(VALU_DEP_1)
	v_cmp_eq_u32_e32 vcc_lo, v1, v27
	s_and_b32 exec_lo, exec_lo, vcc_lo
	s_cbranch_execz .LBB8_167
; %bb.166:
	v_dual_mov_b32 v1, 1 :: v_dual_and_b32 v0, 0x7ff, v0
	s_delay_alu instid0(VALU_DEP_1)
	v_lshlrev_b32_e32 v0, 2, v0
	ds_add_u32 v0, v1 offset:9088
.LBB8_167:
	s_or_b32 exec_lo, exec_lo, s4
	s_waitcnt lgkmcnt(0)
	s_barrier
	buffer_gl0_inv
	flat_load_b32 v0, v[12:13] glc dlc
	s_waitcnt vmcnt(0)
	flat_load_b32 v1, v[14:15] glc dlc
	s_waitcnt vmcnt(0) lgkmcnt(1)
	ds_store_b32 v28, v0
	s_waitcnt lgkmcnt(1)
	ds_store_b32 v29, v1 offset:4096
	s_waitcnt lgkmcnt(0)
	s_barrier
	buffer_gl0_inv
	ds_load_2addr_b32 v[0:1], v30 offset1:1
	s_waitcnt lgkmcnt(0)
	s_barrier
	buffer_gl0_inv
	v_add_nc_u32_e32 v2, v1, v0
	ds_store_b32 v28, v2
	s_waitcnt lgkmcnt(0)
	s_barrier
	buffer_gl0_inv
	s_and_saveexec_b32 s4, s6
	s_cbranch_execz .LBB8_169
; %bb.168:
	ds_load_2addr_b32 v[3:4], v25 offset1:1
	ds_load_2addr_b32 v[5:6], v25 offset0:2 offset1:3
	ds_load_2addr_b32 v[7:8], v25 offset0:4 offset1:5
	;; [unrolled: 1-line block ×15, first 2 shown]
	v_mbcnt_lo_u32_b32 v27, -1, 0
	s_delay_alu instid0(VALU_DEP_1) | instskip(SKIP_3) | instid1(VALU_DEP_3)
	v_and_b32_e32 v41, 15, v27
	s_waitcnt lgkmcnt(15)
	v_add_nc_u32_e32 v11, v4, v3
	v_bfe_i32 v52, v27, 4, 1
	v_cmp_ne_u32_e32 vcc_lo, 0, v41
	s_waitcnt lgkmcnt(14)
	s_delay_alu instid0(VALU_DEP_3) | instskip(SKIP_1) | instid1(VALU_DEP_1)
	v_add3_u32 v11, v11, v5, v6
	s_waitcnt lgkmcnt(13)
	v_add3_u32 v11, v11, v7, v8
	s_waitcnt lgkmcnt(12)
	s_delay_alu instid0(VALU_DEP_1) | instskip(SKIP_1) | instid1(VALU_DEP_1)
	v_add3_u32 v11, v11, v9, v10
	s_waitcnt lgkmcnt(11)
	v_add3_u32 v11, v11, v16, v17
	s_waitcnt lgkmcnt(10)
	s_delay_alu instid0(VALU_DEP_1) | instskip(SKIP_1) | instid1(VALU_DEP_1)
	;; [unrolled: 5-line block ×6, first 2 shown]
	v_add3_u32 v11, v11, v45, v46
	s_waitcnt lgkmcnt(1)
	v_add3_u32 v11, v11, v47, v48
	s_waitcnt lgkmcnt(0)
	s_delay_alu instid0(VALU_DEP_1) | instskip(NEXT) | instid1(VALU_DEP_1)
	v_add3_u32 v11, v11, v49, v50
	v_mov_b32_dpp v51, v11 row_shr:1 row_mask:0xf bank_mask:0xf
	s_delay_alu instid0(VALU_DEP_1) | instskip(SKIP_1) | instid1(VALU_DEP_2)
	v_cndmask_b32_e32 v51, 0, v51, vcc_lo
	v_cmp_lt_u32_e32 vcc_lo, 1, v41
	v_add_nc_u32_e32 v11, v51, v11
	s_delay_alu instid0(VALU_DEP_1) | instskip(NEXT) | instid1(VALU_DEP_1)
	v_mov_b32_dpp v51, v11 row_shr:2 row_mask:0xf bank_mask:0xf
	v_cndmask_b32_e32 v51, 0, v51, vcc_lo
	v_cmp_lt_u32_e32 vcc_lo, 3, v41
	s_delay_alu instid0(VALU_DEP_2) | instskip(NEXT) | instid1(VALU_DEP_1)
	v_add_nc_u32_e32 v11, v11, v51
	v_mov_b32_dpp v51, v11 row_shr:4 row_mask:0xf bank_mask:0xf
	s_delay_alu instid0(VALU_DEP_1) | instskip(SKIP_1) | instid1(VALU_DEP_2)
	v_cndmask_b32_e32 v51, 0, v51, vcc_lo
	v_cmp_lt_u32_e32 vcc_lo, 7, v41
	v_add_nc_u32_e32 v11, v11, v51
	s_delay_alu instid0(VALU_DEP_1) | instskip(NEXT) | instid1(VALU_DEP_1)
	v_mov_b32_dpp v51, v11 row_shr:8 row_mask:0xf bank_mask:0xf
	v_cndmask_b32_e32 v41, 0, v51, vcc_lo
	v_add_nc_u32_e32 v51, -1, v27
	s_delay_alu instid0(VALU_DEP_2) | instskip(NEXT) | instid1(VALU_DEP_2)
	v_add_nc_u32_e32 v11, v11, v41
	v_cmp_gt_i32_e32 vcc_lo, 0, v51
	ds_swizzle_b32 v41, v11 offset:swizzle(BROADCAST,32,15)
	v_cndmask_b32_e32 v27, v51, v27, vcc_lo
	s_delay_alu instid0(VALU_DEP_1) | instskip(SKIP_2) | instid1(VALU_DEP_1)
	v_lshlrev_b32_e32 v27, 2, v27
	s_waitcnt lgkmcnt(0)
	v_and_b32_e32 v41, v52, v41
	v_add_nc_u32_e32 v11, v11, v41
	ds_bpermute_b32 v11, v27, v11
	s_waitcnt lgkmcnt(0)
	v_add_nc_u32_e32 v3, v11, v3
	s_delay_alu instid0(VALU_DEP_1) | instskip(NEXT) | instid1(VALU_DEP_1)
	v_cndmask_b32_e64 v2, v3, v2, s2
	v_add_nc_u32_e32 v3, v2, v4
	s_delay_alu instid0(VALU_DEP_1) | instskip(NEXT) | instid1(VALU_DEP_1)
	v_add_nc_u32_e32 v4, v3, v5
	v_add_nc_u32_e32 v5, v4, v6
	s_delay_alu instid0(VALU_DEP_1) | instskip(NEXT) | instid1(VALU_DEP_1)
	v_add_nc_u32_e32 v6, v5, v7
	;; [unrolled: 3-line block ×3, first 2 shown]
	v_add_nc_u32_e32 v9, v8, v10
	ds_store_2addr_b32 v25, v2, v3 offset1:1
	ds_store_2addr_b32 v25, v4, v5 offset0:2 offset1:3
	ds_store_2addr_b32 v25, v6, v7 offset0:4 offset1:5
	;; [unrolled: 1-line block ×3, first 2 shown]
	v_add_nc_u32_e32 v10, v9, v16
	s_delay_alu instid0(VALU_DEP_1) | instskip(NEXT) | instid1(VALU_DEP_1)
	v_add_nc_u32_e32 v11, v10, v17
	v_add_nc_u32_e32 v16, v11, v18
	s_delay_alu instid0(VALU_DEP_1) | instskip(NEXT) | instid1(VALU_DEP_1)
	v_add_nc_u32_e32 v17, v16, v19
	;; [unrolled: 3-line block ×3, first 2 shown]
	v_add_nc_u32_e32 v20, v19, v23
	s_delay_alu instid0(VALU_DEP_1)
	v_add_nc_u32_e32 v21, v20, v24
	ds_store_2addr_b32 v25, v10, v11 offset0:8 offset1:9
	ds_store_2addr_b32 v25, v16, v17 offset0:10 offset1:11
	;; [unrolled: 1-line block ×4, first 2 shown]
	v_add_nc_u32_e32 v23, v21, v32
	s_delay_alu instid0(VALU_DEP_1) | instskip(NEXT) | instid1(VALU_DEP_1)
	v_add_nc_u32_e32 v24, v23, v33
	v_add_nc_u32_e32 v27, v24, v34
	s_delay_alu instid0(VALU_DEP_1) | instskip(NEXT) | instid1(VALU_DEP_1)
	v_add_nc_u32_e32 v32, v27, v35
	;; [unrolled: 3-line block ×7, first 2 shown]
	v_add_nc_u32_e32 v2, v44, v49
	s_delay_alu instid0(VALU_DEP_1)
	v_add_nc_u32_e32 v3, v2, v50
	ds_store_2addr_b32 v25, v23, v24 offset0:16 offset1:17
	ds_store_2addr_b32 v25, v27, v32 offset0:18 offset1:19
	;; [unrolled: 1-line block ×8, first 2 shown]
.LBB8_169:
	s_or_b32 exec_lo, exec_lo, s4
	v_dual_mov_b32 v2, 0 :: v_dual_mov_b32 v3, 0
	s_waitcnt lgkmcnt(0)
	s_barrier
	buffer_gl0_inv
	s_and_saveexec_b32 s4, s3
	s_cbranch_execz .LBB8_171
; %bb.170:
	ds_load_b32 v3, v31
.LBB8_171:
	s_or_b32 exec_lo, exec_lo, s4
	s_waitcnt lgkmcnt(0)
	v_add_nc_u32_e32 v0, v3, v0
	s_barrier
	buffer_gl0_inv
	s_mov_b32 s4, 0
	v_add_nc_u32_e32 v1, v0, v1
	ds_store_2addr_b32 v30, v0, v1 offset1:1
	s_waitcnt lgkmcnt(0)
	s_barrier
	buffer_gl0_inv
	ds_load_b32 v0, v28
	ds_load_b32 v1, v29 offset:4096
	s_waitcnt lgkmcnt(1)
	flat_store_b32 v[12:13], v0 dlc
	s_waitcnt_vscnt null, 0x0
	s_waitcnt lgkmcnt(1)
	flat_store_b32 v[14:15], v1 dlc
	s_waitcnt_vscnt null, 0x0
	v_mov_b32_e32 v1, v40
	s_waitcnt lgkmcnt(0)
	s_barrier
	buffer_gl0_inv
	ds_load_b32 v0, v2 offset:12
	s_set_inst_prefetch_distance 0x1
	s_branch .LBB8_173
	.p2align	6
.LBB8_172:                              ;   in Loop: Header=BB8_173 Depth=1
	s_or_b32 exec_lo, exec_lo, s3
	v_add_nc_u32_e32 v1, s24, v1
	v_add_nc_u32_e32 v26, s25, v26
	s_delay_alu instid0(VALU_DEP_2) | instskip(SKIP_1) | instid1(SALU_CYCLE_1)
	v_cmp_lt_u32_e32 vcc_lo, 0x7ff, v1
	s_or_b32 s4, vcc_lo, s4
	s_and_not1_b32 exec_lo, exec_lo, s4
	s_cbranch_execz .LBB8_177
.LBB8_173:                              ; =>This Inner Loop Header: Depth=1
	v_mov_b32_e32 v3, 0
	s_mov_b32 s3, exec_lo
	v_cmpx_ne_u32_e32 0, v1
	s_cbranch_execz .LBB8_175
; %bb.174:                              ;   in Loop: Header=BB8_173 Depth=1
	ds_load_b32 v3, v26
.LBB8_175:                              ;   in Loop: Header=BB8_173 Depth=1
	s_or_b32 exec_lo, exec_lo, s3
	ds_load_b32 v4, v26 offset:4
	s_waitcnt lgkmcnt(1)
	v_cmp_gt_i32_e32 vcc_lo, v22, v3
	s_waitcnt lgkmcnt(0)
	v_cmp_ge_i32_e64 s3, v4, v22
	s_delay_alu instid0(VALU_DEP_1) | instskip(NEXT) | instid1(SALU_CYCLE_1)
	s_and_b32 s5, vcc_lo, s3
	s_and_saveexec_b32 s3, s5
	s_cbranch_execz .LBB8_172
; %bb.176:                              ;   in Loop: Header=BB8_173 Depth=1
	v_sub_nc_u32_e32 v5, v22, v3
	v_sub_nc_u32_e32 v6, v4, v3
	v_or_b32_e32 v0, v0, v1
	ds_store_b64 v2, v[5:6]
	ds_store_b32 v2, v0 offset:12
	s_branch .LBB8_172
.LBB8_177:
	s_set_inst_prefetch_distance 0x2
	s_or_b32 exec_lo, exec_lo, s4
	s_and_saveexec_b32 s3, s2
	s_cbranch_execz .LBB8_179
; %bb.178:
	v_mov_b32_e32 v0, 0
	ds_load_b32 v1, v0 offset:4
	s_waitcnt lgkmcnt(0)
	ds_store_b32 v0, v1 offset:8
.LBB8_179:
	s_or_b32 exec_lo, exec_lo, s3
	s_mov_b32 s37, 2
	s_waitcnt lgkmcnt(0)
	s_barrier
	buffer_gl0_inv
.LBB8_180:
	s_lshl_b64 s[24:25], s[12:13], 2
	v_dual_mov_b32 v31, v40 :: v_dual_mov_b32 v0, s29
	s_add_u32 s2, s20, s24
	s_addc_u32 s3, s21, s25
	s_add_u32 s4, s22, s24
	s_addc_u32 s5, s23, s25
	;; [unrolled: 2-line block ×3, first 2 shown]
	s_cmp_lg_u64 s[10:11], 0
	v_dual_mov_b32 v5, s3 :: v_dual_mov_b32 v6, s4
	s_cselect_b32 s6, s6, 0
	s_cselect_b32 s7, s7, 0
	v_dual_mov_b32 v1, s28 :: v_dual_mov_b32 v2, s6
	v_dual_mov_b32 v3, s7 :: v_dual_mov_b32 v4, s2
	;; [unrolled: 1-line block ×4, first 2 shown]
	s_add_u32 s8, s0, 0x58
	s_addc_u32 s9, s1, 0
	s_mov_b32 s12, s18
	s_getpc_b64 s[0:1]
	s_add_u32 s0, s0, _ZN5aiter2ob11last_filterIfiLi11ELb1ELb0EEEvPKT_PKT0_PS2_PS5_S5_S5_PNS0_7CounterIS2_S5_EEbib@rel32@lo+4
	s_addc_u32 s1, s1, _ZN5aiter2ob11last_filterIfiLi11ELb1ELb0EEEvPKT_PKT0_PS2_PS5_S5_S5_PNS0_7CounterIS2_S5_EEbib@rel32@hi+12
	s_delay_alu instid0(SALU_CYCLE_1)
	s_swappc_b64 s[30:31], s[0:1]
	s_cmp_eq_u32 s19, 0
	s_cbranch_scc1 .LBB8_184
; %bb.181:
	s_waitcnt_vscnt null, 0x0
	s_barrier
	buffer_gl0_inv
	s_mov_b32 s0, exec_lo
	v_cmpx_gt_i32_e64 s26, v40
	s_cbranch_execz .LBB8_184
; %bb.182:
	s_add_u32 s0, s22, s24
	s_addc_u32 s1, s23, s25
	v_add_co_u32 v0, s0, s0, v42
	s_delay_alu instid0(VALU_DEP_1)
	v_add_co_ci_u32_e64 v1, null, s1, 0, s0
	s_mov_b32 s1, 0
.LBB8_183:                              ; =>This Inner Loop Header: Depth=1
	global_load_b32 v2, v[0:1], off
	v_add_nc_u32_e32 v40, 0x400, v40
	s_delay_alu instid0(VALU_DEP_1)
	v_cmp_le_i32_e32 vcc_lo, s26, v40
	s_or_b32 s1, vcc_lo, s1
	s_waitcnt vmcnt(0)
	v_add_nc_u32_e32 v2, s19, v2
	global_store_b32 v[0:1], v2, off
	v_add_co_u32 v0, s0, 0x1000, v0
	s_delay_alu instid0(VALU_DEP_1)
	v_add_co_ci_u32_e64 v1, s0, 0, v1, s0
	s_and_not1_b32 exec_lo, exec_lo, s1
	s_cbranch_execnz .LBB8_183
.LBB8_184:
	s_endpgm
	.section	.rodata,"a",@progbits
	.p2align	6, 0x0
	.amdhsa_kernel _ZN5aiter2ob27radix_topk_one_block_kernelIfiLi11ELi1024ELb1ELb0ELNS0_5PhaseE0EEEvPKT_PKT0_lS8_S8_S6_PS3_PS6_bPci
		.amdhsa_group_segment_fixed_size 17280
		.amdhsa_private_segment_fixed_size 0
		.amdhsa_kernarg_size 344
		.amdhsa_user_sgpr_count 15
		.amdhsa_user_sgpr_dispatch_ptr 0
		.amdhsa_user_sgpr_queue_ptr 0
		.amdhsa_user_sgpr_kernarg_segment_ptr 1
		.amdhsa_user_sgpr_dispatch_id 0
		.amdhsa_user_sgpr_private_segment_size 0
		.amdhsa_wavefront_size32 1
		.amdhsa_uses_dynamic_stack 0
		.amdhsa_enable_private_segment 0
		.amdhsa_system_sgpr_workgroup_id_x 1
		.amdhsa_system_sgpr_workgroup_id_y 0
		.amdhsa_system_sgpr_workgroup_id_z 0
		.amdhsa_system_sgpr_workgroup_info 0
		.amdhsa_system_vgpr_workitem_id 0
		.amdhsa_next_free_vgpr 72
		.amdhsa_next_free_sgpr 40
		.amdhsa_reserve_vcc 1
		.amdhsa_float_round_mode_32 0
		.amdhsa_float_round_mode_16_64 0
		.amdhsa_float_denorm_mode_32 3
		.amdhsa_float_denorm_mode_16_64 3
		.amdhsa_dx10_clamp 1
		.amdhsa_ieee_mode 1
		.amdhsa_fp16_overflow 0
		.amdhsa_workgroup_processor_mode 1
		.amdhsa_memory_ordered 1
		.amdhsa_forward_progress 0
		.amdhsa_shared_vgpr_count 0
		.amdhsa_exception_fp_ieee_invalid_op 0
		.amdhsa_exception_fp_denorm_src 0
		.amdhsa_exception_fp_ieee_div_zero 0
		.amdhsa_exception_fp_ieee_overflow 0
		.amdhsa_exception_fp_ieee_underflow 0
		.amdhsa_exception_fp_ieee_inexact 0
		.amdhsa_exception_int_div_zero 0
	.end_amdhsa_kernel
	.section	.text._ZN5aiter2ob27radix_topk_one_block_kernelIfiLi11ELi1024ELb1ELb0ELNS0_5PhaseE0EEEvPKT_PKT0_lS8_S8_S6_PS3_PS6_bPci,"axG",@progbits,_ZN5aiter2ob27radix_topk_one_block_kernelIfiLi11ELi1024ELb1ELb0ELNS0_5PhaseE0EEEvPKT_PKT0_lS8_S8_S6_PS3_PS6_bPci,comdat
.Lfunc_end8:
	.size	_ZN5aiter2ob27radix_topk_one_block_kernelIfiLi11ELi1024ELb1ELb0ELNS0_5PhaseE0EEEvPKT_PKT0_lS8_S8_S6_PS3_PS6_bPci, .Lfunc_end8-_ZN5aiter2ob27radix_topk_one_block_kernelIfiLi11ELi1024ELb1ELb0ELNS0_5PhaseE0EEEvPKT_PKT0_lS8_S8_S6_PS3_PS6_bPci
                                        ; -- End function
	.section	.AMDGPU.csdata,"",@progbits
; Kernel info:
; codeLenInByte = 11508
; NumSgprs: 42
; NumVgprs: 72
; ScratchSize: 0
; MemoryBound: 0
; FloatMode: 240
; IeeeMode: 1
; LDSByteSize: 17280 bytes/workgroup (compile time only)
; SGPRBlocks: 5
; VGPRBlocks: 8
; NumSGPRsForWavesPerEU: 42
; NumVGPRsForWavesPerEU: 72
; Occupancy: 16
; WaveLimiterHint : 0
; COMPUTE_PGM_RSRC2:SCRATCH_EN: 0
; COMPUTE_PGM_RSRC2:USER_SGPR: 15
; COMPUTE_PGM_RSRC2:TRAP_HANDLER: 0
; COMPUTE_PGM_RSRC2:TGID_X_EN: 1
; COMPUTE_PGM_RSRC2:TGID_Y_EN: 0
; COMPUTE_PGM_RSRC2:TGID_Z_EN: 0
; COMPUTE_PGM_RSRC2:TIDIG_COMP_CNT: 0
	.text
	.p2align	2                               ; -- Begin function _ZN5aiter2ob11last_filterIfiLi12ELb0ELb0EEEvPKT_PKT0_PS2_PS5_S5_S5_PNS0_7CounterIS2_S5_EEbib
	.type	_ZN5aiter2ob11last_filterIfiLi12ELb0ELb0EEEvPKT_PKT0_PS2_PS5_S5_S5_PNS0_7CounterIS2_S5_EEbib,@function
_ZN5aiter2ob11last_filterIfiLi12ELb0ELb0EEEvPKT_PKT0_PS2_PS5_S5_S5_PNS0_7CounterIS2_S5_EEbib: ; @_ZN5aiter2ob11last_filterIfiLi12ELb0ELb0EEEvPKT_PKT0_PS2_PS5_S5_S5_PNS0_7CounterIS2_S5_EEbib
; %bb.0:
	s_waitcnt vmcnt(0) expcnt(0) lgkmcnt(0)
	s_clause 0x1
	flat_load_b32 v33, v[8:9] offset:12
	flat_load_b32 v32, v[8:9]
	v_mad_u64_u32 v[11:12], null, v10, -12, 20
	v_and_b32_e32 v22, 0x3ff, v31
	s_mov_b32 s0, exec_lo
	s_delay_alu instid0(VALU_DEP_2)
	v_max_i32_e32 v15, 0, v11
	v_cmpx_ne_u64_e32 0, v[2:3]
	s_xor_b32 s1, exec_lo, s0
	s_cbranch_execnz .LBB9_3
; %bb.1:
	s_and_not1_saveexec_b32 s0, s1
	s_cbranch_execnz .LBB9_101
.LBB9_2:
	s_or_b32 exec_lo, exec_lo, s0
	s_waitcnt vmcnt(0) lgkmcnt(0)
	s_setpc_b64 s[30:31]
.LBB9_3:
	s_load_b32 s0, s[8:9], 0x0
	v_dual_mov_b32 v11, 0 :: v_dual_and_b32 v10, 0x3ff, v31
	s_waitcnt lgkmcnt(0)
	s_cmp_lt_u32 s12, s0
	s_cselect_b32 s0, 12, 18
	s_delay_alu instid0(SALU_CYCLE_1)
	s_add_u32 s2, s8, s0
	s_addc_u32 s3, s9, 0
	s_mov_b32 s0, exec_lo
	global_load_u16 v12, v11, s[2:3]
	s_waitcnt vmcnt(0)
	v_mul_lo_u32 v16, v12, 7
	v_readfirstlane_b32 s2, v12
	s_delay_alu instid0(VALU_DEP_2) | instskip(NEXT) | instid1(VALU_DEP_1)
	v_add_nc_u32_e32 v13, v10, v16
	v_cmpx_lt_i32_e64 v13, v6
	s_cbranch_execz .LBB9_87
; %bb.4:
	s_delay_alu instid0(VALU_DEP_3)
	s_lshl_b32 s3, s2, 1
	v_lshlrev_b32_e64 v17, v15, -1
	s_add_i32 s10, s3, s2
	v_mov_b32_e32 v18, 1
	s_add_i32 s10, s10, s2
	s_mul_i32 s4, s2, 3
	s_add_i32 s11, s10, s2
	s_lshl_b32 s5, s2, 2
	s_mul_i32 s6, s2, 5
	s_mul_i32 s7, s2, 6
	s_mov_b32 s10, 0
	s_add_i32 s11, s11, s2
	s_branch .LBB9_6
.LBB9_5:                                ;   in Loop: Header=BB9_6 Depth=1
	s_or_b32 exec_lo, exec_lo, s13
	v_add3_u32 v10, s11, s2, v12
	s_delay_alu instid0(VALU_DEP_1) | instskip(NEXT) | instid1(VALU_DEP_1)
	v_add_nc_u32_e32 v12, v16, v10
	v_cmp_ge_i32_e32 vcc_lo, v12, v6
	s_or_b32 s10, vcc_lo, s10
	s_delay_alu instid0(SALU_CYCLE_1)
	s_and_not1_b32 exec_lo, exec_lo, s10
	s_cbranch_execz .LBB9_86
.LBB9_6:                                ; =>This Inner Loop Header: Depth=1
	v_dual_mov_b32 v21, v11 :: v_dual_add_nc_u32 v20, s3, v10
	s_waitcnt vmcnt(0) lgkmcnt(0)
	v_dual_mov_b32 v13, v11 :: v_dual_add_nc_u32 v12, s2, v10
	v_lshlrev_b64 v[34:35], 2, v[10:11]
	v_add_nc_u32_e32 v19, v16, v10
	v_lshlrev_b64 v[36:37], 2, v[20:21]
	v_add_nc_u32_e32 v20, s4, v10
	v_lshlrev_b64 v[13:14], 2, v[12:13]
	s_mov_b32 s14, 0
	v_add_co_u32 v22, vcc_lo, v0, v34
	s_delay_alu instid0(VALU_DEP_3) | instskip(SKIP_3) | instid1(VALU_DEP_3)
	v_lshlrev_b64 v[38:39], 2, v[20:21]
	v_add_nc_u32_e32 v20, s5, v10
	v_add_co_ci_u32_e32 v23, vcc_lo, v1, v35, vcc_lo
	v_add_co_u32 v24, vcc_lo, v0, v13
	v_lshlrev_b64 v[48:49], 2, v[20:21]
	v_add_nc_u32_e32 v20, s6, v10
	v_add_co_ci_u32_e32 v25, vcc_lo, v1, v14, vcc_lo
	v_add_co_u32 v26, vcc_lo, v0, v36
	v_add_nc_u32_e32 v10, s7, v10
	v_add_co_ci_u32_e32 v27, vcc_lo, v1, v37, vcc_lo
	v_add_co_u32 v50, vcc_lo, v0, v38
	v_lshlrev_b64 v[52:53], 2, v[20:21]
	v_mov_b32_e32 v20, v11
	v_add_co_ci_u32_e32 v51, vcc_lo, v1, v39, vcc_lo
	v_add_co_u32 v54, vcc_lo, v0, v48
	v_lshlrev_b64 v[64:65], 2, v[10:11]
	v_add_co_ci_u32_e32 v55, vcc_lo, v1, v49, vcc_lo
	v_add_co_u32 v66, vcc_lo, v0, v52
	v_lshlrev_b64 v[68:69], 2, v[19:20]
	v_add_co_ci_u32_e32 v67, vcc_lo, v1, v53, vcc_lo
	v_add_co_u32 v19, vcc_lo, v0, v64
	v_add_co_ci_u32_e32 v20, vcc_lo, v1, v65, vcc_lo
	s_delay_alu instid0(VALU_DEP_4)
	v_add_co_u32 v70, vcc_lo, v0, v68
	v_add_co_ci_u32_e32 v71, vcc_lo, v1, v69, vcc_lo
	v_add_co_u32 v34, vcc_lo, v2, v34
	v_add_co_ci_u32_e32 v35, vcc_lo, v3, v35, vcc_lo
	v_add_co_u32 v13, vcc_lo, v2, v13
	v_add_co_ci_u32_e32 v14, vcc_lo, v3, v14, vcc_lo
	v_add_co_u32 v36, vcc_lo, v2, v36
	v_add_co_ci_u32_e32 v37, vcc_lo, v3, v37, vcc_lo
	v_add_co_u32 v38, vcc_lo, v2, v38
	v_add_co_ci_u32_e32 v39, vcc_lo, v3, v39, vcc_lo
	v_add_co_u32 v48, vcc_lo, v2, v48
	v_add_co_ci_u32_e32 v49, vcc_lo, v3, v49, vcc_lo
	s_clause 0x7
	flat_load_b32 v80, v[22:23]
	flat_load_b32 v31, v[24:25]
	;; [unrolled: 1-line block ×8, first 2 shown]
	v_add_co_u32 v50, vcc_lo, v2, v52
	v_add_co_ci_u32_e32 v51, vcc_lo, v3, v53, vcc_lo
	v_add_co_u32 v52, vcc_lo, v2, v64
	v_add_co_ci_u32_e32 v53, vcc_lo, v3, v65, vcc_lo
	;; [unrolled: 2-line block ×3, first 2 shown]
	s_clause 0x7
	flat_load_b32 v34, v[34:35]
	flat_load_b32 v30, v[13:14]
	;; [unrolled: 1-line block ×8, first 2 shown]
	s_mov_b32 s13, exec_lo
	s_waitcnt vmcnt(15) lgkmcnt(15)
	v_cmp_gt_i32_e32 vcc_lo, 0, v80
	v_cndmask_b32_e64 v13, 0x7fffffff, 0, vcc_lo
	s_delay_alu instid0(VALU_DEP_1) | instskip(NEXT) | instid1(VALU_DEP_1)
	v_xor_b32_e32 v13, v13, v80
	v_and_b32_e32 v14, v13, v17
                                        ; implicit-def: $vgpr13
	s_delay_alu instid0(VALU_DEP_1)
	v_cmpx_ge_u32_e64 v14, v33
	s_xor_b32 s13, exec_lo, s13
	s_cbranch_execnz .LBB9_37
; %bb.7:                                ;   in Loop: Header=BB9_6 Depth=1
	s_and_not1_saveexec_b32 s13, s13
	s_cbranch_execnz .LBB9_42
.LBB9_8:                                ;   in Loop: Header=BB9_6 Depth=1
	s_or_b32 exec_lo, exec_lo, s13
	s_and_saveexec_b32 s13, s14
	s_cbranch_execz .LBB9_10
.LBB9_9:                                ;   in Loop: Header=BB9_6 Depth=1
	s_waitcnt vmcnt(0) lgkmcnt(0)
	v_ashrrev_i32_e32 v14, 31, v13
	s_delay_alu instid0(VALU_DEP_1) | instskip(NEXT) | instid1(VALU_DEP_1)
	v_lshlrev_b64 v[13:14], 2, v[13:14]
	v_add_co_u32 v13, vcc_lo, v4, v13
	s_delay_alu instid0(VALU_DEP_2)
	v_add_co_ci_u32_e32 v14, vcc_lo, v5, v14, vcc_lo
	flat_store_b32 v[13:14], v34
.LBB9_10:                               ;   in Loop: Header=BB9_6 Depth=1
	s_or_b32 exec_lo, exec_lo, s13
	s_waitcnt vmcnt(14) lgkmcnt(14)
	v_cmp_gt_i32_e32 vcc_lo, 0, v31
	s_mov_b32 s14, 0
	s_mov_b32 s13, exec_lo
	s_waitcnt vmcnt(0) lgkmcnt(0)
	v_cndmask_b32_e64 v13, 0x7fffffff, 0, vcc_lo
	s_delay_alu instid0(VALU_DEP_1) | instskip(NEXT) | instid1(VALU_DEP_1)
	v_xor_b32_e32 v13, v13, v31
	v_and_b32_e32 v14, v13, v17
                                        ; implicit-def: $vgpr13
	s_delay_alu instid0(VALU_DEP_1)
	v_cmpx_ge_u32_e64 v14, v33
	s_xor_b32 s13, exec_lo, s13
	s_cbranch_execnz .LBB9_43
; %bb.11:                               ;   in Loop: Header=BB9_6 Depth=1
	s_and_not1_saveexec_b32 s13, s13
	s_cbranch_execnz .LBB9_48
.LBB9_12:                               ;   in Loop: Header=BB9_6 Depth=1
	s_or_b32 exec_lo, exec_lo, s13
	s_and_saveexec_b32 s13, s14
	s_cbranch_execz .LBB9_14
.LBB9_13:                               ;   in Loop: Header=BB9_6 Depth=1
	s_waitcnt vmcnt(0) lgkmcnt(0)
	v_ashrrev_i32_e32 v14, 31, v13
	s_delay_alu instid0(VALU_DEP_1) | instskip(NEXT) | instid1(VALU_DEP_1)
	v_lshlrev_b64 v[13:14], 2, v[13:14]
	v_add_co_u32 v13, vcc_lo, v4, v13
	s_delay_alu instid0(VALU_DEP_2)
	v_add_co_ci_u32_e32 v14, vcc_lo, v5, v14, vcc_lo
	flat_store_b32 v[13:14], v30
.LBB9_14:                               ;   in Loop: Header=BB9_6 Depth=1
	s_or_b32 exec_lo, exec_lo, s13
	v_cmp_gt_i32_e32 vcc_lo, 0, v29
	s_mov_b32 s14, 0
	s_mov_b32 s13, exec_lo
	s_waitcnt vmcnt(0) lgkmcnt(0)
	v_cndmask_b32_e64 v13, 0x7fffffff, 0, vcc_lo
	s_delay_alu instid0(VALU_DEP_1) | instskip(NEXT) | instid1(VALU_DEP_1)
	v_xor_b32_e32 v13, v13, v29
	v_and_b32_e32 v14, v13, v17
                                        ; implicit-def: $vgpr13
	s_delay_alu instid0(VALU_DEP_1)
	v_cmpx_ge_u32_e64 v14, v33
	s_xor_b32 s13, exec_lo, s13
	s_cbranch_execnz .LBB9_49
; %bb.15:                               ;   in Loop: Header=BB9_6 Depth=1
	s_and_not1_saveexec_b32 s13, s13
	s_cbranch_execnz .LBB9_54
.LBB9_16:                               ;   in Loop: Header=BB9_6 Depth=1
	s_or_b32 exec_lo, exec_lo, s13
	s_and_saveexec_b32 s13, s14
	s_cbranch_execz .LBB9_18
.LBB9_17:                               ;   in Loop: Header=BB9_6 Depth=1
	s_waitcnt vmcnt(0) lgkmcnt(0)
	v_ashrrev_i32_e32 v14, 31, v13
	s_delay_alu instid0(VALU_DEP_1) | instskip(NEXT) | instid1(VALU_DEP_1)
	v_lshlrev_b64 v[13:14], 2, v[13:14]
	v_add_co_u32 v13, vcc_lo, v4, v13
	s_delay_alu instid0(VALU_DEP_2)
	v_add_co_ci_u32_e32 v14, vcc_lo, v5, v14, vcc_lo
	flat_store_b32 v[13:14], v28
.LBB9_18:                               ;   in Loop: Header=BB9_6 Depth=1
	s_or_b32 exec_lo, exec_lo, s13
	v_cmp_gt_i32_e32 vcc_lo, 0, v27
	s_mov_b32 s14, 0
	s_mov_b32 s13, exec_lo
	s_waitcnt vmcnt(0) lgkmcnt(0)
	v_cndmask_b32_e64 v13, 0x7fffffff, 0, vcc_lo
	s_delay_alu instid0(VALU_DEP_1) | instskip(NEXT) | instid1(VALU_DEP_1)
	v_xor_b32_e32 v13, v13, v27
	v_and_b32_e32 v14, v13, v17
                                        ; implicit-def: $vgpr13
	s_delay_alu instid0(VALU_DEP_1)
	v_cmpx_ge_u32_e64 v14, v33
	s_xor_b32 s13, exec_lo, s13
	s_cbranch_execnz .LBB9_55
; %bb.19:                               ;   in Loop: Header=BB9_6 Depth=1
	s_and_not1_saveexec_b32 s13, s13
	s_cbranch_execnz .LBB9_60
.LBB9_20:                               ;   in Loop: Header=BB9_6 Depth=1
	s_or_b32 exec_lo, exec_lo, s13
	s_and_saveexec_b32 s13, s14
	s_cbranch_execz .LBB9_22
.LBB9_21:                               ;   in Loop: Header=BB9_6 Depth=1
	s_waitcnt vmcnt(0) lgkmcnt(0)
	v_ashrrev_i32_e32 v14, 31, v13
	s_delay_alu instid0(VALU_DEP_1) | instskip(NEXT) | instid1(VALU_DEP_1)
	v_lshlrev_b64 v[13:14], 2, v[13:14]
	v_add_co_u32 v13, vcc_lo, v4, v13
	s_delay_alu instid0(VALU_DEP_2)
	v_add_co_ci_u32_e32 v14, vcc_lo, v5, v14, vcc_lo
	flat_store_b32 v[13:14], v26
.LBB9_22:                               ;   in Loop: Header=BB9_6 Depth=1
	s_or_b32 exec_lo, exec_lo, s13
	v_cmp_gt_i32_e32 vcc_lo, 0, v25
	s_mov_b32 s14, 0
	s_mov_b32 s13, exec_lo
	s_waitcnt vmcnt(0) lgkmcnt(0)
	v_cndmask_b32_e64 v13, 0x7fffffff, 0, vcc_lo
	s_delay_alu instid0(VALU_DEP_1) | instskip(NEXT) | instid1(VALU_DEP_1)
	v_xor_b32_e32 v13, v13, v25
	v_and_b32_e32 v14, v13, v17
                                        ; implicit-def: $vgpr13
	s_delay_alu instid0(VALU_DEP_1)
	v_cmpx_ge_u32_e64 v14, v33
	s_xor_b32 s13, exec_lo, s13
	s_cbranch_execnz .LBB9_61
; %bb.23:                               ;   in Loop: Header=BB9_6 Depth=1
	s_and_not1_saveexec_b32 s13, s13
	s_cbranch_execnz .LBB9_66
.LBB9_24:                               ;   in Loop: Header=BB9_6 Depth=1
	s_or_b32 exec_lo, exec_lo, s13
	s_and_saveexec_b32 s13, s14
	s_cbranch_execz .LBB9_26
.LBB9_25:                               ;   in Loop: Header=BB9_6 Depth=1
	s_waitcnt vmcnt(0) lgkmcnt(0)
	v_ashrrev_i32_e32 v14, 31, v13
	s_delay_alu instid0(VALU_DEP_1) | instskip(NEXT) | instid1(VALU_DEP_1)
	v_lshlrev_b64 v[13:14], 2, v[13:14]
	v_add_co_u32 v13, vcc_lo, v4, v13
	s_delay_alu instid0(VALU_DEP_2)
	v_add_co_ci_u32_e32 v14, vcc_lo, v5, v14, vcc_lo
	flat_store_b32 v[13:14], v24
.LBB9_26:                               ;   in Loop: Header=BB9_6 Depth=1
	s_or_b32 exec_lo, exec_lo, s13
	v_cmp_gt_i32_e32 vcc_lo, 0, v23
	s_mov_b32 s14, 0
	s_mov_b32 s13, exec_lo
	s_waitcnt vmcnt(0) lgkmcnt(0)
	v_cndmask_b32_e64 v13, 0x7fffffff, 0, vcc_lo
	s_delay_alu instid0(VALU_DEP_1) | instskip(NEXT) | instid1(VALU_DEP_1)
	v_xor_b32_e32 v13, v13, v23
	v_and_b32_e32 v14, v13, v17
                                        ; implicit-def: $vgpr13
	s_delay_alu instid0(VALU_DEP_1)
	v_cmpx_ge_u32_e64 v14, v33
	s_xor_b32 s13, exec_lo, s13
	s_cbranch_execnz .LBB9_67
; %bb.27:                               ;   in Loop: Header=BB9_6 Depth=1
	s_and_not1_saveexec_b32 s13, s13
	s_cbranch_execnz .LBB9_72
.LBB9_28:                               ;   in Loop: Header=BB9_6 Depth=1
	s_or_b32 exec_lo, exec_lo, s13
	s_and_saveexec_b32 s13, s14
	s_cbranch_execz .LBB9_30
.LBB9_29:                               ;   in Loop: Header=BB9_6 Depth=1
	s_waitcnt vmcnt(0) lgkmcnt(0)
	v_ashrrev_i32_e32 v14, 31, v13
	s_delay_alu instid0(VALU_DEP_1) | instskip(NEXT) | instid1(VALU_DEP_1)
	v_lshlrev_b64 v[13:14], 2, v[13:14]
	v_add_co_u32 v13, vcc_lo, v4, v13
	s_delay_alu instid0(VALU_DEP_2)
	v_add_co_ci_u32_e32 v14, vcc_lo, v5, v14, vcc_lo
	flat_store_b32 v[13:14], v22
.LBB9_30:                               ;   in Loop: Header=BB9_6 Depth=1
	s_or_b32 exec_lo, exec_lo, s13
	v_cmp_gt_i32_e32 vcc_lo, 0, v21
	s_mov_b32 s14, 0
	s_mov_b32 s13, exec_lo
	s_waitcnt vmcnt(0) lgkmcnt(0)
	v_cndmask_b32_e64 v13, 0x7fffffff, 0, vcc_lo
	s_delay_alu instid0(VALU_DEP_1) | instskip(NEXT) | instid1(VALU_DEP_1)
	v_xor_b32_e32 v13, v13, v21
	v_and_b32_e32 v14, v13, v17
                                        ; implicit-def: $vgpr13
	s_delay_alu instid0(VALU_DEP_1)
	v_cmpx_ge_u32_e64 v14, v33
	s_xor_b32 s13, exec_lo, s13
	s_cbranch_execnz .LBB9_73
; %bb.31:                               ;   in Loop: Header=BB9_6 Depth=1
	s_and_not1_saveexec_b32 s13, s13
	s_cbranch_execnz .LBB9_78
.LBB9_32:                               ;   in Loop: Header=BB9_6 Depth=1
	s_or_b32 exec_lo, exec_lo, s13
	s_and_saveexec_b32 s13, s14
	s_cbranch_execz .LBB9_34
.LBB9_33:                               ;   in Loop: Header=BB9_6 Depth=1
	s_waitcnt vmcnt(0) lgkmcnt(0)
	v_ashrrev_i32_e32 v14, 31, v13
	s_delay_alu instid0(VALU_DEP_1) | instskip(NEXT) | instid1(VALU_DEP_1)
	v_lshlrev_b64 v[13:14], 2, v[13:14]
	v_add_co_u32 v13, vcc_lo, v4, v13
	s_delay_alu instid0(VALU_DEP_2)
	v_add_co_ci_u32_e32 v14, vcc_lo, v5, v14, vcc_lo
	flat_store_b32 v[13:14], v20
.LBB9_34:                               ;   in Loop: Header=BB9_6 Depth=1
	s_or_b32 exec_lo, exec_lo, s13
	v_cmp_gt_i32_e32 vcc_lo, 0, v19
	s_mov_b32 s14, 0
	s_mov_b32 s13, exec_lo
	s_waitcnt vmcnt(0) lgkmcnt(0)
	v_cndmask_b32_e64 v13, 0x7fffffff, 0, vcc_lo
	s_delay_alu instid0(VALU_DEP_1) | instskip(NEXT) | instid1(VALU_DEP_1)
	v_xor_b32_e32 v13, v13, v19
	v_and_b32_e32 v14, v13, v17
                                        ; implicit-def: $vgpr13
	s_delay_alu instid0(VALU_DEP_1)
	v_cmpx_ge_u32_e64 v14, v33
	s_xor_b32 s13, exec_lo, s13
	s_cbranch_execnz .LBB9_79
; %bb.35:                               ;   in Loop: Header=BB9_6 Depth=1
	s_and_not1_saveexec_b32 s13, s13
	s_cbranch_execnz .LBB9_84
.LBB9_36:                               ;   in Loop: Header=BB9_6 Depth=1
	s_or_b32 exec_lo, exec_lo, s13
	s_and_saveexec_b32 s13, s14
	s_cbranch_execz .LBB9_5
	s_branch .LBB9_85
.LBB9_37:                               ;   in Loop: Header=BB9_6 Depth=1
	s_mov_b32 s15, 0
	s_mov_b32 s14, exec_lo
                                        ; implicit-def: $vgpr13
	v_cmpx_eq_u32_e64 v14, v33
	s_cbranch_execz .LBB9_41
; %bb.38:                               ;   in Loop: Header=BB9_6 Depth=1
	flat_atomic_add_u32 v14, v[8:9], v18 offset:512 glc
	s_mov_b32 s16, exec_lo
                                        ; implicit-def: $vgpr13
	s_waitcnt vmcnt(0) lgkmcnt(0)
	v_cmpx_lt_i32_e64 v14, v32
	s_xor_b32 s16, exec_lo, s16
; %bb.39:                               ;   in Loop: Header=BB9_6 Depth=1
	v_xad_u32 v13, v14, -1, v7
	s_mov_b32 s15, exec_lo
; %bb.40:                               ;   in Loop: Header=BB9_6 Depth=1
	s_or_b32 exec_lo, exec_lo, s16
	s_delay_alu instid0(SALU_CYCLE_1)
	s_and_b32 s15, s15, exec_lo
.LBB9_41:                               ;   in Loop: Header=BB9_6 Depth=1
	s_or_b32 exec_lo, exec_lo, s14
	s_delay_alu instid0(SALU_CYCLE_1)
	s_and_b32 s14, s15, exec_lo
	s_and_not1_saveexec_b32 s13, s13
	s_cbranch_execz .LBB9_8
.LBB9_42:                               ;   in Loop: Header=BB9_6 Depth=1
	flat_atomic_add_u32 v13, v[8:9], v18 offset:384 glc
	s_or_b32 s14, s14, exec_lo
	s_or_b32 exec_lo, exec_lo, s13
	s_and_saveexec_b32 s13, s14
	s_cbranch_execnz .LBB9_9
	s_branch .LBB9_10
.LBB9_43:                               ;   in Loop: Header=BB9_6 Depth=1
	s_mov_b32 s15, 0
	s_mov_b32 s14, exec_lo
                                        ; implicit-def: $vgpr13
	v_cmpx_eq_u32_e64 v14, v33
	s_cbranch_execz .LBB9_47
; %bb.44:                               ;   in Loop: Header=BB9_6 Depth=1
	flat_atomic_add_u32 v14, v[8:9], v18 offset:512 glc
	s_mov_b32 s16, exec_lo
                                        ; implicit-def: $vgpr13
	s_waitcnt vmcnt(0) lgkmcnt(0)
	v_cmpx_lt_i32_e64 v14, v32
	s_xor_b32 s16, exec_lo, s16
; %bb.45:                               ;   in Loop: Header=BB9_6 Depth=1
	v_xad_u32 v13, v14, -1, v7
	s_mov_b32 s15, exec_lo
; %bb.46:                               ;   in Loop: Header=BB9_6 Depth=1
	s_or_b32 exec_lo, exec_lo, s16
	s_delay_alu instid0(SALU_CYCLE_1)
	s_and_b32 s15, s15, exec_lo
.LBB9_47:                               ;   in Loop: Header=BB9_6 Depth=1
	s_or_b32 exec_lo, exec_lo, s14
	s_delay_alu instid0(SALU_CYCLE_1)
	s_and_b32 s14, s15, exec_lo
	s_and_not1_saveexec_b32 s13, s13
	s_cbranch_execz .LBB9_12
.LBB9_48:                               ;   in Loop: Header=BB9_6 Depth=1
	flat_atomic_add_u32 v13, v[8:9], v18 offset:384 glc
	s_or_b32 s14, s14, exec_lo
	s_or_b32 exec_lo, exec_lo, s13
	s_and_saveexec_b32 s13, s14
	s_cbranch_execnz .LBB9_13
	s_branch .LBB9_14
.LBB9_49:                               ;   in Loop: Header=BB9_6 Depth=1
	s_mov_b32 s15, 0
	s_mov_b32 s14, exec_lo
                                        ; implicit-def: $vgpr13
	v_cmpx_eq_u32_e64 v14, v33
	s_cbranch_execz .LBB9_53
; %bb.50:                               ;   in Loop: Header=BB9_6 Depth=1
	flat_atomic_add_u32 v14, v[8:9], v18 offset:512 glc
	s_mov_b32 s16, exec_lo
                                        ; implicit-def: $vgpr13
	s_waitcnt vmcnt(0) lgkmcnt(0)
	v_cmpx_lt_i32_e64 v14, v32
	s_xor_b32 s16, exec_lo, s16
; %bb.51:                               ;   in Loop: Header=BB9_6 Depth=1
	v_xad_u32 v13, v14, -1, v7
	s_mov_b32 s15, exec_lo
; %bb.52:                               ;   in Loop: Header=BB9_6 Depth=1
	s_or_b32 exec_lo, exec_lo, s16
	s_delay_alu instid0(SALU_CYCLE_1)
	s_and_b32 s15, s15, exec_lo
.LBB9_53:                               ;   in Loop: Header=BB9_6 Depth=1
	s_or_b32 exec_lo, exec_lo, s14
	s_delay_alu instid0(SALU_CYCLE_1)
	s_and_b32 s14, s15, exec_lo
	s_and_not1_saveexec_b32 s13, s13
	s_cbranch_execz .LBB9_16
.LBB9_54:                               ;   in Loop: Header=BB9_6 Depth=1
	flat_atomic_add_u32 v13, v[8:9], v18 offset:384 glc
	s_or_b32 s14, s14, exec_lo
	s_or_b32 exec_lo, exec_lo, s13
	s_and_saveexec_b32 s13, s14
	s_cbranch_execnz .LBB9_17
	s_branch .LBB9_18
.LBB9_55:                               ;   in Loop: Header=BB9_6 Depth=1
	s_mov_b32 s15, 0
	s_mov_b32 s14, exec_lo
                                        ; implicit-def: $vgpr13
	v_cmpx_eq_u32_e64 v14, v33
	s_cbranch_execz .LBB9_59
; %bb.56:                               ;   in Loop: Header=BB9_6 Depth=1
	flat_atomic_add_u32 v14, v[8:9], v18 offset:512 glc
	s_mov_b32 s16, exec_lo
                                        ; implicit-def: $vgpr13
	s_waitcnt vmcnt(0) lgkmcnt(0)
	v_cmpx_lt_i32_e64 v14, v32
	s_xor_b32 s16, exec_lo, s16
; %bb.57:                               ;   in Loop: Header=BB9_6 Depth=1
	v_xad_u32 v13, v14, -1, v7
	s_mov_b32 s15, exec_lo
; %bb.58:                               ;   in Loop: Header=BB9_6 Depth=1
	s_or_b32 exec_lo, exec_lo, s16
	s_delay_alu instid0(SALU_CYCLE_1)
	s_and_b32 s15, s15, exec_lo
.LBB9_59:                               ;   in Loop: Header=BB9_6 Depth=1
	s_or_b32 exec_lo, exec_lo, s14
	s_delay_alu instid0(SALU_CYCLE_1)
	s_and_b32 s14, s15, exec_lo
	s_and_not1_saveexec_b32 s13, s13
	s_cbranch_execz .LBB9_20
.LBB9_60:                               ;   in Loop: Header=BB9_6 Depth=1
	flat_atomic_add_u32 v13, v[8:9], v18 offset:384 glc
	s_or_b32 s14, s14, exec_lo
	s_or_b32 exec_lo, exec_lo, s13
	s_and_saveexec_b32 s13, s14
	s_cbranch_execnz .LBB9_21
	s_branch .LBB9_22
.LBB9_61:                               ;   in Loop: Header=BB9_6 Depth=1
	s_mov_b32 s15, 0
	s_mov_b32 s14, exec_lo
                                        ; implicit-def: $vgpr13
	v_cmpx_eq_u32_e64 v14, v33
	s_cbranch_execz .LBB9_65
; %bb.62:                               ;   in Loop: Header=BB9_6 Depth=1
	flat_atomic_add_u32 v14, v[8:9], v18 offset:512 glc
	s_mov_b32 s16, exec_lo
                                        ; implicit-def: $vgpr13
	s_waitcnt vmcnt(0) lgkmcnt(0)
	v_cmpx_lt_i32_e64 v14, v32
	s_xor_b32 s16, exec_lo, s16
; %bb.63:                               ;   in Loop: Header=BB9_6 Depth=1
	v_xad_u32 v13, v14, -1, v7
	s_mov_b32 s15, exec_lo
; %bb.64:                               ;   in Loop: Header=BB9_6 Depth=1
	s_or_b32 exec_lo, exec_lo, s16
	s_delay_alu instid0(SALU_CYCLE_1)
	s_and_b32 s15, s15, exec_lo
.LBB9_65:                               ;   in Loop: Header=BB9_6 Depth=1
	s_or_b32 exec_lo, exec_lo, s14
	s_delay_alu instid0(SALU_CYCLE_1)
	s_and_b32 s14, s15, exec_lo
	s_and_not1_saveexec_b32 s13, s13
	s_cbranch_execz .LBB9_24
.LBB9_66:                               ;   in Loop: Header=BB9_6 Depth=1
	flat_atomic_add_u32 v13, v[8:9], v18 offset:384 glc
	s_or_b32 s14, s14, exec_lo
	s_or_b32 exec_lo, exec_lo, s13
	s_and_saveexec_b32 s13, s14
	s_cbranch_execnz .LBB9_25
	s_branch .LBB9_26
.LBB9_67:                               ;   in Loop: Header=BB9_6 Depth=1
	s_mov_b32 s15, 0
	s_mov_b32 s14, exec_lo
                                        ; implicit-def: $vgpr13
	v_cmpx_eq_u32_e64 v14, v33
	s_cbranch_execz .LBB9_71
; %bb.68:                               ;   in Loop: Header=BB9_6 Depth=1
	flat_atomic_add_u32 v14, v[8:9], v18 offset:512 glc
	s_mov_b32 s16, exec_lo
                                        ; implicit-def: $vgpr13
	s_waitcnt vmcnt(0) lgkmcnt(0)
	v_cmpx_lt_i32_e64 v14, v32
	s_xor_b32 s16, exec_lo, s16
; %bb.69:                               ;   in Loop: Header=BB9_6 Depth=1
	v_xad_u32 v13, v14, -1, v7
	s_mov_b32 s15, exec_lo
; %bb.70:                               ;   in Loop: Header=BB9_6 Depth=1
	s_or_b32 exec_lo, exec_lo, s16
	s_delay_alu instid0(SALU_CYCLE_1)
	s_and_b32 s15, s15, exec_lo
.LBB9_71:                               ;   in Loop: Header=BB9_6 Depth=1
	s_or_b32 exec_lo, exec_lo, s14
	s_delay_alu instid0(SALU_CYCLE_1)
	s_and_b32 s14, s15, exec_lo
	s_and_not1_saveexec_b32 s13, s13
	s_cbranch_execz .LBB9_28
.LBB9_72:                               ;   in Loop: Header=BB9_6 Depth=1
	flat_atomic_add_u32 v13, v[8:9], v18 offset:384 glc
	s_or_b32 s14, s14, exec_lo
	s_or_b32 exec_lo, exec_lo, s13
	s_and_saveexec_b32 s13, s14
	s_cbranch_execnz .LBB9_29
	s_branch .LBB9_30
.LBB9_73:                               ;   in Loop: Header=BB9_6 Depth=1
	s_mov_b32 s15, 0
	s_mov_b32 s14, exec_lo
                                        ; implicit-def: $vgpr13
	v_cmpx_eq_u32_e64 v14, v33
	s_cbranch_execz .LBB9_77
; %bb.74:                               ;   in Loop: Header=BB9_6 Depth=1
	flat_atomic_add_u32 v14, v[8:9], v18 offset:512 glc
	s_mov_b32 s16, exec_lo
                                        ; implicit-def: $vgpr13
	s_waitcnt vmcnt(0) lgkmcnt(0)
	v_cmpx_lt_i32_e64 v14, v32
	s_xor_b32 s16, exec_lo, s16
; %bb.75:                               ;   in Loop: Header=BB9_6 Depth=1
	v_xad_u32 v13, v14, -1, v7
	s_mov_b32 s15, exec_lo
; %bb.76:                               ;   in Loop: Header=BB9_6 Depth=1
	s_or_b32 exec_lo, exec_lo, s16
	s_delay_alu instid0(SALU_CYCLE_1)
	s_and_b32 s15, s15, exec_lo
.LBB9_77:                               ;   in Loop: Header=BB9_6 Depth=1
	s_or_b32 exec_lo, exec_lo, s14
	s_delay_alu instid0(SALU_CYCLE_1)
	s_and_b32 s14, s15, exec_lo
	s_and_not1_saveexec_b32 s13, s13
	s_cbranch_execz .LBB9_32
.LBB9_78:                               ;   in Loop: Header=BB9_6 Depth=1
	flat_atomic_add_u32 v13, v[8:9], v18 offset:384 glc
	s_or_b32 s14, s14, exec_lo
	s_or_b32 exec_lo, exec_lo, s13
	s_and_saveexec_b32 s13, s14
	s_cbranch_execnz .LBB9_33
	s_branch .LBB9_34
.LBB9_79:                               ;   in Loop: Header=BB9_6 Depth=1
	s_mov_b32 s15, 0
	s_mov_b32 s14, exec_lo
                                        ; implicit-def: $vgpr13
	v_cmpx_eq_u32_e64 v14, v33
	s_cbranch_execz .LBB9_83
; %bb.80:                               ;   in Loop: Header=BB9_6 Depth=1
	flat_atomic_add_u32 v14, v[8:9], v18 offset:512 glc
	s_mov_b32 s16, exec_lo
                                        ; implicit-def: $vgpr13
	s_waitcnt vmcnt(0) lgkmcnt(0)
	v_cmpx_lt_i32_e64 v14, v32
	s_xor_b32 s16, exec_lo, s16
; %bb.81:                               ;   in Loop: Header=BB9_6 Depth=1
	v_xad_u32 v13, v14, -1, v7
	s_mov_b32 s15, exec_lo
; %bb.82:                               ;   in Loop: Header=BB9_6 Depth=1
	s_or_b32 exec_lo, exec_lo, s16
	s_delay_alu instid0(SALU_CYCLE_1)
	s_and_b32 s15, s15, exec_lo
.LBB9_83:                               ;   in Loop: Header=BB9_6 Depth=1
	s_or_b32 exec_lo, exec_lo, s14
	s_delay_alu instid0(SALU_CYCLE_1)
	s_and_b32 s14, s15, exec_lo
	s_and_not1_saveexec_b32 s13, s13
	s_cbranch_execz .LBB9_36
.LBB9_84:                               ;   in Loop: Header=BB9_6 Depth=1
	flat_atomic_add_u32 v13, v[8:9], v18 offset:384 glc
	s_or_b32 s14, s14, exec_lo
	s_or_b32 exec_lo, exec_lo, s13
	s_and_saveexec_b32 s13, s14
	s_cbranch_execz .LBB9_5
.LBB9_85:                               ;   in Loop: Header=BB9_6 Depth=1
	s_waitcnt vmcnt(0) lgkmcnt(0)
	v_ashrrev_i32_e32 v14, 31, v13
	s_delay_alu instid0(VALU_DEP_1) | instskip(NEXT) | instid1(VALU_DEP_1)
	v_lshlrev_b64 v[13:14], 2, v[13:14]
	v_add_co_u32 v13, vcc_lo, v4, v13
	s_delay_alu instid0(VALU_DEP_2)
	v_add_co_ci_u32_e32 v14, vcc_lo, v5, v14, vcc_lo
	flat_store_b32 v[13:14], v10
	s_branch .LBB9_5
.LBB9_86:
	s_or_b32 exec_lo, exec_lo, s10
.LBB9_87:
	s_delay_alu instid0(SALU_CYCLE_1) | instskip(NEXT) | instid1(SALU_CYCLE_1)
	s_or_b32 exec_lo, exec_lo, s0
	s_mov_b32 s3, exec_lo
	v_cmpx_lt_i32_e64 v10, v6
	s_cbranch_execz .LBB9_100
; %bb.88:
	v_dual_mov_b32 v11, 0 :: v_dual_mov_b32 v16, 1
	v_lshlrev_b32_e64 v15, v15, -1
	s_mov_b32 s4, 0
	s_lshl_b32 s5, s2, 2
	s_delay_alu instid0(VALU_DEP_2)
	v_lshlrev_b64 v[11:12], 2, v[10:11]
	s_branch .LBB9_90
.LBB9_89:                               ;   in Loop: Header=BB9_90 Depth=1
	s_or_b32 exec_lo, exec_lo, s0
	v_add_nc_u32_e32 v10, s2, v10
	v_add_co_u32 v11, s0, v11, s5
	s_delay_alu instid0(VALU_DEP_1) | instskip(NEXT) | instid1(VALU_DEP_3)
	v_add_co_ci_u32_e64 v12, s0, 0, v12, s0
	v_cmp_ge_i32_e32 vcc_lo, v10, v6
	s_or_b32 s4, vcc_lo, s4
	s_delay_alu instid0(SALU_CYCLE_1)
	s_and_not1_b32 exec_lo, exec_lo, s4
	s_cbranch_execz .LBB9_100
.LBB9_90:                               ; =>This Inner Loop Header: Depth=1
	s_waitcnt vmcnt(0) lgkmcnt(0)
	s_delay_alu instid0(VALU_DEP_1) | instskip(NEXT) | instid1(VALU_DEP_2)
	v_add_co_u32 v13, vcc_lo, v0, v11
	v_add_co_ci_u32_e32 v14, vcc_lo, v1, v12, vcc_lo
	s_mov_b32 s6, 0
	s_mov_b32 s0, exec_lo
	flat_load_b32 v18, v[13:14]
	v_add_co_u32 v13, vcc_lo, v2, v11
	v_add_co_ci_u32_e32 v14, vcc_lo, v3, v12, vcc_lo
	flat_load_b32 v17, v[13:14]
	s_waitcnt vmcnt(1) lgkmcnt(1)
	v_cmp_gt_i32_e32 vcc_lo, 0, v18
	v_cndmask_b32_e64 v13, 0x7fffffff, 0, vcc_lo
	s_delay_alu instid0(VALU_DEP_1) | instskip(NEXT) | instid1(VALU_DEP_1)
	v_xor_b32_e32 v13, v13, v18
	v_and_b32_e32 v14, v13, v15
                                        ; implicit-def: $vgpr13
	s_delay_alu instid0(VALU_DEP_1)
	v_cmpx_ge_u32_e64 v14, v33
	s_xor_b32 s0, exec_lo, s0
	s_cbranch_execnz .LBB9_93
; %bb.91:                               ;   in Loop: Header=BB9_90 Depth=1
	s_and_not1_saveexec_b32 s0, s0
	s_cbranch_execnz .LBB9_98
.LBB9_92:                               ;   in Loop: Header=BB9_90 Depth=1
	s_or_b32 exec_lo, exec_lo, s0
	s_and_saveexec_b32 s0, s6
	s_cbranch_execz .LBB9_89
	s_branch .LBB9_99
.LBB9_93:                               ;   in Loop: Header=BB9_90 Depth=1
	s_mov_b32 s7, 0
	s_mov_b32 s6, exec_lo
                                        ; implicit-def: $vgpr13
	v_cmpx_eq_u32_e64 v14, v33
	s_cbranch_execz .LBB9_97
; %bb.94:                               ;   in Loop: Header=BB9_90 Depth=1
	flat_atomic_add_u32 v14, v[8:9], v16 offset:512 glc
	s_mov_b32 s10, exec_lo
                                        ; implicit-def: $vgpr13
	s_waitcnt vmcnt(0) lgkmcnt(0)
	v_cmpx_lt_i32_e64 v14, v32
	s_xor_b32 s10, exec_lo, s10
; %bb.95:                               ;   in Loop: Header=BB9_90 Depth=1
	v_xad_u32 v13, v14, -1, v7
	s_mov_b32 s7, exec_lo
; %bb.96:                               ;   in Loop: Header=BB9_90 Depth=1
	s_or_b32 exec_lo, exec_lo, s10
	s_delay_alu instid0(SALU_CYCLE_1)
	s_and_b32 s7, s7, exec_lo
.LBB9_97:                               ;   in Loop: Header=BB9_90 Depth=1
	s_or_b32 exec_lo, exec_lo, s6
	s_delay_alu instid0(SALU_CYCLE_1)
	s_and_b32 s6, s7, exec_lo
	s_and_not1_saveexec_b32 s0, s0
	s_cbranch_execz .LBB9_92
.LBB9_98:                               ;   in Loop: Header=BB9_90 Depth=1
	flat_atomic_add_u32 v13, v[8:9], v16 offset:384 glc
	s_or_b32 s6, s6, exec_lo
	s_or_b32 exec_lo, exec_lo, s0
	s_and_saveexec_b32 s0, s6
	s_cbranch_execz .LBB9_89
.LBB9_99:                               ;   in Loop: Header=BB9_90 Depth=1
	s_waitcnt vmcnt(0) lgkmcnt(0)
	v_ashrrev_i32_e32 v14, 31, v13
	s_delay_alu instid0(VALU_DEP_1) | instskip(NEXT) | instid1(VALU_DEP_1)
	v_lshlrev_b64 v[13:14], 2, v[13:14]
	v_add_co_u32 v13, vcc_lo, v4, v13
	s_delay_alu instid0(VALU_DEP_2)
	v_add_co_ci_u32_e32 v14, vcc_lo, v5, v14, vcc_lo
	flat_store_b32 v[13:14], v17
	s_branch .LBB9_89
.LBB9_100:
	s_or_b32 exec_lo, exec_lo, s3
                                        ; implicit-def: $vgpr33
                                        ; implicit-def: $vgpr15
                                        ; implicit-def: $vgpr32
                                        ; implicit-def: $vgpr0
                                        ; implicit-def: $vgpr1
                                        ; implicit-def: $vgpr4
                                        ; implicit-def: $vgpr5
                                        ; implicit-def: $vgpr6
                                        ; implicit-def: $vgpr7
                                        ; implicit-def: $vgpr8_vgpr9
                                        ; implicit-def: $vgpr22
	s_and_not1_saveexec_b32 s0, s1
	s_cbranch_execz .LBB9_2
.LBB9_101:
	s_load_b32 s1, s[8:9], 0x0
	v_dual_mov_b32 v23, 0 :: v_dual_and_b32 v2, 15, v0
	v_lshlrev_b32_e64 v31, v15, -1
	v_mov_b32_e32 v26, v22
	s_delay_alu instid0(VALU_DEP_3) | instskip(NEXT) | instid1(VALU_DEP_1)
	v_sub_nc_u32_e32 v11, 16, v2
	v_lshrrev_b32_e32 v11, 2, v11
	v_mov_b32_e32 v3, v23
	s_delay_alu instid0(VALU_DEP_1)
	v_cmp_ne_u64_e32 vcc_lo, 0, v[2:3]
	s_waitcnt lgkmcnt(0)
	s_cmp_lt_u32 s12, s1
	s_cselect_b32 s1, 12, 18
	v_cndmask_b32_e32 v2, 0, v11, vcc_lo
	s_add_u32 s2, s8, s1
	s_addc_u32 s3, s9, 0
	global_load_u16 v10, v23, s[2:3]
	v_min_i32_e32 v2, v2, v6
	s_mov_b32 s2, 0
	s_delay_alu instid0(VALU_DEP_1) | instskip(NEXT) | instid1(VALU_DEP_1)
	v_sub_nc_u32_e32 v3, v6, v2
	v_ashrrev_i32_e32 v11, 31, v3
	s_delay_alu instid0(VALU_DEP_1) | instskip(SKIP_2) | instid1(VALU_DEP_2)
	v_lshrrev_b32_e32 v11, 30, v11
	s_waitcnt vmcnt(0)
	v_and_b32_e32 v34, 0xffff, v10
	v_add_nc_u32_e32 v10, v3, v11
	v_ashrrev_i32_e32 v3, 31, v2
	s_delay_alu instid0(VALU_DEP_3) | instskip(NEXT) | instid1(VALU_DEP_3)
	v_mul_lo_u32 v37, v34, 3
	v_ashrrev_i32_e32 v24, 2, v10
	s_delay_alu instid0(VALU_DEP_3) | instskip(SKIP_1) | instid1(VALU_DEP_3)
	v_lshlrev_b64 v[10:11], 2, v[2:3]
	v_lshlrev_b32_e32 v36, 2, v34
	v_ashrrev_i32_e32 v25, 31, v24
	v_add_co_u32 v28, s1, v37, v22
	s_delay_alu instid0(VALU_DEP_4) | instskip(SKIP_3) | instid1(VALU_DEP_2)
	v_add_co_u32 v3, vcc_lo, v0, v10
	v_add_co_ci_u32_e64 v29, null, 0, 0, s1
	v_add_co_ci_u32_e32 v35, vcc_lo, v1, v11, vcc_lo
	s_mov_b32 s1, exec_lo
	v_cmpx_lt_u64_e64 v[28:29], v[24:25]
	s_cbranch_execz .LBB9_265
; %bb.102:
	v_dual_mov_b32 v39, 1 :: v_dual_lshlrev_b32 v38, 4, v34
	v_dual_mov_b32 v27, v23 :: v_dual_mov_b32 v26, v22
	s_branch .LBB9_104
.LBB9_103:                              ;   in Loop: Header=BB9_104 Depth=1
	s_or_b32 exec_lo, exec_lo, s3
	v_add_nc_u32_e32 v26, v36, v26
	s_delay_alu instid0(VALU_DEP_1) | instskip(SKIP_1) | instid1(VALU_DEP_2)
	v_ashrrev_i32_e32 v27, 31, v26
	v_add_co_u32 v28, vcc_lo, v37, v26
	v_add_co_ci_u32_e32 v29, vcc_lo, 0, v27, vcc_lo
	s_delay_alu instid0(VALU_DEP_1) | instskip(SKIP_1) | instid1(SALU_CYCLE_1)
	v_cmp_ge_u64_e32 vcc_lo, v[28:29], v[24:25]
	s_or_b32 s2, vcc_lo, s2
	s_and_not1_b32 exec_lo, exec_lo, s2
	s_cbranch_execz .LBB9_264
.LBB9_104:                              ; =>This Inner Loop Header: Depth=1
	s_waitcnt vmcnt(0) lgkmcnt(0)
	s_delay_alu instid0(VALU_DEP_1) | instskip(SKIP_2) | instid1(VALU_DEP_1)
	v_lshlrev_b64 v[10:11], 4, v[26:27]
	s_mov_b32 s4, 0
	s_mov_b32 s3, exec_lo
	v_add_co_u32 v14, vcc_lo, v3, v10
	s_delay_alu instid0(VALU_DEP_2) | instskip(NEXT) | instid1(VALU_DEP_2)
	v_add_co_ci_u32_e32 v15, vcc_lo, v35, v11, vcc_lo
	v_add_co_u32 v18, vcc_lo, v14, v38
	flat_load_b128 v[10:13], v[14:15]
	v_add_co_ci_u32_e32 v19, vcc_lo, 0, v15, vcc_lo
	flat_load_b128 v[14:17], v[18:19]
	s_waitcnt vmcnt(1) lgkmcnt(1)
	v_cmp_gt_i32_e32 vcc_lo, 0, v10
	v_cndmask_b32_e64 v20, 0x7fffffff, 0, vcc_lo
	s_delay_alu instid0(VALU_DEP_1) | instskip(NEXT) | instid1(VALU_DEP_1)
	v_xor_b32_e32 v10, v20, v10
                                        ; implicit-def: $vgpr20
	v_and_b32_e32 v10, v10, v31
	s_delay_alu instid0(VALU_DEP_1)
	v_cmpx_ge_u32_e64 v10, v33
	s_xor_b32 s3, exec_lo, s3
	s_cbranch_execnz .LBB9_179
; %bb.105:                              ;   in Loop: Header=BB9_104 Depth=1
	s_and_not1_saveexec_b32 s3, s3
	s_cbranch_execnz .LBB9_184
.LBB9_106:                              ;   in Loop: Header=BB9_104 Depth=1
	s_or_b32 exec_lo, exec_lo, s3
	v_lshl_add_u32 v23, v26, 2, v2
	s_and_saveexec_b32 s3, s4
	s_cbranch_execz .LBB9_108
.LBB9_107:                              ;   in Loop: Header=BB9_104 Depth=1
	s_waitcnt vmcnt(0) lgkmcnt(0)
	v_ashrrev_i32_e32 v21, 31, v20
	s_delay_alu instid0(VALU_DEP_1) | instskip(NEXT) | instid1(VALU_DEP_1)
	v_lshlrev_b64 v[20:21], 2, v[20:21]
	v_add_co_u32 v20, vcc_lo, v4, v20
	s_delay_alu instid0(VALU_DEP_2)
	v_add_co_ci_u32_e32 v21, vcc_lo, v5, v21, vcc_lo
	flat_store_b32 v[20:21], v23
.LBB9_108:                              ;   in Loop: Header=BB9_104 Depth=1
	s_or_b32 exec_lo, exec_lo, s3
	v_cmp_gt_i32_e32 vcc_lo, 0, v11
	s_mov_b32 s4, 0
	s_mov_b32 s3, exec_lo
	v_cndmask_b32_e64 v10, 0x7fffffff, 0, vcc_lo
	s_delay_alu instid0(VALU_DEP_1) | instskip(NEXT) | instid1(VALU_DEP_1)
	v_xor_b32_e32 v10, v10, v11
	v_and_b32_e32 v11, v10, v31
                                        ; implicit-def: $vgpr10
	s_delay_alu instid0(VALU_DEP_1)
	v_cmpx_ge_u32_e64 v11, v33
	s_xor_b32 s3, exec_lo, s3
	s_cbranch_execnz .LBB9_185
; %bb.109:                              ;   in Loop: Header=BB9_104 Depth=1
	s_and_not1_saveexec_b32 s3, s3
	s_cbranch_execnz .LBB9_190
.LBB9_110:                              ;   in Loop: Header=BB9_104 Depth=1
	s_or_b32 exec_lo, exec_lo, s3
	s_and_saveexec_b32 s3, s4
	s_cbranch_execz .LBB9_112
.LBB9_111:                              ;   in Loop: Header=BB9_104 Depth=1
	s_waitcnt vmcnt(0) lgkmcnt(0)
	v_ashrrev_i32_e32 v11, 31, v10
	v_add_nc_u32_e32 v20, 1, v23
	s_delay_alu instid0(VALU_DEP_2) | instskip(NEXT) | instid1(VALU_DEP_1)
	v_lshlrev_b64 v[10:11], 2, v[10:11]
	v_add_co_u32 v10, vcc_lo, v4, v10
	s_delay_alu instid0(VALU_DEP_2)
	v_add_co_ci_u32_e32 v11, vcc_lo, v5, v11, vcc_lo
	flat_store_b32 v[10:11], v20
.LBB9_112:                              ;   in Loop: Header=BB9_104 Depth=1
	s_or_b32 exec_lo, exec_lo, s3
	v_cmp_gt_i32_e32 vcc_lo, 0, v12
	s_mov_b32 s4, 0
	s_mov_b32 s3, exec_lo
	s_waitcnt vmcnt(0) lgkmcnt(0)
	v_cndmask_b32_e64 v10, 0x7fffffff, 0, vcc_lo
	s_delay_alu instid0(VALU_DEP_1) | instskip(NEXT) | instid1(VALU_DEP_1)
	v_xor_b32_e32 v10, v10, v12
	v_and_b32_e32 v11, v10, v31
                                        ; implicit-def: $vgpr10
	s_delay_alu instid0(VALU_DEP_1)
	v_cmpx_ge_u32_e64 v11, v33
	s_xor_b32 s3, exec_lo, s3
	s_cbranch_execnz .LBB9_191
; %bb.113:                              ;   in Loop: Header=BB9_104 Depth=1
	s_and_not1_saveexec_b32 s3, s3
	s_cbranch_execnz .LBB9_196
.LBB9_114:                              ;   in Loop: Header=BB9_104 Depth=1
	s_or_b32 exec_lo, exec_lo, s3
	s_and_saveexec_b32 s3, s4
	s_cbranch_execz .LBB9_116
.LBB9_115:                              ;   in Loop: Header=BB9_104 Depth=1
	s_waitcnt vmcnt(0) lgkmcnt(0)
	v_ashrrev_i32_e32 v11, 31, v10
	v_add_nc_u32_e32 v12, 2, v23
	s_delay_alu instid0(VALU_DEP_2) | instskip(NEXT) | instid1(VALU_DEP_1)
	v_lshlrev_b64 v[10:11], 2, v[10:11]
	v_add_co_u32 v10, vcc_lo, v4, v10
	s_delay_alu instid0(VALU_DEP_2)
	v_add_co_ci_u32_e32 v11, vcc_lo, v5, v11, vcc_lo
	flat_store_b32 v[10:11], v12
.LBB9_116:                              ;   in Loop: Header=BB9_104 Depth=1
	s_or_b32 exec_lo, exec_lo, s3
	v_cmp_gt_i32_e32 vcc_lo, 0, v13
	s_mov_b32 s4, 0
	s_mov_b32 s3, exec_lo
	s_waitcnt vmcnt(0) lgkmcnt(0)
	v_cndmask_b32_e64 v10, 0x7fffffff, 0, vcc_lo
	s_delay_alu instid0(VALU_DEP_1) | instskip(NEXT) | instid1(VALU_DEP_1)
	v_xor_b32_e32 v10, v10, v13
	v_and_b32_e32 v11, v10, v31
                                        ; implicit-def: $vgpr10
	s_delay_alu instid0(VALU_DEP_1)
	v_cmpx_ge_u32_e64 v11, v33
	s_xor_b32 s3, exec_lo, s3
	s_cbranch_execnz .LBB9_197
; %bb.117:                              ;   in Loop: Header=BB9_104 Depth=1
	s_and_not1_saveexec_b32 s3, s3
	s_cbranch_execnz .LBB9_202
.LBB9_118:                              ;   in Loop: Header=BB9_104 Depth=1
	s_or_b32 exec_lo, exec_lo, s3
	s_and_saveexec_b32 s3, s4
	s_cbranch_execz .LBB9_120
.LBB9_119:                              ;   in Loop: Header=BB9_104 Depth=1
	s_waitcnt vmcnt(0) lgkmcnt(0)
	v_ashrrev_i32_e32 v11, 31, v10
	v_add_nc_u32_e32 v12, 3, v23
	s_delay_alu instid0(VALU_DEP_2) | instskip(NEXT) | instid1(VALU_DEP_1)
	v_lshlrev_b64 v[10:11], 2, v[10:11]
	v_add_co_u32 v10, vcc_lo, v4, v10
	s_delay_alu instid0(VALU_DEP_2)
	v_add_co_ci_u32_e32 v11, vcc_lo, v5, v11, vcc_lo
	flat_store_b32 v[10:11], v12
.LBB9_120:                              ;   in Loop: Header=BB9_104 Depth=1
	s_or_b32 exec_lo, exec_lo, s3
	s_waitcnt vmcnt(0) lgkmcnt(0)
	v_lshlrev_b64 v[10:11], 4, v[28:29]
	v_add_co_u32 v12, vcc_lo, v18, v38
	v_add_co_ci_u32_e32 v13, vcc_lo, 0, v19, vcc_lo
	s_mov_b32 s4, 0
	s_delay_alu instid0(VALU_DEP_3) | instskip(NEXT) | instid1(VALU_DEP_4)
	v_add_co_u32 v10, vcc_lo, v3, v10
	v_add_co_ci_u32_e32 v11, vcc_lo, v35, v11, vcc_lo
	v_cmp_gt_i32_e32 vcc_lo, 0, v14
	s_mov_b32 s3, exec_lo
	s_clause 0x1
	flat_load_b128 v[18:21], v[12:13]
	flat_load_b128 v[10:13], v[10:11]
                                        ; implicit-def: $vgpr29
	v_cndmask_b32_e64 v23, 0x7fffffff, 0, vcc_lo
	s_delay_alu instid0(VALU_DEP_1) | instskip(NEXT) | instid1(VALU_DEP_1)
	v_xor_b32_e32 v14, v23, v14
	v_and_b32_e32 v14, v14, v31
	s_delay_alu instid0(VALU_DEP_1)
	v_cmpx_ge_u32_e64 v14, v33
	s_xor_b32 s3, exec_lo, s3
	s_cbranch_execz .LBB9_126
; %bb.121:                              ;   in Loop: Header=BB9_104 Depth=1
	s_mov_b32 s5, 0
	s_mov_b32 s4, exec_lo
                                        ; implicit-def: $vgpr29
	v_cmpx_eq_u32_e64 v14, v33
	s_cbranch_execz .LBB9_125
; %bb.122:                              ;   in Loop: Header=BB9_104 Depth=1
	flat_atomic_add_u32 v14, v[8:9], v39 offset:512 glc
	s_mov_b32 s6, exec_lo
                                        ; implicit-def: $vgpr29
	s_waitcnt vmcnt(0) lgkmcnt(0)
	v_cmpx_lt_i32_e64 v14, v32
	s_xor_b32 s6, exec_lo, s6
; %bb.123:                              ;   in Loop: Header=BB9_104 Depth=1
	v_xad_u32 v29, v14, -1, v7
	s_mov_b32 s5, exec_lo
; %bb.124:                              ;   in Loop: Header=BB9_104 Depth=1
	s_or_b32 exec_lo, exec_lo, s6
	s_delay_alu instid0(SALU_CYCLE_1)
	s_and_b32 s5, s5, exec_lo
.LBB9_125:                              ;   in Loop: Header=BB9_104 Depth=1
	s_or_b32 exec_lo, exec_lo, s4
	s_delay_alu instid0(SALU_CYCLE_1)
	s_and_b32 s4, s5, exec_lo
.LBB9_126:                              ;   in Loop: Header=BB9_104 Depth=1
	s_and_not1_saveexec_b32 s3, s3
	s_cbranch_execz .LBB9_128
; %bb.127:                              ;   in Loop: Header=BB9_104 Depth=1
	flat_atomic_add_u32 v29, v[8:9], v39 offset:384 glc
	s_or_b32 s4, s4, exec_lo
.LBB9_128:                              ;   in Loop: Header=BB9_104 Depth=1
	s_or_b32 exec_lo, exec_lo, s3
	v_add_co_u32 v23, null, v26, v34
	s_delay_alu instid0(VALU_DEP_1)
	v_lshl_add_u32 v27, v23, 2, v2
	s_and_saveexec_b32 s3, s4
	s_cbranch_execz .LBB9_130
; %bb.129:                              ;   in Loop: Header=BB9_104 Depth=1
	s_waitcnt vmcnt(0) lgkmcnt(0)
	v_ashrrev_i32_e32 v30, 31, v29
	s_delay_alu instid0(VALU_DEP_1) | instskip(NEXT) | instid1(VALU_DEP_1)
	v_lshlrev_b64 v[29:30], 2, v[29:30]
	v_add_co_u32 v29, vcc_lo, v4, v29
	s_delay_alu instid0(VALU_DEP_2)
	v_add_co_ci_u32_e32 v30, vcc_lo, v5, v30, vcc_lo
	flat_store_b32 v[29:30], v27
.LBB9_130:                              ;   in Loop: Header=BB9_104 Depth=1
	s_or_b32 exec_lo, exec_lo, s3
	v_cmp_gt_i32_e32 vcc_lo, 0, v15
	s_mov_b32 s4, 0
	s_mov_b32 s3, exec_lo
	v_cndmask_b32_e64 v14, 0x7fffffff, 0, vcc_lo
	s_delay_alu instid0(VALU_DEP_1) | instskip(NEXT) | instid1(VALU_DEP_1)
	v_xor_b32_e32 v14, v14, v15
	v_and_b32_e32 v15, v14, v31
                                        ; implicit-def: $vgpr14
	s_delay_alu instid0(VALU_DEP_1)
	v_cmpx_ge_u32_e64 v15, v33
	s_xor_b32 s3, exec_lo, s3
	s_cbranch_execnz .LBB9_203
; %bb.131:                              ;   in Loop: Header=BB9_104 Depth=1
	s_and_not1_saveexec_b32 s3, s3
	s_cbranch_execnz .LBB9_208
.LBB9_132:                              ;   in Loop: Header=BB9_104 Depth=1
	s_or_b32 exec_lo, exec_lo, s3
	s_and_saveexec_b32 s3, s4
	s_cbranch_execz .LBB9_134
.LBB9_133:                              ;   in Loop: Header=BB9_104 Depth=1
	s_waitcnt vmcnt(0) lgkmcnt(0)
	v_ashrrev_i32_e32 v15, 31, v14
	v_add_nc_u32_e32 v29, 1, v27
	s_delay_alu instid0(VALU_DEP_2) | instskip(NEXT) | instid1(VALU_DEP_1)
	v_lshlrev_b64 v[14:15], 2, v[14:15]
	v_add_co_u32 v14, vcc_lo, v4, v14
	s_delay_alu instid0(VALU_DEP_2)
	v_add_co_ci_u32_e32 v15, vcc_lo, v5, v15, vcc_lo
	flat_store_b32 v[14:15], v29
.LBB9_134:                              ;   in Loop: Header=BB9_104 Depth=1
	s_or_b32 exec_lo, exec_lo, s3
	v_cmp_gt_i32_e32 vcc_lo, 0, v16
	s_mov_b32 s4, 0
	s_mov_b32 s3, exec_lo
	s_waitcnt vmcnt(0) lgkmcnt(0)
	v_cndmask_b32_e64 v14, 0x7fffffff, 0, vcc_lo
	s_delay_alu instid0(VALU_DEP_1) | instskip(NEXT) | instid1(VALU_DEP_1)
	v_xor_b32_e32 v14, v14, v16
	v_and_b32_e32 v15, v14, v31
                                        ; implicit-def: $vgpr14
	s_delay_alu instid0(VALU_DEP_1)
	v_cmpx_ge_u32_e64 v15, v33
	s_xor_b32 s3, exec_lo, s3
	s_cbranch_execnz .LBB9_209
; %bb.135:                              ;   in Loop: Header=BB9_104 Depth=1
	s_and_not1_saveexec_b32 s3, s3
	s_cbranch_execnz .LBB9_214
.LBB9_136:                              ;   in Loop: Header=BB9_104 Depth=1
	s_or_b32 exec_lo, exec_lo, s3
	s_and_saveexec_b32 s3, s4
	s_cbranch_execz .LBB9_138
.LBB9_137:                              ;   in Loop: Header=BB9_104 Depth=1
	s_waitcnt vmcnt(0) lgkmcnt(0)
	v_ashrrev_i32_e32 v15, 31, v14
	v_add_nc_u32_e32 v16, 2, v27
	s_delay_alu instid0(VALU_DEP_2) | instskip(NEXT) | instid1(VALU_DEP_1)
	v_lshlrev_b64 v[14:15], 2, v[14:15]
	v_add_co_u32 v14, vcc_lo, v4, v14
	s_delay_alu instid0(VALU_DEP_2)
	v_add_co_ci_u32_e32 v15, vcc_lo, v5, v15, vcc_lo
	flat_store_b32 v[14:15], v16
.LBB9_138:                              ;   in Loop: Header=BB9_104 Depth=1
	s_or_b32 exec_lo, exec_lo, s3
	v_cmp_gt_i32_e32 vcc_lo, 0, v17
	s_mov_b32 s4, 0
	s_mov_b32 s3, exec_lo
	s_waitcnt vmcnt(0) lgkmcnt(0)
	v_cndmask_b32_e64 v14, 0x7fffffff, 0, vcc_lo
	s_delay_alu instid0(VALU_DEP_1) | instskip(NEXT) | instid1(VALU_DEP_1)
	v_xor_b32_e32 v14, v14, v17
	v_and_b32_e32 v15, v14, v31
                                        ; implicit-def: $vgpr14
	s_delay_alu instid0(VALU_DEP_1)
	v_cmpx_ge_u32_e64 v15, v33
	s_xor_b32 s3, exec_lo, s3
	s_cbranch_execnz .LBB9_215
; %bb.139:                              ;   in Loop: Header=BB9_104 Depth=1
	s_and_not1_saveexec_b32 s3, s3
	s_cbranch_execnz .LBB9_220
.LBB9_140:                              ;   in Loop: Header=BB9_104 Depth=1
	s_or_b32 exec_lo, exec_lo, s3
	s_and_saveexec_b32 s3, s4
	s_cbranch_execz .LBB9_142
.LBB9_141:                              ;   in Loop: Header=BB9_104 Depth=1
	s_waitcnt vmcnt(0) lgkmcnt(0)
	v_ashrrev_i32_e32 v15, 31, v14
	v_add_nc_u32_e32 v16, 3, v27
	s_delay_alu instid0(VALU_DEP_2) | instskip(NEXT) | instid1(VALU_DEP_1)
	v_lshlrev_b64 v[14:15], 2, v[14:15]
	v_add_co_u32 v14, vcc_lo, v4, v14
	s_delay_alu instid0(VALU_DEP_2)
	v_add_co_ci_u32_e32 v15, vcc_lo, v5, v15, vcc_lo
	flat_store_b32 v[14:15], v16
.LBB9_142:                              ;   in Loop: Header=BB9_104 Depth=1
	s_or_b32 exec_lo, exec_lo, s3
	v_cmp_gt_i32_e32 vcc_lo, 0, v18
	s_mov_b32 s4, 0
	s_mov_b32 s3, exec_lo
	s_waitcnt vmcnt(0) lgkmcnt(0)
	v_cndmask_b32_e64 v14, 0x7fffffff, 0, vcc_lo
	s_delay_alu instid0(VALU_DEP_1) | instskip(NEXT) | instid1(VALU_DEP_1)
	v_xor_b32_e32 v14, v14, v18
	v_and_b32_e32 v15, v14, v31
                                        ; implicit-def: $vgpr14
	s_delay_alu instid0(VALU_DEP_1)
	v_cmpx_ge_u32_e64 v15, v33
	s_xor_b32 s3, exec_lo, s3
	s_cbranch_execz .LBB9_148
; %bb.143:                              ;   in Loop: Header=BB9_104 Depth=1
	s_mov_b32 s5, 0
	s_mov_b32 s4, exec_lo
                                        ; implicit-def: $vgpr14
	v_cmpx_eq_u32_e64 v15, v33
	s_cbranch_execz .LBB9_147
; %bb.144:                              ;   in Loop: Header=BB9_104 Depth=1
	flat_atomic_add_u32 v15, v[8:9], v39 offset:512 glc
	s_mov_b32 s6, exec_lo
                                        ; implicit-def: $vgpr14
	s_waitcnt vmcnt(0) lgkmcnt(0)
	v_cmpx_lt_i32_e64 v15, v32
	s_xor_b32 s6, exec_lo, s6
; %bb.145:                              ;   in Loop: Header=BB9_104 Depth=1
	v_xad_u32 v14, v15, -1, v7
	s_mov_b32 s5, exec_lo
; %bb.146:                              ;   in Loop: Header=BB9_104 Depth=1
	s_or_b32 exec_lo, exec_lo, s6
	s_delay_alu instid0(SALU_CYCLE_1)
	s_and_b32 s5, s5, exec_lo
.LBB9_147:                              ;   in Loop: Header=BB9_104 Depth=1
	s_or_b32 exec_lo, exec_lo, s4
	s_delay_alu instid0(SALU_CYCLE_1)
	s_and_b32 s4, s5, exec_lo
.LBB9_148:                              ;   in Loop: Header=BB9_104 Depth=1
	s_and_not1_saveexec_b32 s3, s3
	s_cbranch_execz .LBB9_150
; %bb.149:                              ;   in Loop: Header=BB9_104 Depth=1
	flat_atomic_add_u32 v14, v[8:9], v39 offset:384 glc
	s_or_b32 s4, s4, exec_lo
.LBB9_150:                              ;   in Loop: Header=BB9_104 Depth=1
	s_or_b32 exec_lo, exec_lo, s3
	v_add_nc_u32_e32 v15, v23, v34
	s_delay_alu instid0(VALU_DEP_1)
	v_lshl_add_u32 v16, v15, 2, v2
	s_and_saveexec_b32 s3, s4
	s_cbranch_execz .LBB9_152
; %bb.151:                              ;   in Loop: Header=BB9_104 Depth=1
	s_waitcnt vmcnt(0) lgkmcnt(0)
	v_ashrrev_i32_e32 v15, 31, v14
	s_delay_alu instid0(VALU_DEP_1) | instskip(NEXT) | instid1(VALU_DEP_1)
	v_lshlrev_b64 v[14:15], 2, v[14:15]
	v_add_co_u32 v14, vcc_lo, v4, v14
	s_delay_alu instid0(VALU_DEP_2)
	v_add_co_ci_u32_e32 v15, vcc_lo, v5, v15, vcc_lo
	flat_store_b32 v[14:15], v16
.LBB9_152:                              ;   in Loop: Header=BB9_104 Depth=1
	s_or_b32 exec_lo, exec_lo, s3
	v_cmp_gt_i32_e32 vcc_lo, 0, v19
	s_mov_b32 s4, 0
	s_mov_b32 s3, exec_lo
	s_waitcnt vmcnt(0) lgkmcnt(0)
	v_cndmask_b32_e64 v14, 0x7fffffff, 0, vcc_lo
	s_delay_alu instid0(VALU_DEP_1) | instskip(NEXT) | instid1(VALU_DEP_1)
	v_xor_b32_e32 v14, v14, v19
	v_and_b32_e32 v15, v14, v31
                                        ; implicit-def: $vgpr14
	s_delay_alu instid0(VALU_DEP_1)
	v_cmpx_ge_u32_e64 v15, v33
	s_xor_b32 s3, exec_lo, s3
	s_cbranch_execnz .LBB9_221
; %bb.153:                              ;   in Loop: Header=BB9_104 Depth=1
	s_and_not1_saveexec_b32 s3, s3
	s_cbranch_execnz .LBB9_226
.LBB9_154:                              ;   in Loop: Header=BB9_104 Depth=1
	s_or_b32 exec_lo, exec_lo, s3
	s_and_saveexec_b32 s3, s4
	s_cbranch_execz .LBB9_156
.LBB9_155:                              ;   in Loop: Header=BB9_104 Depth=1
	s_waitcnt vmcnt(0) lgkmcnt(0)
	v_ashrrev_i32_e32 v15, 31, v14
	v_add_nc_u32_e32 v17, 1, v16
	s_delay_alu instid0(VALU_DEP_2) | instskip(NEXT) | instid1(VALU_DEP_1)
	v_lshlrev_b64 v[14:15], 2, v[14:15]
	v_add_co_u32 v14, vcc_lo, v4, v14
	s_delay_alu instid0(VALU_DEP_2)
	v_add_co_ci_u32_e32 v15, vcc_lo, v5, v15, vcc_lo
	flat_store_b32 v[14:15], v17
.LBB9_156:                              ;   in Loop: Header=BB9_104 Depth=1
	s_or_b32 exec_lo, exec_lo, s3
	v_cmp_gt_i32_e32 vcc_lo, 0, v20
	s_mov_b32 s4, 0
	s_mov_b32 s3, exec_lo
	s_waitcnt vmcnt(0) lgkmcnt(0)
	v_cndmask_b32_e64 v14, 0x7fffffff, 0, vcc_lo
	s_delay_alu instid0(VALU_DEP_1) | instskip(NEXT) | instid1(VALU_DEP_1)
	v_xor_b32_e32 v14, v14, v20
	v_and_b32_e32 v15, v14, v31
                                        ; implicit-def: $vgpr14
	s_delay_alu instid0(VALU_DEP_1)
	v_cmpx_ge_u32_e64 v15, v33
	s_xor_b32 s3, exec_lo, s3
	s_cbranch_execnz .LBB9_227
; %bb.157:                              ;   in Loop: Header=BB9_104 Depth=1
	s_and_not1_saveexec_b32 s3, s3
	s_cbranch_execnz .LBB9_232
.LBB9_158:                              ;   in Loop: Header=BB9_104 Depth=1
	s_or_b32 exec_lo, exec_lo, s3
	s_and_saveexec_b32 s3, s4
	s_cbranch_execz .LBB9_160
.LBB9_159:                              ;   in Loop: Header=BB9_104 Depth=1
	s_waitcnt vmcnt(0) lgkmcnt(0)
	v_ashrrev_i32_e32 v15, 31, v14
	v_add_nc_u32_e32 v17, 2, v16
	s_delay_alu instid0(VALU_DEP_2) | instskip(NEXT) | instid1(VALU_DEP_1)
	v_lshlrev_b64 v[14:15], 2, v[14:15]
	v_add_co_u32 v14, vcc_lo, v4, v14
	s_delay_alu instid0(VALU_DEP_2)
	v_add_co_ci_u32_e32 v15, vcc_lo, v5, v15, vcc_lo
	flat_store_b32 v[14:15], v17
.LBB9_160:                              ;   in Loop: Header=BB9_104 Depth=1
	s_or_b32 exec_lo, exec_lo, s3
	v_cmp_gt_i32_e32 vcc_lo, 0, v21
	s_mov_b32 s4, 0
	s_mov_b32 s3, exec_lo
	s_waitcnt vmcnt(0) lgkmcnt(0)
	v_cndmask_b32_e64 v14, 0x7fffffff, 0, vcc_lo
	s_delay_alu instid0(VALU_DEP_1) | instskip(NEXT) | instid1(VALU_DEP_1)
	v_xor_b32_e32 v14, v14, v21
	v_and_b32_e32 v15, v14, v31
                                        ; implicit-def: $vgpr14
	s_delay_alu instid0(VALU_DEP_1)
	v_cmpx_ge_u32_e64 v15, v33
	s_xor_b32 s3, exec_lo, s3
	s_cbranch_execnz .LBB9_233
; %bb.161:                              ;   in Loop: Header=BB9_104 Depth=1
	s_and_not1_saveexec_b32 s3, s3
	s_cbranch_execnz .LBB9_238
.LBB9_162:                              ;   in Loop: Header=BB9_104 Depth=1
	s_or_b32 exec_lo, exec_lo, s3
	s_and_saveexec_b32 s3, s4
	s_cbranch_execz .LBB9_164
.LBB9_163:                              ;   in Loop: Header=BB9_104 Depth=1
	s_waitcnt vmcnt(0) lgkmcnt(0)
	v_ashrrev_i32_e32 v15, 31, v14
	v_add_nc_u32_e32 v16, 3, v16
	s_delay_alu instid0(VALU_DEP_2) | instskip(NEXT) | instid1(VALU_DEP_1)
	v_lshlrev_b64 v[14:15], 2, v[14:15]
	v_add_co_u32 v14, vcc_lo, v4, v14
	s_delay_alu instid0(VALU_DEP_2)
	v_add_co_ci_u32_e32 v15, vcc_lo, v5, v15, vcc_lo
	flat_store_b32 v[14:15], v16
.LBB9_164:                              ;   in Loop: Header=BB9_104 Depth=1
	s_or_b32 exec_lo, exec_lo, s3
	v_cmp_gt_i32_e32 vcc_lo, 0, v10
	s_mov_b32 s4, 0
	s_mov_b32 s3, exec_lo
	s_waitcnt vmcnt(0) lgkmcnt(0)
	v_cndmask_b32_e64 v14, 0x7fffffff, 0, vcc_lo
	s_delay_alu instid0(VALU_DEP_1) | instskip(NEXT) | instid1(VALU_DEP_1)
	v_xor_b32_e32 v10, v14, v10
                                        ; implicit-def: $vgpr14
	v_and_b32_e32 v10, v10, v31
	s_delay_alu instid0(VALU_DEP_1)
	v_cmpx_ge_u32_e64 v10, v33
	s_xor_b32 s3, exec_lo, s3
	s_cbranch_execnz .LBB9_239
; %bb.165:                              ;   in Loop: Header=BB9_104 Depth=1
	s_and_not1_saveexec_b32 s3, s3
	s_cbranch_execnz .LBB9_244
.LBB9_166:                              ;   in Loop: Header=BB9_104 Depth=1
	s_or_b32 exec_lo, exec_lo, s3
	v_lshl_add_u32 v16, v28, 2, v2
	s_and_saveexec_b32 s3, s4
	s_cbranch_execz .LBB9_168
.LBB9_167:                              ;   in Loop: Header=BB9_104 Depth=1
	s_waitcnt vmcnt(0) lgkmcnt(0)
	v_ashrrev_i32_e32 v15, 31, v14
	s_delay_alu instid0(VALU_DEP_1) | instskip(NEXT) | instid1(VALU_DEP_1)
	v_lshlrev_b64 v[14:15], 2, v[14:15]
	v_add_co_u32 v14, vcc_lo, v4, v14
	s_delay_alu instid0(VALU_DEP_2)
	v_add_co_ci_u32_e32 v15, vcc_lo, v5, v15, vcc_lo
	flat_store_b32 v[14:15], v16
.LBB9_168:                              ;   in Loop: Header=BB9_104 Depth=1
	s_or_b32 exec_lo, exec_lo, s3
	v_cmp_gt_i32_e32 vcc_lo, 0, v11
	s_mov_b32 s4, 0
	s_mov_b32 s3, exec_lo
	v_cndmask_b32_e64 v10, 0x7fffffff, 0, vcc_lo
	s_delay_alu instid0(VALU_DEP_1) | instskip(NEXT) | instid1(VALU_DEP_1)
	v_xor_b32_e32 v10, v10, v11
	v_and_b32_e32 v11, v10, v31
                                        ; implicit-def: $vgpr10
	s_delay_alu instid0(VALU_DEP_1)
	v_cmpx_ge_u32_e64 v11, v33
	s_xor_b32 s3, exec_lo, s3
	s_cbranch_execnz .LBB9_245
; %bb.169:                              ;   in Loop: Header=BB9_104 Depth=1
	s_and_not1_saveexec_b32 s3, s3
	s_cbranch_execnz .LBB9_250
.LBB9_170:                              ;   in Loop: Header=BB9_104 Depth=1
	s_or_b32 exec_lo, exec_lo, s3
	s_and_saveexec_b32 s3, s4
	s_cbranch_execz .LBB9_172
.LBB9_171:                              ;   in Loop: Header=BB9_104 Depth=1
	s_waitcnt vmcnt(0) lgkmcnt(0)
	v_ashrrev_i32_e32 v11, 31, v10
	v_add_nc_u32_e32 v14, 1, v16
	s_delay_alu instid0(VALU_DEP_2) | instskip(NEXT) | instid1(VALU_DEP_1)
	v_lshlrev_b64 v[10:11], 2, v[10:11]
	v_add_co_u32 v10, vcc_lo, v4, v10
	s_delay_alu instid0(VALU_DEP_2)
	v_add_co_ci_u32_e32 v11, vcc_lo, v5, v11, vcc_lo
	flat_store_b32 v[10:11], v14
.LBB9_172:                              ;   in Loop: Header=BB9_104 Depth=1
	s_or_b32 exec_lo, exec_lo, s3
	v_cmp_gt_i32_e32 vcc_lo, 0, v12
	s_mov_b32 s4, 0
	s_mov_b32 s3, exec_lo
	s_waitcnt vmcnt(0) lgkmcnt(0)
	v_cndmask_b32_e64 v10, 0x7fffffff, 0, vcc_lo
	s_delay_alu instid0(VALU_DEP_1) | instskip(NEXT) | instid1(VALU_DEP_1)
	v_xor_b32_e32 v10, v10, v12
	v_and_b32_e32 v11, v10, v31
                                        ; implicit-def: $vgpr10
	s_delay_alu instid0(VALU_DEP_1)
	v_cmpx_ge_u32_e64 v11, v33
	s_xor_b32 s3, exec_lo, s3
	s_cbranch_execnz .LBB9_251
; %bb.173:                              ;   in Loop: Header=BB9_104 Depth=1
	s_and_not1_saveexec_b32 s3, s3
	s_cbranch_execnz .LBB9_256
.LBB9_174:                              ;   in Loop: Header=BB9_104 Depth=1
	s_or_b32 exec_lo, exec_lo, s3
	s_and_saveexec_b32 s3, s4
	s_cbranch_execz .LBB9_176
.LBB9_175:                              ;   in Loop: Header=BB9_104 Depth=1
	s_waitcnt vmcnt(0) lgkmcnt(0)
	v_ashrrev_i32_e32 v11, 31, v10
	v_add_nc_u32_e32 v12, 2, v16
	s_delay_alu instid0(VALU_DEP_2) | instskip(NEXT) | instid1(VALU_DEP_1)
	v_lshlrev_b64 v[10:11], 2, v[10:11]
	v_add_co_u32 v10, vcc_lo, v4, v10
	s_delay_alu instid0(VALU_DEP_2)
	v_add_co_ci_u32_e32 v11, vcc_lo, v5, v11, vcc_lo
	flat_store_b32 v[10:11], v12
.LBB9_176:                              ;   in Loop: Header=BB9_104 Depth=1
	s_or_b32 exec_lo, exec_lo, s3
	v_cmp_gt_i32_e32 vcc_lo, 0, v13
	s_mov_b32 s4, 0
	s_mov_b32 s3, exec_lo
	s_waitcnt vmcnt(0) lgkmcnt(0)
	v_cndmask_b32_e64 v10, 0x7fffffff, 0, vcc_lo
	s_delay_alu instid0(VALU_DEP_1) | instskip(NEXT) | instid1(VALU_DEP_1)
	v_xor_b32_e32 v10, v10, v13
	v_and_b32_e32 v11, v10, v31
                                        ; implicit-def: $vgpr10
	s_delay_alu instid0(VALU_DEP_1)
	v_cmpx_ge_u32_e64 v11, v33
	s_xor_b32 s3, exec_lo, s3
	s_cbranch_execnz .LBB9_257
; %bb.177:                              ;   in Loop: Header=BB9_104 Depth=1
	s_and_not1_saveexec_b32 s3, s3
	s_cbranch_execnz .LBB9_262
.LBB9_178:                              ;   in Loop: Header=BB9_104 Depth=1
	s_or_b32 exec_lo, exec_lo, s3
	s_and_saveexec_b32 s3, s4
	s_cbranch_execz .LBB9_103
	s_branch .LBB9_263
.LBB9_179:                              ;   in Loop: Header=BB9_104 Depth=1
	s_mov_b32 s5, 0
	s_mov_b32 s4, exec_lo
                                        ; implicit-def: $vgpr20
	v_cmpx_eq_u32_e64 v10, v33
	s_cbranch_execz .LBB9_183
; %bb.180:                              ;   in Loop: Header=BB9_104 Depth=1
	flat_atomic_add_u32 v10, v[8:9], v39 offset:512 glc
	s_mov_b32 s6, exec_lo
                                        ; implicit-def: $vgpr20
	s_waitcnt vmcnt(0) lgkmcnt(0)
	v_cmpx_lt_i32_e64 v10, v32
	s_xor_b32 s6, exec_lo, s6
; %bb.181:                              ;   in Loop: Header=BB9_104 Depth=1
	v_xad_u32 v20, v10, -1, v7
	s_mov_b32 s5, exec_lo
; %bb.182:                              ;   in Loop: Header=BB9_104 Depth=1
	s_or_b32 exec_lo, exec_lo, s6
	s_delay_alu instid0(SALU_CYCLE_1)
	s_and_b32 s5, s5, exec_lo
.LBB9_183:                              ;   in Loop: Header=BB9_104 Depth=1
	s_or_b32 exec_lo, exec_lo, s4
	s_delay_alu instid0(SALU_CYCLE_1)
	s_and_b32 s4, s5, exec_lo
	s_and_not1_saveexec_b32 s3, s3
	s_cbranch_execz .LBB9_106
.LBB9_184:                              ;   in Loop: Header=BB9_104 Depth=1
	flat_atomic_add_u32 v20, v[8:9], v39 offset:384 glc
	s_or_b32 s4, s4, exec_lo
	s_or_b32 exec_lo, exec_lo, s3
	v_lshl_add_u32 v23, v26, 2, v2
	s_and_saveexec_b32 s3, s4
	s_cbranch_execnz .LBB9_107
	s_branch .LBB9_108
.LBB9_185:                              ;   in Loop: Header=BB9_104 Depth=1
	s_mov_b32 s5, 0
	s_mov_b32 s4, exec_lo
                                        ; implicit-def: $vgpr10
	v_cmpx_eq_u32_e64 v11, v33
	s_cbranch_execz .LBB9_189
; %bb.186:                              ;   in Loop: Header=BB9_104 Depth=1
	flat_atomic_add_u32 v11, v[8:9], v39 offset:512 glc
	s_mov_b32 s6, exec_lo
                                        ; implicit-def: $vgpr10
	s_waitcnt vmcnt(0) lgkmcnt(0)
	v_cmpx_lt_i32_e64 v11, v32
; %bb.187:                              ;   in Loop: Header=BB9_104 Depth=1
	v_xad_u32 v10, v11, -1, v7
	s_mov_b32 s5, exec_lo
; %bb.188:                              ;   in Loop: Header=BB9_104 Depth=1
	s_or_b32 exec_lo, exec_lo, s6
	s_delay_alu instid0(SALU_CYCLE_1)
	s_and_b32 s5, s5, exec_lo
.LBB9_189:                              ;   in Loop: Header=BB9_104 Depth=1
	s_or_b32 exec_lo, exec_lo, s4
	s_delay_alu instid0(SALU_CYCLE_1)
	s_and_b32 s4, s5, exec_lo
	s_and_not1_saveexec_b32 s3, s3
	s_cbranch_execz .LBB9_110
.LBB9_190:                              ;   in Loop: Header=BB9_104 Depth=1
	flat_atomic_add_u32 v10, v[8:9], v39 offset:384 glc
	s_or_b32 s4, s4, exec_lo
	s_or_b32 exec_lo, exec_lo, s3
	s_and_saveexec_b32 s3, s4
	s_cbranch_execnz .LBB9_111
	s_branch .LBB9_112
.LBB9_191:                              ;   in Loop: Header=BB9_104 Depth=1
	s_mov_b32 s5, 0
	s_mov_b32 s4, exec_lo
                                        ; implicit-def: $vgpr10
	v_cmpx_eq_u32_e64 v11, v33
	s_cbranch_execz .LBB9_195
; %bb.192:                              ;   in Loop: Header=BB9_104 Depth=1
	flat_atomic_add_u32 v11, v[8:9], v39 offset:512 glc
	s_mov_b32 s6, exec_lo
                                        ; implicit-def: $vgpr10
	s_waitcnt vmcnt(0) lgkmcnt(0)
	v_cmpx_lt_i32_e64 v11, v32
; %bb.193:                              ;   in Loop: Header=BB9_104 Depth=1
	v_xad_u32 v10, v11, -1, v7
	s_mov_b32 s5, exec_lo
; %bb.194:                              ;   in Loop: Header=BB9_104 Depth=1
	s_or_b32 exec_lo, exec_lo, s6
	s_delay_alu instid0(SALU_CYCLE_1)
	s_and_b32 s5, s5, exec_lo
.LBB9_195:                              ;   in Loop: Header=BB9_104 Depth=1
	s_or_b32 exec_lo, exec_lo, s4
	s_delay_alu instid0(SALU_CYCLE_1)
	s_and_b32 s4, s5, exec_lo
	s_and_not1_saveexec_b32 s3, s3
	s_cbranch_execz .LBB9_114
.LBB9_196:                              ;   in Loop: Header=BB9_104 Depth=1
	flat_atomic_add_u32 v10, v[8:9], v39 offset:384 glc
	s_or_b32 s4, s4, exec_lo
	s_or_b32 exec_lo, exec_lo, s3
	s_and_saveexec_b32 s3, s4
	s_cbranch_execnz .LBB9_115
	s_branch .LBB9_116
.LBB9_197:                              ;   in Loop: Header=BB9_104 Depth=1
	s_mov_b32 s5, 0
	s_mov_b32 s4, exec_lo
                                        ; implicit-def: $vgpr10
	v_cmpx_eq_u32_e64 v11, v33
	s_cbranch_execz .LBB9_201
; %bb.198:                              ;   in Loop: Header=BB9_104 Depth=1
	flat_atomic_add_u32 v11, v[8:9], v39 offset:512 glc
	s_mov_b32 s6, exec_lo
                                        ; implicit-def: $vgpr10
	s_waitcnt vmcnt(0) lgkmcnt(0)
	v_cmpx_lt_i32_e64 v11, v32
; %bb.199:                              ;   in Loop: Header=BB9_104 Depth=1
	v_xad_u32 v10, v11, -1, v7
	s_mov_b32 s5, exec_lo
; %bb.200:                              ;   in Loop: Header=BB9_104 Depth=1
	s_or_b32 exec_lo, exec_lo, s6
	s_delay_alu instid0(SALU_CYCLE_1)
	s_and_b32 s5, s5, exec_lo
.LBB9_201:                              ;   in Loop: Header=BB9_104 Depth=1
	s_or_b32 exec_lo, exec_lo, s4
	s_delay_alu instid0(SALU_CYCLE_1)
	s_and_b32 s4, s5, exec_lo
	s_and_not1_saveexec_b32 s3, s3
	s_cbranch_execz .LBB9_118
.LBB9_202:                              ;   in Loop: Header=BB9_104 Depth=1
	flat_atomic_add_u32 v10, v[8:9], v39 offset:384 glc
	s_or_b32 s4, s4, exec_lo
	s_or_b32 exec_lo, exec_lo, s3
	s_and_saveexec_b32 s3, s4
	s_cbranch_execnz .LBB9_119
	s_branch .LBB9_120
.LBB9_203:                              ;   in Loop: Header=BB9_104 Depth=1
	s_mov_b32 s5, 0
	s_mov_b32 s4, exec_lo
                                        ; implicit-def: $vgpr14
	v_cmpx_eq_u32_e64 v15, v33
	s_cbranch_execz .LBB9_207
; %bb.204:                              ;   in Loop: Header=BB9_104 Depth=1
	flat_atomic_add_u32 v15, v[8:9], v39 offset:512 glc
	s_mov_b32 s6, exec_lo
                                        ; implicit-def: $vgpr14
	s_waitcnt vmcnt(0) lgkmcnt(0)
	v_cmpx_lt_i32_e64 v15, v32
; %bb.205:                              ;   in Loop: Header=BB9_104 Depth=1
	v_xad_u32 v14, v15, -1, v7
	s_mov_b32 s5, exec_lo
; %bb.206:                              ;   in Loop: Header=BB9_104 Depth=1
	s_or_b32 exec_lo, exec_lo, s6
	s_delay_alu instid0(SALU_CYCLE_1)
	s_and_b32 s5, s5, exec_lo
.LBB9_207:                              ;   in Loop: Header=BB9_104 Depth=1
	s_or_b32 exec_lo, exec_lo, s4
	s_delay_alu instid0(SALU_CYCLE_1)
	s_and_b32 s4, s5, exec_lo
	s_and_not1_saveexec_b32 s3, s3
	s_cbranch_execz .LBB9_132
.LBB9_208:                              ;   in Loop: Header=BB9_104 Depth=1
	flat_atomic_add_u32 v14, v[8:9], v39 offset:384 glc
	s_or_b32 s4, s4, exec_lo
	s_or_b32 exec_lo, exec_lo, s3
	s_and_saveexec_b32 s3, s4
	s_cbranch_execnz .LBB9_133
	s_branch .LBB9_134
.LBB9_209:                              ;   in Loop: Header=BB9_104 Depth=1
	s_mov_b32 s5, 0
	s_mov_b32 s4, exec_lo
                                        ; implicit-def: $vgpr14
	v_cmpx_eq_u32_e64 v15, v33
	s_cbranch_execz .LBB9_213
; %bb.210:                              ;   in Loop: Header=BB9_104 Depth=1
	flat_atomic_add_u32 v15, v[8:9], v39 offset:512 glc
	s_mov_b32 s6, exec_lo
                                        ; implicit-def: $vgpr14
	s_waitcnt vmcnt(0) lgkmcnt(0)
	v_cmpx_lt_i32_e64 v15, v32
; %bb.211:                              ;   in Loop: Header=BB9_104 Depth=1
	v_xad_u32 v14, v15, -1, v7
	s_mov_b32 s5, exec_lo
; %bb.212:                              ;   in Loop: Header=BB9_104 Depth=1
	s_or_b32 exec_lo, exec_lo, s6
	s_delay_alu instid0(SALU_CYCLE_1)
	s_and_b32 s5, s5, exec_lo
.LBB9_213:                              ;   in Loop: Header=BB9_104 Depth=1
	s_or_b32 exec_lo, exec_lo, s4
	s_delay_alu instid0(SALU_CYCLE_1)
	s_and_b32 s4, s5, exec_lo
	s_and_not1_saveexec_b32 s3, s3
	s_cbranch_execz .LBB9_136
.LBB9_214:                              ;   in Loop: Header=BB9_104 Depth=1
	flat_atomic_add_u32 v14, v[8:9], v39 offset:384 glc
	s_or_b32 s4, s4, exec_lo
	s_or_b32 exec_lo, exec_lo, s3
	s_and_saveexec_b32 s3, s4
	s_cbranch_execnz .LBB9_137
	s_branch .LBB9_138
.LBB9_215:                              ;   in Loop: Header=BB9_104 Depth=1
	s_mov_b32 s5, 0
	s_mov_b32 s4, exec_lo
                                        ; implicit-def: $vgpr14
	v_cmpx_eq_u32_e64 v15, v33
	s_cbranch_execz .LBB9_219
; %bb.216:                              ;   in Loop: Header=BB9_104 Depth=1
	flat_atomic_add_u32 v15, v[8:9], v39 offset:512 glc
	s_mov_b32 s6, exec_lo
                                        ; implicit-def: $vgpr14
	s_waitcnt vmcnt(0) lgkmcnt(0)
	v_cmpx_lt_i32_e64 v15, v32
; %bb.217:                              ;   in Loop: Header=BB9_104 Depth=1
	v_xad_u32 v14, v15, -1, v7
	s_mov_b32 s5, exec_lo
; %bb.218:                              ;   in Loop: Header=BB9_104 Depth=1
	s_or_b32 exec_lo, exec_lo, s6
	s_delay_alu instid0(SALU_CYCLE_1)
	s_and_b32 s5, s5, exec_lo
.LBB9_219:                              ;   in Loop: Header=BB9_104 Depth=1
	s_or_b32 exec_lo, exec_lo, s4
	s_delay_alu instid0(SALU_CYCLE_1)
	s_and_b32 s4, s5, exec_lo
	s_and_not1_saveexec_b32 s3, s3
	s_cbranch_execz .LBB9_140
.LBB9_220:                              ;   in Loop: Header=BB9_104 Depth=1
	flat_atomic_add_u32 v14, v[8:9], v39 offset:384 glc
	s_or_b32 s4, s4, exec_lo
	s_or_b32 exec_lo, exec_lo, s3
	s_and_saveexec_b32 s3, s4
	s_cbranch_execnz .LBB9_141
	s_branch .LBB9_142
.LBB9_221:                              ;   in Loop: Header=BB9_104 Depth=1
	s_mov_b32 s5, 0
	s_mov_b32 s4, exec_lo
                                        ; implicit-def: $vgpr14
	v_cmpx_eq_u32_e64 v15, v33
	s_cbranch_execz .LBB9_225
; %bb.222:                              ;   in Loop: Header=BB9_104 Depth=1
	flat_atomic_add_u32 v15, v[8:9], v39 offset:512 glc
	s_mov_b32 s6, exec_lo
                                        ; implicit-def: $vgpr14
	s_waitcnt vmcnt(0) lgkmcnt(0)
	v_cmpx_lt_i32_e64 v15, v32
; %bb.223:                              ;   in Loop: Header=BB9_104 Depth=1
	v_xad_u32 v14, v15, -1, v7
	s_mov_b32 s5, exec_lo
; %bb.224:                              ;   in Loop: Header=BB9_104 Depth=1
	s_or_b32 exec_lo, exec_lo, s6
	s_delay_alu instid0(SALU_CYCLE_1)
	s_and_b32 s5, s5, exec_lo
.LBB9_225:                              ;   in Loop: Header=BB9_104 Depth=1
	s_or_b32 exec_lo, exec_lo, s4
	s_delay_alu instid0(SALU_CYCLE_1)
	s_and_b32 s4, s5, exec_lo
	s_and_not1_saveexec_b32 s3, s3
	s_cbranch_execz .LBB9_154
.LBB9_226:                              ;   in Loop: Header=BB9_104 Depth=1
	flat_atomic_add_u32 v14, v[8:9], v39 offset:384 glc
	s_or_b32 s4, s4, exec_lo
	s_or_b32 exec_lo, exec_lo, s3
	s_and_saveexec_b32 s3, s4
	s_cbranch_execnz .LBB9_155
	s_branch .LBB9_156
.LBB9_227:                              ;   in Loop: Header=BB9_104 Depth=1
	s_mov_b32 s5, 0
	s_mov_b32 s4, exec_lo
                                        ; implicit-def: $vgpr14
	v_cmpx_eq_u32_e64 v15, v33
	s_cbranch_execz .LBB9_231
; %bb.228:                              ;   in Loop: Header=BB9_104 Depth=1
	flat_atomic_add_u32 v15, v[8:9], v39 offset:512 glc
	s_mov_b32 s6, exec_lo
                                        ; implicit-def: $vgpr14
	s_waitcnt vmcnt(0) lgkmcnt(0)
	v_cmpx_lt_i32_e64 v15, v32
; %bb.229:                              ;   in Loop: Header=BB9_104 Depth=1
	v_xad_u32 v14, v15, -1, v7
	s_mov_b32 s5, exec_lo
; %bb.230:                              ;   in Loop: Header=BB9_104 Depth=1
	s_or_b32 exec_lo, exec_lo, s6
	s_delay_alu instid0(SALU_CYCLE_1)
	s_and_b32 s5, s5, exec_lo
.LBB9_231:                              ;   in Loop: Header=BB9_104 Depth=1
	s_or_b32 exec_lo, exec_lo, s4
	s_delay_alu instid0(SALU_CYCLE_1)
	s_and_b32 s4, s5, exec_lo
	s_and_not1_saveexec_b32 s3, s3
	s_cbranch_execz .LBB9_158
.LBB9_232:                              ;   in Loop: Header=BB9_104 Depth=1
	flat_atomic_add_u32 v14, v[8:9], v39 offset:384 glc
	s_or_b32 s4, s4, exec_lo
	s_or_b32 exec_lo, exec_lo, s3
	s_and_saveexec_b32 s3, s4
	s_cbranch_execnz .LBB9_159
	s_branch .LBB9_160
.LBB9_233:                              ;   in Loop: Header=BB9_104 Depth=1
	s_mov_b32 s5, 0
	s_mov_b32 s4, exec_lo
                                        ; implicit-def: $vgpr14
	v_cmpx_eq_u32_e64 v15, v33
	s_cbranch_execz .LBB9_237
; %bb.234:                              ;   in Loop: Header=BB9_104 Depth=1
	flat_atomic_add_u32 v15, v[8:9], v39 offset:512 glc
	s_mov_b32 s6, exec_lo
                                        ; implicit-def: $vgpr14
	s_waitcnt vmcnt(0) lgkmcnt(0)
	v_cmpx_lt_i32_e64 v15, v32
; %bb.235:                              ;   in Loop: Header=BB9_104 Depth=1
	v_xad_u32 v14, v15, -1, v7
	s_mov_b32 s5, exec_lo
; %bb.236:                              ;   in Loop: Header=BB9_104 Depth=1
	s_or_b32 exec_lo, exec_lo, s6
	s_delay_alu instid0(SALU_CYCLE_1)
	s_and_b32 s5, s5, exec_lo
.LBB9_237:                              ;   in Loop: Header=BB9_104 Depth=1
	s_or_b32 exec_lo, exec_lo, s4
	s_delay_alu instid0(SALU_CYCLE_1)
	s_and_b32 s4, s5, exec_lo
	s_and_not1_saveexec_b32 s3, s3
	s_cbranch_execz .LBB9_162
.LBB9_238:                              ;   in Loop: Header=BB9_104 Depth=1
	flat_atomic_add_u32 v14, v[8:9], v39 offset:384 glc
	s_or_b32 s4, s4, exec_lo
	s_or_b32 exec_lo, exec_lo, s3
	s_and_saveexec_b32 s3, s4
	s_cbranch_execnz .LBB9_163
	s_branch .LBB9_164
.LBB9_239:                              ;   in Loop: Header=BB9_104 Depth=1
	s_mov_b32 s5, 0
	s_mov_b32 s4, exec_lo
                                        ; implicit-def: $vgpr14
	v_cmpx_eq_u32_e64 v10, v33
	s_cbranch_execz .LBB9_243
; %bb.240:                              ;   in Loop: Header=BB9_104 Depth=1
	flat_atomic_add_u32 v10, v[8:9], v39 offset:512 glc
	s_mov_b32 s6, exec_lo
                                        ; implicit-def: $vgpr14
	s_waitcnt vmcnt(0) lgkmcnt(0)
	v_cmpx_lt_i32_e64 v10, v32
	s_xor_b32 s6, exec_lo, s6
; %bb.241:                              ;   in Loop: Header=BB9_104 Depth=1
	v_xad_u32 v14, v10, -1, v7
	s_mov_b32 s5, exec_lo
; %bb.242:                              ;   in Loop: Header=BB9_104 Depth=1
	s_or_b32 exec_lo, exec_lo, s6
	s_delay_alu instid0(SALU_CYCLE_1)
	s_and_b32 s5, s5, exec_lo
.LBB9_243:                              ;   in Loop: Header=BB9_104 Depth=1
	s_or_b32 exec_lo, exec_lo, s4
	s_delay_alu instid0(SALU_CYCLE_1)
	s_and_b32 s4, s5, exec_lo
	s_and_not1_saveexec_b32 s3, s3
	s_cbranch_execz .LBB9_166
.LBB9_244:                              ;   in Loop: Header=BB9_104 Depth=1
	flat_atomic_add_u32 v14, v[8:9], v39 offset:384 glc
	s_or_b32 s4, s4, exec_lo
	s_or_b32 exec_lo, exec_lo, s3
	v_lshl_add_u32 v16, v28, 2, v2
	s_and_saveexec_b32 s3, s4
	s_cbranch_execnz .LBB9_167
	s_branch .LBB9_168
.LBB9_245:                              ;   in Loop: Header=BB9_104 Depth=1
	s_mov_b32 s5, 0
	s_mov_b32 s4, exec_lo
                                        ; implicit-def: $vgpr10
	v_cmpx_eq_u32_e64 v11, v33
	s_cbranch_execz .LBB9_249
; %bb.246:                              ;   in Loop: Header=BB9_104 Depth=1
	flat_atomic_add_u32 v11, v[8:9], v39 offset:512 glc
	s_mov_b32 s6, exec_lo
                                        ; implicit-def: $vgpr10
	s_waitcnt vmcnt(0) lgkmcnt(0)
	v_cmpx_lt_i32_e64 v11, v32
; %bb.247:                              ;   in Loop: Header=BB9_104 Depth=1
	v_xad_u32 v10, v11, -1, v7
	s_mov_b32 s5, exec_lo
; %bb.248:                              ;   in Loop: Header=BB9_104 Depth=1
	s_or_b32 exec_lo, exec_lo, s6
	s_delay_alu instid0(SALU_CYCLE_1)
	s_and_b32 s5, s5, exec_lo
.LBB9_249:                              ;   in Loop: Header=BB9_104 Depth=1
	s_or_b32 exec_lo, exec_lo, s4
	s_delay_alu instid0(SALU_CYCLE_1)
	s_and_b32 s4, s5, exec_lo
	s_and_not1_saveexec_b32 s3, s3
	s_cbranch_execz .LBB9_170
.LBB9_250:                              ;   in Loop: Header=BB9_104 Depth=1
	flat_atomic_add_u32 v10, v[8:9], v39 offset:384 glc
	s_or_b32 s4, s4, exec_lo
	s_or_b32 exec_lo, exec_lo, s3
	s_and_saveexec_b32 s3, s4
	s_cbranch_execnz .LBB9_171
	s_branch .LBB9_172
.LBB9_251:                              ;   in Loop: Header=BB9_104 Depth=1
	s_mov_b32 s5, 0
	s_mov_b32 s4, exec_lo
                                        ; implicit-def: $vgpr10
	v_cmpx_eq_u32_e64 v11, v33
	s_cbranch_execz .LBB9_255
; %bb.252:                              ;   in Loop: Header=BB9_104 Depth=1
	flat_atomic_add_u32 v11, v[8:9], v39 offset:512 glc
	s_mov_b32 s6, exec_lo
                                        ; implicit-def: $vgpr10
	s_waitcnt vmcnt(0) lgkmcnt(0)
	v_cmpx_lt_i32_e64 v11, v32
; %bb.253:                              ;   in Loop: Header=BB9_104 Depth=1
	v_xad_u32 v10, v11, -1, v7
	s_mov_b32 s5, exec_lo
; %bb.254:                              ;   in Loop: Header=BB9_104 Depth=1
	s_or_b32 exec_lo, exec_lo, s6
	s_delay_alu instid0(SALU_CYCLE_1)
	s_and_b32 s5, s5, exec_lo
.LBB9_255:                              ;   in Loop: Header=BB9_104 Depth=1
	s_or_b32 exec_lo, exec_lo, s4
	s_delay_alu instid0(SALU_CYCLE_1)
	s_and_b32 s4, s5, exec_lo
	s_and_not1_saveexec_b32 s3, s3
	s_cbranch_execz .LBB9_174
.LBB9_256:                              ;   in Loop: Header=BB9_104 Depth=1
	flat_atomic_add_u32 v10, v[8:9], v39 offset:384 glc
	s_or_b32 s4, s4, exec_lo
	s_or_b32 exec_lo, exec_lo, s3
	s_and_saveexec_b32 s3, s4
	s_cbranch_execnz .LBB9_175
	s_branch .LBB9_176
.LBB9_257:                              ;   in Loop: Header=BB9_104 Depth=1
	s_mov_b32 s5, 0
	s_mov_b32 s4, exec_lo
                                        ; implicit-def: $vgpr10
	v_cmpx_eq_u32_e64 v11, v33
	s_cbranch_execz .LBB9_261
; %bb.258:                              ;   in Loop: Header=BB9_104 Depth=1
	flat_atomic_add_u32 v11, v[8:9], v39 offset:512 glc
	s_mov_b32 s6, exec_lo
                                        ; implicit-def: $vgpr10
	s_waitcnt vmcnt(0) lgkmcnt(0)
	v_cmpx_lt_i32_e64 v11, v32
; %bb.259:                              ;   in Loop: Header=BB9_104 Depth=1
	v_xad_u32 v10, v11, -1, v7
	s_mov_b32 s5, exec_lo
; %bb.260:                              ;   in Loop: Header=BB9_104 Depth=1
	s_or_b32 exec_lo, exec_lo, s6
	s_delay_alu instid0(SALU_CYCLE_1)
	s_and_b32 s5, s5, exec_lo
.LBB9_261:                              ;   in Loop: Header=BB9_104 Depth=1
	s_or_b32 exec_lo, exec_lo, s4
	s_delay_alu instid0(SALU_CYCLE_1)
	s_and_b32 s4, s5, exec_lo
	s_and_not1_saveexec_b32 s3, s3
	s_cbranch_execz .LBB9_178
.LBB9_262:                              ;   in Loop: Header=BB9_104 Depth=1
	flat_atomic_add_u32 v10, v[8:9], v39 offset:384 glc
	s_or_b32 s4, s4, exec_lo
	s_or_b32 exec_lo, exec_lo, s3
	s_and_saveexec_b32 s3, s4
	s_cbranch_execz .LBB9_103
.LBB9_263:                              ;   in Loop: Header=BB9_104 Depth=1
	s_waitcnt vmcnt(0) lgkmcnt(0)
	v_ashrrev_i32_e32 v11, 31, v10
	v_add_nc_u32_e32 v12, 3, v16
	s_delay_alu instid0(VALU_DEP_2) | instskip(NEXT) | instid1(VALU_DEP_1)
	v_lshlrev_b64 v[10:11], 2, v[10:11]
	v_add_co_u32 v10, vcc_lo, v4, v10
	s_delay_alu instid0(VALU_DEP_2)
	v_add_co_ci_u32_e32 v11, vcc_lo, v5, v11, vcc_lo
	flat_store_b32 v[10:11], v12
	s_branch .LBB9_103
.LBB9_264:
	s_or_b32 exec_lo, exec_lo, s2
.LBB9_265:
	s_delay_alu instid0(SALU_CYCLE_1) | instskip(NEXT) | instid1(SALU_CYCLE_1)
	s_or_b32 exec_lo, exec_lo, s1
	s_mov_b32 s1, exec_lo
	v_cmpx_lt_i32_e64 v26, v24
	s_cbranch_execz .LBB9_308
; %bb.266:
	v_lshl_add_u32 v16, v26, 2, v2
	v_mov_b32_e32 v17, 1
	s_mov_b32 s2, 0
	s_branch .LBB9_268
.LBB9_267:                              ;   in Loop: Header=BB9_268 Depth=1
	s_or_b32 exec_lo, exec_lo, s3
	v_add_nc_u32_e32 v26, v26, v34
	v_add_nc_u32_e32 v16, v16, v36
	s_delay_alu instid0(VALU_DEP_2) | instskip(SKIP_1) | instid1(SALU_CYCLE_1)
	v_cmp_ge_i32_e32 vcc_lo, v26, v24
	s_or_b32 s2, vcc_lo, s2
	s_and_not1_b32 exec_lo, exec_lo, s2
	s_cbranch_execz .LBB9_308
.LBB9_268:                              ; =>This Inner Loop Header: Depth=1
	v_ashrrev_i32_e32 v27, 31, v26
	s_mov_b32 s4, 0
	s_mov_b32 s3, exec_lo
	s_waitcnt vmcnt(0) lgkmcnt(0)
	s_delay_alu instid0(VALU_DEP_1) | instskip(NEXT) | instid1(VALU_DEP_1)
	v_lshlrev_b64 v[10:11], 4, v[26:27]
	v_add_co_u32 v10, vcc_lo, v3, v10
	s_delay_alu instid0(VALU_DEP_2) | instskip(SKIP_4) | instid1(VALU_DEP_1)
	v_add_co_ci_u32_e32 v11, vcc_lo, v35, v11, vcc_lo
	flat_load_b128 v[10:13], v[10:11]
	s_waitcnt vmcnt(0) lgkmcnt(0)
	v_cmp_gt_i32_e32 vcc_lo, 0, v10
	v_cndmask_b32_e64 v14, 0x7fffffff, 0, vcc_lo
	v_xor_b32_e32 v10, v14, v10
                                        ; implicit-def: $vgpr14
	s_delay_alu instid0(VALU_DEP_1) | instskip(NEXT) | instid1(VALU_DEP_1)
	v_and_b32_e32 v10, v10, v31
	v_cmpx_ge_u32_e64 v10, v33
	s_xor_b32 s3, exec_lo, s3
	s_cbranch_execnz .LBB9_283
; %bb.269:                              ;   in Loop: Header=BB9_268 Depth=1
	s_and_not1_saveexec_b32 s3, s3
	s_cbranch_execnz .LBB9_288
.LBB9_270:                              ;   in Loop: Header=BB9_268 Depth=1
	s_or_b32 exec_lo, exec_lo, s3
	s_and_saveexec_b32 s3, s4
	s_cbranch_execz .LBB9_272
.LBB9_271:                              ;   in Loop: Header=BB9_268 Depth=1
	s_waitcnt vmcnt(0) lgkmcnt(0)
	v_ashrrev_i32_e32 v15, 31, v14
	s_delay_alu instid0(VALU_DEP_1) | instskip(NEXT) | instid1(VALU_DEP_1)
	v_lshlrev_b64 v[14:15], 2, v[14:15]
	v_add_co_u32 v14, vcc_lo, v4, v14
	s_delay_alu instid0(VALU_DEP_2)
	v_add_co_ci_u32_e32 v15, vcc_lo, v5, v15, vcc_lo
	flat_store_b32 v[14:15], v16
.LBB9_272:                              ;   in Loop: Header=BB9_268 Depth=1
	s_or_b32 exec_lo, exec_lo, s3
	v_cmp_gt_i32_e32 vcc_lo, 0, v11
	s_mov_b32 s4, 0
	s_mov_b32 s3, exec_lo
	v_cndmask_b32_e64 v10, 0x7fffffff, 0, vcc_lo
	s_delay_alu instid0(VALU_DEP_1) | instskip(NEXT) | instid1(VALU_DEP_1)
	v_xor_b32_e32 v10, v10, v11
	v_and_b32_e32 v11, v10, v31
                                        ; implicit-def: $vgpr10
	s_delay_alu instid0(VALU_DEP_1)
	v_cmpx_ge_u32_e64 v11, v33
	s_xor_b32 s3, exec_lo, s3
	s_cbranch_execnz .LBB9_289
; %bb.273:                              ;   in Loop: Header=BB9_268 Depth=1
	s_and_not1_saveexec_b32 s3, s3
	s_cbranch_execnz .LBB9_294
.LBB9_274:                              ;   in Loop: Header=BB9_268 Depth=1
	s_or_b32 exec_lo, exec_lo, s3
	s_and_saveexec_b32 s3, s4
	s_cbranch_execz .LBB9_276
.LBB9_275:                              ;   in Loop: Header=BB9_268 Depth=1
	s_waitcnt vmcnt(0) lgkmcnt(0)
	v_ashrrev_i32_e32 v11, 31, v10
	v_add_nc_u32_e32 v14, 1, v16
	s_delay_alu instid0(VALU_DEP_2) | instskip(NEXT) | instid1(VALU_DEP_1)
	v_lshlrev_b64 v[10:11], 2, v[10:11]
	v_add_co_u32 v10, vcc_lo, v4, v10
	s_delay_alu instid0(VALU_DEP_2)
	v_add_co_ci_u32_e32 v11, vcc_lo, v5, v11, vcc_lo
	flat_store_b32 v[10:11], v14
.LBB9_276:                              ;   in Loop: Header=BB9_268 Depth=1
	s_or_b32 exec_lo, exec_lo, s3
	v_cmp_gt_i32_e32 vcc_lo, 0, v12
	s_mov_b32 s4, 0
	s_mov_b32 s3, exec_lo
	s_waitcnt vmcnt(0) lgkmcnt(0)
	v_cndmask_b32_e64 v10, 0x7fffffff, 0, vcc_lo
	s_delay_alu instid0(VALU_DEP_1) | instskip(NEXT) | instid1(VALU_DEP_1)
	v_xor_b32_e32 v10, v10, v12
	v_and_b32_e32 v11, v10, v31
                                        ; implicit-def: $vgpr10
	s_delay_alu instid0(VALU_DEP_1)
	v_cmpx_ge_u32_e64 v11, v33
	s_xor_b32 s3, exec_lo, s3
	s_cbranch_execnz .LBB9_295
; %bb.277:                              ;   in Loop: Header=BB9_268 Depth=1
	s_and_not1_saveexec_b32 s3, s3
	s_cbranch_execnz .LBB9_300
.LBB9_278:                              ;   in Loop: Header=BB9_268 Depth=1
	s_or_b32 exec_lo, exec_lo, s3
	s_and_saveexec_b32 s3, s4
	s_cbranch_execz .LBB9_280
.LBB9_279:                              ;   in Loop: Header=BB9_268 Depth=1
	s_waitcnt vmcnt(0) lgkmcnt(0)
	v_ashrrev_i32_e32 v11, 31, v10
	v_add_nc_u32_e32 v12, 2, v16
	s_delay_alu instid0(VALU_DEP_2) | instskip(NEXT) | instid1(VALU_DEP_1)
	v_lshlrev_b64 v[10:11], 2, v[10:11]
	v_add_co_u32 v10, vcc_lo, v4, v10
	s_delay_alu instid0(VALU_DEP_2)
	v_add_co_ci_u32_e32 v11, vcc_lo, v5, v11, vcc_lo
	flat_store_b32 v[10:11], v12
.LBB9_280:                              ;   in Loop: Header=BB9_268 Depth=1
	s_or_b32 exec_lo, exec_lo, s3
	v_cmp_gt_i32_e32 vcc_lo, 0, v13
	s_mov_b32 s4, 0
	s_mov_b32 s3, exec_lo
	s_waitcnt vmcnt(0) lgkmcnt(0)
	v_cndmask_b32_e64 v10, 0x7fffffff, 0, vcc_lo
	s_delay_alu instid0(VALU_DEP_1) | instskip(NEXT) | instid1(VALU_DEP_1)
	v_xor_b32_e32 v10, v10, v13
	v_and_b32_e32 v11, v10, v31
                                        ; implicit-def: $vgpr10
	s_delay_alu instid0(VALU_DEP_1)
	v_cmpx_ge_u32_e64 v11, v33
	s_xor_b32 s3, exec_lo, s3
	s_cbranch_execnz .LBB9_301
; %bb.281:                              ;   in Loop: Header=BB9_268 Depth=1
	s_and_not1_saveexec_b32 s3, s3
	s_cbranch_execnz .LBB9_306
.LBB9_282:                              ;   in Loop: Header=BB9_268 Depth=1
	s_or_b32 exec_lo, exec_lo, s3
	s_and_saveexec_b32 s3, s4
	s_cbranch_execz .LBB9_267
	s_branch .LBB9_307
.LBB9_283:                              ;   in Loop: Header=BB9_268 Depth=1
	s_mov_b32 s5, 0
	s_mov_b32 s4, exec_lo
                                        ; implicit-def: $vgpr14
	v_cmpx_eq_u32_e64 v10, v33
	s_cbranch_execz .LBB9_287
; %bb.284:                              ;   in Loop: Header=BB9_268 Depth=1
	flat_atomic_add_u32 v10, v[8:9], v17 offset:512 glc
	s_mov_b32 s6, exec_lo
                                        ; implicit-def: $vgpr14
	s_waitcnt vmcnt(0) lgkmcnt(0)
	v_cmpx_lt_i32_e64 v10, v32
	s_xor_b32 s6, exec_lo, s6
; %bb.285:                              ;   in Loop: Header=BB9_268 Depth=1
	v_xad_u32 v14, v10, -1, v7
	s_mov_b32 s5, exec_lo
; %bb.286:                              ;   in Loop: Header=BB9_268 Depth=1
	s_or_b32 exec_lo, exec_lo, s6
	s_delay_alu instid0(SALU_CYCLE_1)
	s_and_b32 s5, s5, exec_lo
.LBB9_287:                              ;   in Loop: Header=BB9_268 Depth=1
	s_or_b32 exec_lo, exec_lo, s4
	s_delay_alu instid0(SALU_CYCLE_1)
	s_and_b32 s4, s5, exec_lo
	s_and_not1_saveexec_b32 s3, s3
	s_cbranch_execz .LBB9_270
.LBB9_288:                              ;   in Loop: Header=BB9_268 Depth=1
	flat_atomic_add_u32 v14, v[8:9], v17 offset:384 glc
	s_or_b32 s4, s4, exec_lo
	s_or_b32 exec_lo, exec_lo, s3
	s_and_saveexec_b32 s3, s4
	s_cbranch_execnz .LBB9_271
	s_branch .LBB9_272
.LBB9_289:                              ;   in Loop: Header=BB9_268 Depth=1
	s_mov_b32 s5, 0
	s_mov_b32 s4, exec_lo
                                        ; implicit-def: $vgpr10
	v_cmpx_eq_u32_e64 v11, v33
	s_cbranch_execz .LBB9_293
; %bb.290:                              ;   in Loop: Header=BB9_268 Depth=1
	flat_atomic_add_u32 v11, v[8:9], v17 offset:512 glc
	s_mov_b32 s6, exec_lo
                                        ; implicit-def: $vgpr10
	s_waitcnt vmcnt(0) lgkmcnt(0)
	v_cmpx_lt_i32_e64 v11, v32
; %bb.291:                              ;   in Loop: Header=BB9_268 Depth=1
	v_xad_u32 v10, v11, -1, v7
	s_mov_b32 s5, exec_lo
; %bb.292:                              ;   in Loop: Header=BB9_268 Depth=1
	s_or_b32 exec_lo, exec_lo, s6
	s_delay_alu instid0(SALU_CYCLE_1)
	s_and_b32 s5, s5, exec_lo
.LBB9_293:                              ;   in Loop: Header=BB9_268 Depth=1
	s_or_b32 exec_lo, exec_lo, s4
	s_delay_alu instid0(SALU_CYCLE_1)
	s_and_b32 s4, s5, exec_lo
	s_and_not1_saveexec_b32 s3, s3
	s_cbranch_execz .LBB9_274
.LBB9_294:                              ;   in Loop: Header=BB9_268 Depth=1
	flat_atomic_add_u32 v10, v[8:9], v17 offset:384 glc
	s_or_b32 s4, s4, exec_lo
	s_or_b32 exec_lo, exec_lo, s3
	s_and_saveexec_b32 s3, s4
	s_cbranch_execnz .LBB9_275
	s_branch .LBB9_276
.LBB9_295:                              ;   in Loop: Header=BB9_268 Depth=1
	s_mov_b32 s5, 0
	s_mov_b32 s4, exec_lo
                                        ; implicit-def: $vgpr10
	v_cmpx_eq_u32_e64 v11, v33
	s_cbranch_execz .LBB9_299
; %bb.296:                              ;   in Loop: Header=BB9_268 Depth=1
	flat_atomic_add_u32 v11, v[8:9], v17 offset:512 glc
	s_mov_b32 s6, exec_lo
                                        ; implicit-def: $vgpr10
	s_waitcnt vmcnt(0) lgkmcnt(0)
	v_cmpx_lt_i32_e64 v11, v32
; %bb.297:                              ;   in Loop: Header=BB9_268 Depth=1
	v_xad_u32 v10, v11, -1, v7
	s_mov_b32 s5, exec_lo
; %bb.298:                              ;   in Loop: Header=BB9_268 Depth=1
	s_or_b32 exec_lo, exec_lo, s6
	s_delay_alu instid0(SALU_CYCLE_1)
	s_and_b32 s5, s5, exec_lo
.LBB9_299:                              ;   in Loop: Header=BB9_268 Depth=1
	s_or_b32 exec_lo, exec_lo, s4
	s_delay_alu instid0(SALU_CYCLE_1)
	s_and_b32 s4, s5, exec_lo
	s_and_not1_saveexec_b32 s3, s3
	s_cbranch_execz .LBB9_278
.LBB9_300:                              ;   in Loop: Header=BB9_268 Depth=1
	flat_atomic_add_u32 v10, v[8:9], v17 offset:384 glc
	s_or_b32 s4, s4, exec_lo
	s_or_b32 exec_lo, exec_lo, s3
	s_and_saveexec_b32 s3, s4
	s_cbranch_execnz .LBB9_279
	s_branch .LBB9_280
.LBB9_301:                              ;   in Loop: Header=BB9_268 Depth=1
	s_mov_b32 s5, 0
	s_mov_b32 s4, exec_lo
                                        ; implicit-def: $vgpr10
	v_cmpx_eq_u32_e64 v11, v33
	s_cbranch_execz .LBB9_305
; %bb.302:                              ;   in Loop: Header=BB9_268 Depth=1
	flat_atomic_add_u32 v11, v[8:9], v17 offset:512 glc
	s_mov_b32 s6, exec_lo
                                        ; implicit-def: $vgpr10
	s_waitcnt vmcnt(0) lgkmcnt(0)
	v_cmpx_lt_i32_e64 v11, v32
; %bb.303:                              ;   in Loop: Header=BB9_268 Depth=1
	v_xad_u32 v10, v11, -1, v7
	s_mov_b32 s5, exec_lo
; %bb.304:                              ;   in Loop: Header=BB9_268 Depth=1
	s_or_b32 exec_lo, exec_lo, s6
	s_delay_alu instid0(SALU_CYCLE_1)
	s_and_b32 s5, s5, exec_lo
.LBB9_305:                              ;   in Loop: Header=BB9_268 Depth=1
	s_or_b32 exec_lo, exec_lo, s4
	s_delay_alu instid0(SALU_CYCLE_1)
	s_and_b32 s4, s5, exec_lo
	s_and_not1_saveexec_b32 s3, s3
	s_cbranch_execz .LBB9_282
.LBB9_306:                              ;   in Loop: Header=BB9_268 Depth=1
	flat_atomic_add_u32 v10, v[8:9], v17 offset:384 glc
	s_or_b32 s4, s4, exec_lo
	s_or_b32 exec_lo, exec_lo, s3
	s_and_saveexec_b32 s3, s4
	s_cbranch_execz .LBB9_267
.LBB9_307:                              ;   in Loop: Header=BB9_268 Depth=1
	s_waitcnt vmcnt(0) lgkmcnt(0)
	v_ashrrev_i32_e32 v11, 31, v10
	v_add_nc_u32_e32 v12, 3, v16
	s_delay_alu instid0(VALU_DEP_2) | instskip(NEXT) | instid1(VALU_DEP_1)
	v_lshlrev_b64 v[10:11], 2, v[10:11]
	v_add_co_u32 v10, vcc_lo, v4, v10
	s_delay_alu instid0(VALU_DEP_2)
	v_add_co_ci_u32_e32 v11, vcc_lo, v5, v11, vcc_lo
	flat_store_b32 v[10:11], v12
	s_branch .LBB9_267
.LBB9_308:
	s_or_b32 exec_lo, exec_lo, s1
	s_delay_alu instid0(SALU_CYCLE_1)
	s_mov_b32 s1, exec_lo
	v_cmpx_gt_u32_e64 v2, v22
	s_cbranch_execz .LBB9_313
; %bb.309:
	v_lshlrev_b32_e32 v3, 2, v22
	s_mov_b32 s3, 0
	s_mov_b32 s2, exec_lo
	s_waitcnt vmcnt(0) lgkmcnt(0)
	s_delay_alu instid0(VALU_DEP_1)
	v_add_co_u32 v10, vcc_lo, v0, v3
	v_add_co_ci_u32_e32 v11, vcc_lo, 0, v1, vcc_lo
	flat_load_b32 v3, v[10:11]
	s_waitcnt vmcnt(0) lgkmcnt(0)
	v_cmp_gt_i32_e32 vcc_lo, 0, v3
	v_cndmask_b32_e64 v10, 0x7fffffff, 0, vcc_lo
	s_delay_alu instid0(VALU_DEP_1) | instskip(NEXT) | instid1(VALU_DEP_1)
	v_xor_b32_e32 v3, v10, v3
                                        ; implicit-def: $vgpr10
	v_and_b32_e32 v3, v3, v31
	s_delay_alu instid0(VALU_DEP_1)
	v_cmpx_ge_u32_e64 v3, v33
	s_xor_b32 s2, exec_lo, s2
	s_cbranch_execnz .LBB9_319
; %bb.310:
	s_and_not1_saveexec_b32 s2, s2
	s_cbranch_execnz .LBB9_324
.LBB9_311:
	s_or_b32 exec_lo, exec_lo, s2
	s_delay_alu instid0(SALU_CYCLE_1)
	s_and_b32 exec_lo, exec_lo, s3
	s_cbranch_execz .LBB9_313
.LBB9_312:
	s_waitcnt vmcnt(0) lgkmcnt(0)
	v_ashrrev_i32_e32 v11, 31, v10
	s_delay_alu instid0(VALU_DEP_1) | instskip(NEXT) | instid1(VALU_DEP_1)
	v_lshlrev_b64 v[10:11], 2, v[10:11]
	v_add_co_u32 v10, vcc_lo, v4, v10
	s_delay_alu instid0(VALU_DEP_2)
	v_add_co_ci_u32_e32 v11, vcc_lo, v5, v11, vcc_lo
	flat_store_b32 v[10:11], v22
.LBB9_313:
	s_or_b32 exec_lo, exec_lo, s1
	v_lshlrev_b32_e32 v3, 2, v24
	s_mov_b32 s1, exec_lo
	s_delay_alu instid0(VALU_DEP_1) | instskip(NEXT) | instid1(VALU_DEP_1)
	v_add3_u32 v2, v2, v22, v3
	v_cmpx_lt_i32_e64 v2, v6
	s_cbranch_execz .LBB9_318
; %bb.314:
	v_ashrrev_i32_e32 v3, 31, v2
	s_mov_b32 s3, 0
	s_mov_b32 s2, exec_lo
	s_waitcnt vmcnt(0) lgkmcnt(0)
	s_delay_alu instid0(VALU_DEP_1) | instskip(NEXT) | instid1(VALU_DEP_1)
	v_lshlrev_b64 v[10:11], 2, v[2:3]
	v_add_co_u32 v0, vcc_lo, v0, v10
	s_delay_alu instid0(VALU_DEP_2) | instskip(SKIP_4) | instid1(VALU_DEP_1)
	v_add_co_ci_u32_e32 v1, vcc_lo, v1, v11, vcc_lo
	flat_load_b32 v0, v[0:1]
	s_waitcnt vmcnt(0) lgkmcnt(0)
	v_cmp_gt_i32_e32 vcc_lo, 0, v0
	v_cndmask_b32_e64 v1, 0x7fffffff, 0, vcc_lo
	v_xor_b32_e32 v0, v1, v0
	s_delay_alu instid0(VALU_DEP_1) | instskip(NEXT) | instid1(VALU_DEP_1)
	v_and_b32_e32 v1, v0, v31
                                        ; implicit-def: $vgpr0
	v_cmpx_ge_u32_e64 v1, v33
	s_xor_b32 s2, exec_lo, s2
	s_cbranch_execnz .LBB9_325
; %bb.315:
	s_and_not1_saveexec_b32 s2, s2
	s_cbranch_execnz .LBB9_330
.LBB9_316:
	s_or_b32 exec_lo, exec_lo, s2
	s_delay_alu instid0(SALU_CYCLE_1)
	s_and_b32 exec_lo, exec_lo, s3
	s_cbranch_execz .LBB9_318
.LBB9_317:
	s_waitcnt vmcnt(0) lgkmcnt(0)
	v_ashrrev_i32_e32 v1, 31, v0
	s_delay_alu instid0(VALU_DEP_1) | instskip(NEXT) | instid1(VALU_DEP_1)
	v_lshlrev_b64 v[0:1], 2, v[0:1]
	v_add_co_u32 v0, vcc_lo, v4, v0
	s_delay_alu instid0(VALU_DEP_2)
	v_add_co_ci_u32_e32 v1, vcc_lo, v5, v1, vcc_lo
	flat_store_b32 v[0:1], v2
.LBB9_318:
	s_or_b32 exec_lo, exec_lo, s1
	s_delay_alu instid0(SALU_CYCLE_1)
	s_or_b32 exec_lo, exec_lo, s0
	s_waitcnt vmcnt(0) lgkmcnt(0)
	s_setpc_b64 s[30:31]
.LBB9_319:
	s_mov_b32 s4, 0
	s_mov_b32 s3, exec_lo
                                        ; implicit-def: $vgpr10
	v_cmpx_eq_u32_e64 v3, v33
	s_cbranch_execz .LBB9_323
; %bb.320:
	v_mov_b32_e32 v3, 1
	s_mov_b32 s5, exec_lo
                                        ; implicit-def: $vgpr10
	flat_atomic_add_u32 v3, v[8:9], v3 offset:512 glc
	s_waitcnt vmcnt(0) lgkmcnt(0)
	v_cmpx_lt_i32_e64 v3, v32
	s_xor_b32 s5, exec_lo, s5
; %bb.321:
	v_xad_u32 v10, v3, -1, v7
	s_mov_b32 s4, exec_lo
; %bb.322:
	s_or_b32 exec_lo, exec_lo, s5
	s_delay_alu instid0(SALU_CYCLE_1)
	s_and_b32 s4, s4, exec_lo
.LBB9_323:
	s_or_b32 exec_lo, exec_lo, s3
	s_delay_alu instid0(SALU_CYCLE_1)
	s_and_b32 s3, s4, exec_lo
	s_and_not1_saveexec_b32 s2, s2
	s_cbranch_execz .LBB9_311
.LBB9_324:
	v_mov_b32_e32 v3, 1
	s_or_b32 s3, s3, exec_lo
	flat_atomic_add_u32 v10, v[8:9], v3 offset:384 glc
	s_or_b32 exec_lo, exec_lo, s2
	s_delay_alu instid0(SALU_CYCLE_1)
	s_and_b32 exec_lo, exec_lo, s3
	s_cbranch_execnz .LBB9_312
	s_branch .LBB9_313
.LBB9_325:
	s_mov_b32 s4, 0
	s_mov_b32 s3, exec_lo
                                        ; implicit-def: $vgpr0
	v_cmpx_eq_u32_e64 v1, v33
	s_cbranch_execz .LBB9_329
; %bb.326:
	v_mov_b32_e32 v0, 1
	s_mov_b32 s5, exec_lo
	flat_atomic_add_u32 v1, v[8:9], v0 offset:512 glc
                                        ; implicit-def: $vgpr0
	s_waitcnt vmcnt(0) lgkmcnt(0)
	v_cmpx_lt_i32_e64 v1, v32
	s_xor_b32 s5, exec_lo, s5
; %bb.327:
	v_xad_u32 v0, v1, -1, v7
	s_mov_b32 s4, exec_lo
; %bb.328:
	s_or_b32 exec_lo, exec_lo, s5
	s_delay_alu instid0(SALU_CYCLE_1)
	s_and_b32 s4, s4, exec_lo
.LBB9_329:
	s_or_b32 exec_lo, exec_lo, s3
	s_delay_alu instid0(SALU_CYCLE_1)
	s_and_b32 s3, s4, exec_lo
                                        ; implicit-def: $vgpr8_vgpr9
	s_and_not1_saveexec_b32 s2, s2
	s_cbranch_execz .LBB9_316
.LBB9_330:
	v_mov_b32_e32 v0, 1
	s_or_b32 s3, s3, exec_lo
	flat_atomic_add_u32 v0, v[8:9], v0 offset:384 glc
	s_or_b32 exec_lo, exec_lo, s2
	s_delay_alu instid0(SALU_CYCLE_1)
	s_and_b32 exec_lo, exec_lo, s3
	s_cbranch_execnz .LBB9_317
	s_branch .LBB9_318
.Lfunc_end9:
	.size	_ZN5aiter2ob11last_filterIfiLi12ELb0ELb0EEEvPKT_PKT0_PS2_PS5_S5_S5_PNS0_7CounterIS2_S5_EEbib, .Lfunc_end9-_ZN5aiter2ob11last_filterIfiLi12ELb0ELb0EEEvPKT_PKT0_PS2_PS5_S5_S5_PNS0_7CounterIS2_S5_EEbib
                                        ; -- End function
	.section	.AMDGPU.csdata,"",@progbits
; Function info:
; codeLenInByte = 9288
; NumSgprs: 34
; NumVgprs: 81
; ScratchSize: 0
; MemoryBound: 0
	.section	.text._ZN5aiter2ob27radix_topk_one_block_kernelIfiLi12ELi1024ELb0ELb0ELNS0_5PhaseE0EEEvPKT_PKT0_lS8_S8_S6_PS3_PS6_bPci,"axG",@progbits,_ZN5aiter2ob27radix_topk_one_block_kernelIfiLi12ELi1024ELb0ELb0ELNS0_5PhaseE0EEEvPKT_PKT0_lS8_S8_S6_PS3_PS6_bPci,comdat
	.protected	_ZN5aiter2ob27radix_topk_one_block_kernelIfiLi12ELi1024ELb0ELb0ELNS0_5PhaseE0EEEvPKT_PKT0_lS8_S8_S6_PS3_PS6_bPci ; -- Begin function _ZN5aiter2ob27radix_topk_one_block_kernelIfiLi12ELi1024ELb0ELb0ELNS0_5PhaseE0EEEvPKT_PKT0_lS8_S8_S6_PS3_PS6_bPci
	.globl	_ZN5aiter2ob27radix_topk_one_block_kernelIfiLi12ELi1024ELb0ELb0ELNS0_5PhaseE0EEEvPKT_PKT0_lS8_S8_S6_PS3_PS6_bPci
	.p2align	8
	.type	_ZN5aiter2ob27radix_topk_one_block_kernelIfiLi12ELi1024ELb0ELb0ELNS0_5PhaseE0EEEvPKT_PKT0_lS8_S8_S6_PS3_PS6_bPci,@function
_ZN5aiter2ob27radix_topk_one_block_kernelIfiLi12ELi1024ELb0ELb0ELNS0_5PhaseE0EEEvPKT_PKT0_lS8_S8_S6_PS3_PS6_bPci: ; @_ZN5aiter2ob27radix_topk_one_block_kernelIfiLi12ELi1024ELb0ELb0ELNS0_5PhaseE0EEEvPKT_PKT0_lS8_S8_S6_PS3_PS6_bPci
; %bb.0:
	s_mov_b32 s18, s15
	s_clause 0x1
	s_load_b256 s[8:15], s[0:1], 0x0
	s_load_b64 s[2:3], s[0:1], 0x20
	v_mov_b32_e32 v40, v0
	s_mov_b32 s19, 0
	s_mov_b32 s32, 0
	s_waitcnt lgkmcnt(0)
	s_cmp_eq_u64 s[14:15], 0
	s_cselect_b32 s4, -1, 0
	s_cmp_eq_u64 s[2:3], 0
	s_cselect_b32 s5, -1, 0
	s_delay_alu instid0(SALU_CYCLE_1) | instskip(NEXT) | instid1(SALU_CYCLE_1)
	s_or_b32 s4, s4, s5
	s_and_b32 vcc_lo, exec_lo, s4
	s_mov_b32 s4, s12
	s_cbranch_vccnz .LBB10_2
; %bb.1:
	s_lshl_b64 s[4:5], s[18:19], 2
	s_delay_alu instid0(SALU_CYCLE_1)
	s_add_u32 s2, s2, s4
	s_addc_u32 s3, s3, s5
	s_add_u32 s4, s14, s4
	s_addc_u32 s5, s15, s5
	s_load_b32 s19, s[4:5], 0x0
	s_load_b32 s4, s[2:3], 0x0
.LBB10_2:
	s_load_b32 s24, s[0:1], 0x28
	v_cmp_ne_u32_e64 s3, 0, v40
	v_cmp_eq_u32_e64 s2, 0, v40
	s_waitcnt lgkmcnt(0)
	s_sub_i32 s25, s4, s19
	s_delay_alu instid0(VALU_DEP_1)
	s_and_saveexec_b32 s4, s2
	s_cbranch_execz .LBB10_4
; %bb.3:
	v_dual_mov_b32 v1, s25 :: v_dual_mov_b32 v0, s24
	v_dual_mov_b32 v3, 0 :: v_dual_mov_b32 v2, s25
	ds_store_b128 v3, v[0:3]
	ds_store_2addr_b32 v3, v3, v3 offset0:96 offset1:128
.LBB10_4:
	s_or_b32 exec_lo, exec_lo, s4
	s_load_b64 s[20:21], s[0:1], 0x38
	s_ashr_i32 s4, s24, 31
	s_mul_hi_u32 s5, s24, s18
	s_mul_i32 s4, s4, s18
	s_mul_i32 s14, s24, s18
	s_add_i32 s15, s5, s4
	s_cmp_gt_i32 s25, s24
	s_mov_b32 s4, -1
	s_waitcnt lgkmcnt(0)
	s_barrier
	buffer_gl0_inv
	s_cbranch_scc1 .LBB10_9
; %bb.5:
	s_mov_b32 s5, exec_lo
	v_cmpx_gt_i32_e64 s24, v40
	s_cbranch_execz .LBB10_8
; %bb.6:
	v_lshlrev_b32_e32 v0, 2, v40
	s_lshl_b64 s[6:7], s[14:15], 2
	v_mov_b32_e32 v2, v40
	s_add_u32 s4, s20, s6
	s_addc_u32 s6, s21, s7
	v_add_co_u32 v0, s4, s4, v0
	s_delay_alu instid0(VALU_DEP_1)
	v_add_co_ci_u32_e64 v1, null, s6, 0, s4
	s_mov_b32 s6, 0
.LBB10_7:                               ; =>This Inner Loop Header: Depth=1
	v_add_nc_u32_e32 v3, s19, v2
	v_cmp_gt_i32_e32 vcc_lo, s25, v2
	s_delay_alu instid0(VALU_DEP_2) | instskip(NEXT) | instid1(VALU_DEP_1)
	v_dual_cndmask_b32 v3, -1, v3 :: v_dual_add_nc_u32 v2, 0x400, v2
	v_cmp_le_i32_e32 vcc_lo, s24, v2
	global_store_b32 v[0:1], v3, off
	v_add_co_u32 v0, s4, 0x1000, v0
	s_delay_alu instid0(VALU_DEP_1) | instskip(SKIP_1) | instid1(SALU_CYCLE_1)
	v_add_co_ci_u32_e64 v1, s4, 0, v1, s4
	s_or_b32 s6, vcc_lo, s6
	s_and_not1_b32 exec_lo, exec_lo, s6
	s_cbranch_execnz .LBB10_7
.LBB10_8:
	s_or_b32 exec_lo, exec_lo, s5
	s_mov_b32 s4, 0
.LBB10_9:
	s_delay_alu instid0(SALU_CYCLE_1)
	s_and_not1_b32 vcc_lo, exec_lo, s4
	s_cbranch_vccnz .LBB10_182
; %bb.10:
	s_load_b32 s4, s[0:1], 0x64
	v_dual_mov_b32 v1, v40 :: v_dual_lshlrev_b32 v4, 2, v40
	v_mov_b32_e32 v0, 0
	s_delay_alu instid0(VALU_DEP_2) | instskip(NEXT) | instid1(VALU_DEP_1)
	v_add_nc_u32_e32 v30, 0x4480, v4
	v_mov_b32_e32 v2, v30
	s_waitcnt lgkmcnt(0)
	s_and_b32 s22, s4, 0xffff
	s_mov_b32 s4, 0
	s_lshl_b32 s23, s22, 2
.LBB10_11:                              ; =>This Inner Loop Header: Depth=1
	v_add_nc_u32_e32 v1, s22, v1
	ds_store_b32 v2, v0
	v_add_nc_u32_e32 v2, s23, v2
	v_cmp_lt_u32_e32 vcc_lo, 0xfff, v1
	s_or_b32 s4, vcc_lo, s4
	s_delay_alu instid0(SALU_CYCLE_1)
	s_and_not1_b32 exec_lo, exec_lo, s4
	s_cbranch_execnz .LBB10_11
; %bb.12:
	s_or_b32 exec_lo, exec_lo, s4
	s_and_saveexec_b32 s4, s2
	s_cbranch_execz .LBB10_14
; %bb.13:
	v_mov_b32_e32 v0, 0
	ds_store_b32 v0, v0 offset:128
.LBB10_14:
	s_or_b32 exec_lo, exec_lo, s4
	s_mul_i32 s4, s18, s13
	s_mul_hi_u32 s5, s18, s12
	s_ashr_i32 s6, s19, 31
	s_add_i32 s5, s5, s4
	s_mul_i32 s4, s18, s12
	s_mul_i32 s29, s22, 3
	s_add_u32 s4, s4, s19
	s_addc_u32 s5, s5, s6
	v_dual_mov_b32 v41, 0 :: v_dual_mov_b32 v0, v40
	s_lshl_b64 s[12:13], s[4:5], 2
	s_mov_b32 s5, 0
	s_add_u32 s27, s8, s12
	s_addc_u32 s26, s9, s13
	s_and_b32 s4, s27, 15
	s_waitcnt lgkmcnt(0)
	s_waitcnt_vscnt null, 0x0
	s_sub_i32 s6, 16, s4
	s_barrier
	s_lshr_b32 s6, s6, 2
	s_cmp_lg_u64 s[4:5], 0
	buffer_gl0_inv
	s_cselect_b32 s4, s6, 0
	s_delay_alu instid0(SALU_CYCLE_1) | instskip(NEXT) | instid1(SALU_CYCLE_1)
	s_min_i32 s6, s4, s25
	s_ashr_i32 s7, s6, 31
	s_delay_alu instid0(SALU_CYCLE_1) | instskip(NEXT) | instid1(SALU_CYCLE_1)
	s_lshl_b64 s[16:17], s[6:7], 2
	s_add_u32 s9, s27, s16
	s_addc_u32 s28, s26, s17
	s_sub_i32 s4, s25, s6
	s_delay_alu instid0(SALU_CYCLE_1) | instskip(NEXT) | instid1(SALU_CYCLE_1)
	s_ashr_i32 s7, s4, 31
	s_lshr_b32 s7, s7, 30
	s_delay_alu instid0(SALU_CYCLE_1) | instskip(SKIP_1) | instid1(VALU_DEP_1)
	s_add_i32 s4, s4, s7
	v_add_co_u32 v20, s7, s29, v40
	v_add_co_ci_u32_e64 v21, null, 0, 0, s7
	s_ashr_i32 s16, s4, 2
	s_lshl_b32 s4, s22, 4
	s_ashr_i32 s17, s16, 31
	s_add_u32 s30, s9, s4
	v_cmp_gt_u64_e64 s7, s[16:17], v[20:21]
	s_addc_u32 s31, s28, 0
	s_add_u32 s33, s30, s4
	s_addc_u32 s34, s31, 0
	s_delay_alu instid0(VALU_DEP_1)
	s_and_saveexec_b32 s4, s7
	s_cbranch_execz .LBB10_18
; %bb.15:
	v_dual_mov_b32 v5, 1 :: v_dual_mov_b32 v2, v20
	v_dual_mov_b32 v3, v21 :: v_dual_mov_b32 v0, v40
	v_mov_b32_e32 v1, v41
.LBB10_16:                              ; =>This Inner Loop Header: Depth=1
	s_delay_alu instid0(VALU_DEP_1) | instskip(NEXT) | instid1(VALU_DEP_3)
	v_lshlrev_b64 v[10:11], 4, v[0:1]
	v_lshlrev_b64 v[1:2], 4, v[2:3]
	v_add_nc_u32_e32 v0, s23, v0
	s_delay_alu instid0(VALU_DEP_3) | instskip(NEXT) | instid1(VALU_DEP_4)
	v_add_co_u32 v6, vcc_lo, s9, v10
	v_add_co_ci_u32_e32 v7, vcc_lo, s28, v11, vcc_lo
	v_add_co_u32 v12, vcc_lo, s30, v10
	v_add_co_ci_u32_e32 v13, vcc_lo, s31, v11, vcc_lo
	global_load_b128 v[6:9], v[6:7], off
	v_add_co_u32 v14, vcc_lo, s33, v10
	v_add_co_ci_u32_e32 v15, vcc_lo, s34, v11, vcc_lo
	global_load_b128 v[10:13], v[12:13], off
	v_add_co_u32 v1, vcc_lo, s9, v1
	v_add_co_ci_u32_e32 v2, vcc_lo, s28, v2, vcc_lo
	s_waitcnt vmcnt(1)
	v_cmp_gt_i32_e32 vcc_lo, 0, v6
	v_cndmask_b32_e64 v3, 0x7ff00000, 0, vcc_lo
	v_cmp_gt_i32_e32 vcc_lo, 0, v7
	s_delay_alu instid0(VALU_DEP_2) | instskip(SKIP_2) | instid1(VALU_DEP_3)
	v_xor_b32_e32 v3, v3, v6
	v_cndmask_b32_e64 v16, 0x7ff00000, 0, vcc_lo
	v_cmp_gt_i32_e32 vcc_lo, 0, v8
	v_lshrrev_b32_e32 v3, 18, v3
	s_delay_alu instid0(VALU_DEP_3) | instskip(SKIP_2) | instid1(VALU_DEP_4)
	v_xor_b32_e32 v6, v16, v7
	v_cndmask_b32_e64 v17, 0x7ff00000, 0, vcc_lo
	v_cmp_gt_i32_e32 vcc_lo, 0, v9
	v_and_b32_e32 v3, 0x3ffc, v3
	s_delay_alu instid0(VALU_DEP_4) | instskip(NEXT) | instid1(VALU_DEP_4)
	v_lshrrev_b32_e32 v6, 18, v6
	v_xor_b32_e32 v7, v17, v8
	v_cndmask_b32_e64 v18, 0x7ff00000, 0, vcc_lo
	s_waitcnt vmcnt(0)
	v_cmp_gt_i32_e32 vcc_lo, 0, v10
	v_and_b32_e32 v6, 0x3ffc, v6
	v_lshrrev_b32_e32 v7, 18, v7
	v_xor_b32_e32 v8, v18, v9
	s_delay_alu instid0(VALU_DEP_2) | instskip(NEXT) | instid1(VALU_DEP_2)
	v_and_b32_e32 v7, 0x3ffc, v7
	v_lshrrev_b32_e32 v8, 18, v8
	s_delay_alu instid0(VALU_DEP_1)
	v_and_b32_e32 v8, 0x3ffc, v8
	ds_add_u32 v3, v5 offset:17536
	ds_add_u32 v6, v5 offset:17536
	;; [unrolled: 1-line block ×4, first 2 shown]
	s_clause 0x1
	global_load_b128 v[6:9], v[14:15], off
	global_load_b128 v[14:17], v[1:2], off
	v_cndmask_b32_e64 v1, 0x7ff00000, 0, vcc_lo
	v_cmp_gt_i32_e32 vcc_lo, 0, v11
	s_delay_alu instid0(VALU_DEP_2) | instskip(SKIP_2) | instid1(VALU_DEP_3)
	v_xor_b32_e32 v1, v1, v10
	v_cndmask_b32_e64 v2, 0x7ff00000, 0, vcc_lo
	v_cmp_gt_i32_e32 vcc_lo, 0, v12
	v_lshrrev_b32_e32 v1, 18, v1
	s_delay_alu instid0(VALU_DEP_3) | instskip(SKIP_2) | instid1(VALU_DEP_4)
	v_xor_b32_e32 v2, v2, v11
	v_cndmask_b32_e64 v3, 0x7ff00000, 0, vcc_lo
	v_cmp_gt_i32_e32 vcc_lo, 0, v13
	v_and_b32_e32 v1, 0x3ffc, v1
	s_delay_alu instid0(VALU_DEP_4) | instskip(NEXT) | instid1(VALU_DEP_4)
	v_lshrrev_b32_e32 v2, 18, v2
	v_xor_b32_e32 v3, v3, v12
	v_cndmask_b32_e64 v18, 0x7ff00000, 0, vcc_lo
	s_delay_alu instid0(VALU_DEP_3) | instskip(NEXT) | instid1(VALU_DEP_3)
	v_and_b32_e32 v2, 0x3ffc, v2
	v_lshrrev_b32_e32 v3, 18, v3
	s_delay_alu instid0(VALU_DEP_3) | instskip(NEXT) | instid1(VALU_DEP_2)
	v_xor_b32_e32 v10, v18, v13
	v_and_b32_e32 v3, 0x3ffc, v3
	s_delay_alu instid0(VALU_DEP_2) | instskip(NEXT) | instid1(VALU_DEP_1)
	v_lshrrev_b32_e32 v10, 18, v10
	v_and_b32_e32 v10, 0x3ffc, v10
	ds_add_u32 v1, v5 offset:17536
	ds_add_u32 v2, v5 offset:17536
	;; [unrolled: 1-line block ×4, first 2 shown]
	s_waitcnt vmcnt(1)
	v_cmp_gt_i32_e32 vcc_lo, 0, v6
	v_cndmask_b32_e64 v1, 0x7ff00000, 0, vcc_lo
	v_cmp_gt_i32_e32 vcc_lo, 0, v7
	s_delay_alu instid0(VALU_DEP_2) | instskip(SKIP_2) | instid1(VALU_DEP_3)
	v_xor_b32_e32 v1, v1, v6
	v_cndmask_b32_e64 v2, 0x7ff00000, 0, vcc_lo
	v_cmp_gt_i32_e32 vcc_lo, 0, v8
	v_lshrrev_b32_e32 v1, 18, v1
	s_delay_alu instid0(VALU_DEP_3) | instskip(SKIP_2) | instid1(VALU_DEP_4)
	v_xor_b32_e32 v2, v2, v7
	v_cndmask_b32_e64 v3, 0x7ff00000, 0, vcc_lo
	v_cmp_gt_i32_e32 vcc_lo, 0, v9
	v_and_b32_e32 v1, 0x3ffc, v1
	s_delay_alu instid0(VALU_DEP_4) | instskip(NEXT) | instid1(VALU_DEP_4)
	v_lshrrev_b32_e32 v2, 18, v2
	v_xor_b32_e32 v3, v3, v8
	v_cndmask_b32_e64 v10, 0x7ff00000, 0, vcc_lo
	s_waitcnt vmcnt(0)
	v_cmp_gt_i32_e32 vcc_lo, 0, v14
	v_and_b32_e32 v2, 0x3ffc, v2
	v_lshrrev_b32_e32 v3, 18, v3
	v_xor_b32_e32 v6, v10, v9
	v_cndmask_b32_e64 v11, 0x7ff00000, 0, vcc_lo
	v_cmp_gt_i32_e32 vcc_lo, 0, v15
	s_delay_alu instid0(VALU_DEP_4) | instskip(NEXT) | instid1(VALU_DEP_4)
	v_and_b32_e32 v3, 0x3ffc, v3
	v_lshrrev_b32_e32 v6, 18, v6
	s_delay_alu instid0(VALU_DEP_4) | instskip(SKIP_2) | instid1(VALU_DEP_4)
	v_xor_b32_e32 v7, v11, v14
	v_cndmask_b32_e64 v12, 0x7ff00000, 0, vcc_lo
	v_cmp_gt_i32_e32 vcc_lo, 0, v16
	v_and_b32_e32 v6, 0x3ffc, v6
	s_delay_alu instid0(VALU_DEP_4) | instskip(NEXT) | instid1(VALU_DEP_4)
	v_lshrrev_b32_e32 v7, 18, v7
	v_xor_b32_e32 v8, v12, v15
	v_cndmask_b32_e64 v13, 0x7ff00000, 0, vcc_lo
	v_cmp_gt_i32_e32 vcc_lo, 0, v17
	s_delay_alu instid0(VALU_DEP_4) | instskip(NEXT) | instid1(VALU_DEP_4)
	v_and_b32_e32 v7, 0x3ffc, v7
	v_lshrrev_b32_e32 v8, 18, v8
	s_delay_alu instid0(VALU_DEP_4) | instskip(SKIP_1) | instid1(VALU_DEP_3)
	v_xor_b32_e32 v9, v13, v16
	v_cndmask_b32_e64 v18, 0x7ff00000, 0, vcc_lo
	v_and_b32_e32 v8, 0x3ffc, v8
	s_delay_alu instid0(VALU_DEP_3) | instskip(NEXT) | instid1(VALU_DEP_3)
	v_lshrrev_b32_e32 v9, 18, v9
	v_xor_b32_e32 v10, v18, v17
	s_delay_alu instid0(VALU_DEP_2) | instskip(NEXT) | instid1(VALU_DEP_2)
	v_and_b32_e32 v9, 0x3ffc, v9
	v_lshrrev_b32_e32 v10, 18, v10
	s_delay_alu instid0(VALU_DEP_1)
	v_and_b32_e32 v10, 0x3ffc, v10
	ds_add_u32 v1, v5 offset:17536
	ds_add_u32 v2, v5 offset:17536
	;; [unrolled: 1-line block ×8, first 2 shown]
	v_ashrrev_i32_e32 v1, 31, v0
	v_add_co_u32 v2, vcc_lo, s29, v0
	s_delay_alu instid0(VALU_DEP_2) | instskip(NEXT) | instid1(VALU_DEP_1)
	v_add_co_ci_u32_e32 v3, vcc_lo, 0, v1, vcc_lo
	v_cmp_le_u64_e32 vcc_lo, s[16:17], v[2:3]
	s_or_b32 s5, vcc_lo, s5
	s_delay_alu instid0(SALU_CYCLE_1)
	s_and_not1_b32 exec_lo, exec_lo, s5
	s_cbranch_execnz .LBB10_16
; %bb.17:
	s_or_b32 exec_lo, exec_lo, s5
.LBB10_18:
	s_delay_alu instid0(SALU_CYCLE_1) | instskip(NEXT) | instid1(SALU_CYCLE_1)
	s_or_b32 exec_lo, exec_lo, s4
	s_mov_b32 s4, exec_lo
	v_cmpx_gt_i32_e64 s16, v0
	s_cbranch_execz .LBB10_21
; %bb.19:
	v_mov_b32_e32 v2, 1
	s_mov_b32 s5, 0
.LBB10_20:                              ; =>This Inner Loop Header: Depth=1
	v_ashrrev_i32_e32 v1, 31, v0
	s_delay_alu instid0(VALU_DEP_1) | instskip(SKIP_1) | instid1(VALU_DEP_2)
	v_lshlrev_b64 v[5:6], 4, v[0:1]
	v_add_nc_u32_e32 v0, s22, v0
	v_add_co_u32 v5, vcc_lo, s9, v5
	s_delay_alu instid0(VALU_DEP_3)
	v_add_co_ci_u32_e32 v6, vcc_lo, s28, v6, vcc_lo
	global_load_b128 v[5:8], v[5:6], off
	s_waitcnt vmcnt(0)
	v_cmp_gt_i32_e32 vcc_lo, 0, v5
	v_cndmask_b32_e64 v1, 0x7ff00000, 0, vcc_lo
	v_cmp_gt_i32_e32 vcc_lo, 0, v6
	s_delay_alu instid0(VALU_DEP_2) | instskip(SKIP_2) | instid1(VALU_DEP_3)
	v_xor_b32_e32 v1, v1, v5
	v_cndmask_b32_e64 v3, 0x7ff00000, 0, vcc_lo
	v_cmp_gt_i32_e32 vcc_lo, 0, v7
	v_lshrrev_b32_e32 v1, 18, v1
	s_delay_alu instid0(VALU_DEP_3) | instskip(SKIP_2) | instid1(VALU_DEP_4)
	v_xor_b32_e32 v3, v3, v6
	v_cndmask_b32_e64 v9, 0x7ff00000, 0, vcc_lo
	v_cmp_gt_i32_e32 vcc_lo, 0, v8
	v_and_b32_e32 v1, 0x3ffc, v1
	s_delay_alu instid0(VALU_DEP_4) | instskip(NEXT) | instid1(VALU_DEP_4)
	v_lshrrev_b32_e32 v3, 18, v3
	v_xor_b32_e32 v5, v9, v7
	v_cndmask_b32_e64 v10, 0x7ff00000, 0, vcc_lo
	v_cmp_le_i32_e32 vcc_lo, s16, v0
	s_delay_alu instid0(VALU_DEP_4) | instskip(NEXT) | instid1(VALU_DEP_4)
	v_and_b32_e32 v3, 0x3ffc, v3
	v_lshrrev_b32_e32 v5, 18, v5
	s_delay_alu instid0(VALU_DEP_4) | instskip(SKIP_1) | instid1(VALU_DEP_2)
	v_xor_b32_e32 v6, v10, v8
	s_or_b32 s5, vcc_lo, s5
	v_and_b32_e32 v5, 0x3ffc, v5
	s_delay_alu instid0(VALU_DEP_2) | instskip(NEXT) | instid1(VALU_DEP_1)
	v_lshrrev_b32_e32 v6, 18, v6
	v_and_b32_e32 v6, 0x3ffc, v6
	ds_add_u32 v1, v2 offset:17536
	ds_add_u32 v3, v2 offset:17536
	;; [unrolled: 1-line block ×4, first 2 shown]
	s_and_not1_b32 exec_lo, exec_lo, s5
	s_cbranch_execnz .LBB10_20
.LBB10_21:
	s_or_b32 exec_lo, exec_lo, s4
	v_lshlrev_b32_e32 v42, 2, v40
	v_cmp_gt_u32_e64 s4, s6, v40
	s_delay_alu instid0(VALU_DEP_2) | instskip(NEXT) | instid1(VALU_DEP_1)
	v_add_co_u32 v22, s5, s27, v42
	v_add_co_ci_u32_e64 v23, null, s26, 0, s5
	s_delay_alu instid0(VALU_DEP_3)
	s_and_saveexec_b32 s5, s4
	s_cbranch_execz .LBB10_23
; %bb.22:
	global_load_b32 v0, v[22:23], off
	s_waitcnt vmcnt(0)
	v_cmp_gt_i32_e32 vcc_lo, 0, v0
	v_cndmask_b32_e64 v1, 0x7ff00000, 0, vcc_lo
	s_delay_alu instid0(VALU_DEP_1) | instskip(SKIP_1) | instid1(VALU_DEP_2)
	v_xor_b32_e32 v0, v1, v0
	v_mov_b32_e32 v1, 1
	v_lshrrev_b32_e32 v0, 18, v0
	s_delay_alu instid0(VALU_DEP_1)
	v_and_b32_e32 v0, 0x3ffc, v0
	ds_add_u32 v0, v1 offset:17536
.LBB10_23:
	s_or_b32 exec_lo, exec_lo, s5
	s_lshl_b32 s5, s16, 2
	s_delay_alu instid0(SALU_CYCLE_1) | instskip(NEXT) | instid1(VALU_DEP_1)
	v_add3_u32 v0, s5, s6, v40
	v_ashrrev_i32_e32 v1, 31, v0
	v_cmp_gt_i32_e64 s5, s25, v0
	s_delay_alu instid0(VALU_DEP_2) | instskip(NEXT) | instid1(VALU_DEP_1)
	v_lshlrev_b64 v[1:2], 2, v[0:1]
	v_add_co_u32 v24, vcc_lo, s27, v1
	s_delay_alu instid0(VALU_DEP_2) | instskip(NEXT) | instid1(VALU_DEP_4)
	v_add_co_ci_u32_e32 v25, vcc_lo, s26, v2, vcc_lo
	s_and_saveexec_b32 s6, s5
	s_cbranch_execz .LBB10_25
; %bb.24:
	global_load_b32 v0, v[24:25], off
	s_waitcnt vmcnt(0)
	v_cmp_gt_i32_e32 vcc_lo, 0, v0
	v_cndmask_b32_e64 v1, 0x7ff00000, 0, vcc_lo
	s_delay_alu instid0(VALU_DEP_1) | instskip(SKIP_1) | instid1(VALU_DEP_2)
	v_xor_b32_e32 v0, v1, v0
	v_mov_b32_e32 v1, 1
	v_lshrrev_b32_e32 v0, 18, v0
	s_delay_alu instid0(VALU_DEP_1)
	v_and_b32_e32 v0, 0x3ffc, v0
	ds_add_u32 v0, v1 offset:17536
.LBB10_25:
	s_or_b32 exec_lo, exec_lo, s6
	s_mov_b64 s[36:37], src_shared_base
	s_delay_alu instid0(SALU_CYCLE_1)
	v_dual_mov_b32 v15, s37 :: v_dual_add_nc_u32 v14, 0x5480, v4
	v_dual_mov_b32 v13, s37 :: v_dual_add_nc_u32 v12, 0x4480, v4
	;; [unrolled: 1-line block ×4, first 2 shown]
	s_waitcnt lgkmcnt(0)
	s_barrier
	buffer_gl0_inv
	flat_load_b32 v0, v[12:13] glc dlc
	s_waitcnt vmcnt(0)
	flat_load_b32 v1, v[14:15] glc dlc
	s_waitcnt vmcnt(0)
	;; [unrolled: 2-line block ×4, first 2 shown]
	v_or_b32_e32 v5, 0x400, v40
	v_or_b32_e32 v6, 0x800, v40
	;; [unrolled: 1-line block ×3, first 2 shown]
	v_lshrrev_b32_e32 v10, 3, v40
	v_mul_u32_u24_e32 v11, 33, v40
	v_lshrrev_b32_e32 v5, 3, v5
	v_lshrrev_b32_e32 v6, 3, v6
	;; [unrolled: 1-line block ×3, first 2 shown]
	v_and_b32_e32 v8, 0x7c, v10
	v_cmp_gt_u32_e64 s6, 32, v40
	v_and_b32_e32 v5, 0xfc, v5
	v_and_b32_e32 v6, 0x17c, v6
	;; [unrolled: 1-line block ×3, first 2 shown]
	v_add_nc_u32_e32 v8, v4, v8
	v_lshl_add_u32 v29, v11, 2, 0x280
	v_add_nc_u32_e32 v9, v5, v4
	v_add_nc_u32_e32 v5, v4, v6
	;; [unrolled: 1-line block ×3, first 2 shown]
	v_add_lshl_u32 v7, v10, v4, 2
	s_waitcnt lgkmcnt(3)
	ds_store_b32 v8, v0 offset:640
	s_waitcnt lgkmcnt(3)
	ds_store_b32 v9, v1 offset:4736
	;; [unrolled: 2-line block ×4, first 2 shown]
	s_waitcnt lgkmcnt(0)
	s_barrier
	buffer_gl0_inv
	ds_load_2addr_b32 v[2:3], v7 offset0:160 offset1:161
	ds_load_2addr_b32 v[0:1], v7 offset0:162 offset1:163
	s_waitcnt lgkmcnt(0)
	s_barrier
	buffer_gl0_inv
	v_add_nc_u32_e32 v10, v3, v2
	s_delay_alu instid0(VALU_DEP_1)
	v_add3_u32 v10, v10, v0, v1
	ds_store_b32 v8, v10 offset:640
	s_waitcnt lgkmcnt(0)
	s_barrier
	buffer_gl0_inv
	s_and_saveexec_b32 s8, s6
	s_cbranch_execz .LBB10_27
; %bb.26:
	ds_load_2addr_b32 v[26:27], v29 offset1:1
	ds_load_2addr_b32 v[31:32], v29 offset0:2 offset1:3
	ds_load_2addr_b32 v[33:34], v29 offset0:4 offset1:5
	;; [unrolled: 1-line block ×7, first 2 shown]
	v_mbcnt_lo_u32_b32 v28, -1, 0
	ds_load_2addr_b32 v[49:50], v29 offset0:16 offset1:17
	ds_load_2addr_b32 v[51:52], v29 offset0:18 offset1:19
	ds_load_2addr_b32 v[53:54], v29 offset0:20 offset1:21
	ds_load_2addr_b32 v[55:56], v29 offset0:22 offset1:23
	ds_load_2addr_b32 v[57:58], v29 offset0:24 offset1:25
	ds_load_2addr_b32 v[59:60], v29 offset0:26 offset1:27
	ds_load_2addr_b32 v[61:62], v29 offset0:28 offset1:29
	ds_load_2addr_b32 v[63:64], v29 offset0:30 offset1:31
	v_and_b32_e32 v39, 15, v28
	v_bfe_i32 v66, v28, 4, 1
	s_waitcnt lgkmcnt(15)
	v_add_nc_u32_e32 v11, v27, v26
	s_delay_alu instid0(VALU_DEP_3) | instskip(SKIP_1) | instid1(VALU_DEP_2)
	v_cmp_ne_u32_e32 vcc_lo, 0, v39
	s_waitcnt lgkmcnt(14)
	v_add3_u32 v11, v11, v31, v32
	s_waitcnt lgkmcnt(13)
	s_delay_alu instid0(VALU_DEP_1) | instskip(SKIP_1) | instid1(VALU_DEP_1)
	v_add3_u32 v11, v11, v33, v34
	s_waitcnt lgkmcnt(12)
	v_add3_u32 v11, v11, v35, v36
	s_waitcnt lgkmcnt(11)
	s_delay_alu instid0(VALU_DEP_1) | instskip(SKIP_1) | instid1(VALU_DEP_1)
	v_add3_u32 v11, v11, v37, v38
	;; [unrolled: 5-line block ×7, first 2 shown]
	s_waitcnt lgkmcnt(0)
	v_add3_u32 v11, v11, v63, v64
	s_delay_alu instid0(VALU_DEP_1) | instskip(NEXT) | instid1(VALU_DEP_1)
	v_mov_b32_dpp v65, v11 row_shr:1 row_mask:0xf bank_mask:0xf
	v_cndmask_b32_e32 v65, 0, v65, vcc_lo
	v_cmp_lt_u32_e32 vcc_lo, 1, v39
	s_delay_alu instid0(VALU_DEP_2) | instskip(NEXT) | instid1(VALU_DEP_1)
	v_add_nc_u32_e32 v11, v65, v11
	v_mov_b32_dpp v65, v11 row_shr:2 row_mask:0xf bank_mask:0xf
	s_delay_alu instid0(VALU_DEP_1) | instskip(SKIP_1) | instid1(VALU_DEP_2)
	v_cndmask_b32_e32 v65, 0, v65, vcc_lo
	v_cmp_lt_u32_e32 vcc_lo, 3, v39
	v_add_nc_u32_e32 v11, v11, v65
	s_delay_alu instid0(VALU_DEP_1) | instskip(NEXT) | instid1(VALU_DEP_1)
	v_mov_b32_dpp v65, v11 row_shr:4 row_mask:0xf bank_mask:0xf
	v_cndmask_b32_e32 v65, 0, v65, vcc_lo
	v_cmp_lt_u32_e32 vcc_lo, 7, v39
	s_delay_alu instid0(VALU_DEP_2) | instskip(NEXT) | instid1(VALU_DEP_1)
	v_add_nc_u32_e32 v11, v11, v65
	v_mov_b32_dpp v65, v11 row_shr:8 row_mask:0xf bank_mask:0xf
	s_delay_alu instid0(VALU_DEP_1) | instskip(SKIP_1) | instid1(VALU_DEP_2)
	v_cndmask_b32_e32 v39, 0, v65, vcc_lo
	v_add_nc_u32_e32 v65, -1, v28
	v_add_nc_u32_e32 v11, v11, v39
	s_delay_alu instid0(VALU_DEP_2) | instskip(SKIP_2) | instid1(VALU_DEP_1)
	v_cmp_gt_i32_e32 vcc_lo, 0, v65
	ds_swizzle_b32 v39, v11 offset:swizzle(BROADCAST,32,15)
	v_cndmask_b32_e32 v28, v65, v28, vcc_lo
	v_lshlrev_b32_e32 v28, 2, v28
	s_waitcnt lgkmcnt(0)
	v_and_b32_e32 v39, v66, v39
	s_delay_alu instid0(VALU_DEP_1) | instskip(SKIP_3) | instid1(VALU_DEP_1)
	v_add_nc_u32_e32 v11, v11, v39
	ds_bpermute_b32 v11, v28, v11
	s_waitcnt lgkmcnt(0)
	v_add_nc_u32_e32 v11, v11, v26
	v_cndmask_b32_e64 v10, v11, v10, s2
	s_delay_alu instid0(VALU_DEP_1) | instskip(NEXT) | instid1(VALU_DEP_1)
	v_add_nc_u32_e32 v11, v10, v27
	v_add_nc_u32_e32 v26, v11, v31
	s_delay_alu instid0(VALU_DEP_1) | instskip(NEXT) | instid1(VALU_DEP_1)
	v_add_nc_u32_e32 v27, v26, v32
	v_add_nc_u32_e32 v28, v27, v33
	;; [unrolled: 3-line block ×3, first 2 shown]
	s_delay_alu instid0(VALU_DEP_1)
	v_add_nc_u32_e32 v33, v32, v36
	ds_store_2addr_b32 v29, v10, v11 offset1:1
	ds_store_2addr_b32 v29, v26, v27 offset0:2 offset1:3
	ds_store_2addr_b32 v29, v28, v31 offset0:4 offset1:5
	;; [unrolled: 1-line block ×3, first 2 shown]
	v_add_nc_u32_e32 v34, v33, v37
	s_delay_alu instid0(VALU_DEP_1) | instskip(NEXT) | instid1(VALU_DEP_1)
	v_add_nc_u32_e32 v35, v34, v38
	v_add_nc_u32_e32 v36, v35, v43
	s_delay_alu instid0(VALU_DEP_1) | instskip(NEXT) | instid1(VALU_DEP_1)
	v_add_nc_u32_e32 v37, v36, v44
	;; [unrolled: 3-line block ×3, first 2 shown]
	v_add_nc_u32_e32 v43, v39, v47
	s_delay_alu instid0(VALU_DEP_1)
	v_add_nc_u32_e32 v44, v43, v48
	ds_store_2addr_b32 v29, v34, v35 offset0:8 offset1:9
	ds_store_2addr_b32 v29, v36, v37 offset0:10 offset1:11
	;; [unrolled: 1-line block ×4, first 2 shown]
	v_add_nc_u32_e32 v45, v44, v49
	s_delay_alu instid0(VALU_DEP_1) | instskip(NEXT) | instid1(VALU_DEP_1)
	v_add_nc_u32_e32 v46, v45, v50
	v_add_nc_u32_e32 v47, v46, v51
	s_delay_alu instid0(VALU_DEP_1) | instskip(NEXT) | instid1(VALU_DEP_1)
	v_add_nc_u32_e32 v48, v47, v52
	;; [unrolled: 3-line block ×7, first 2 shown]
	v_add_nc_u32_e32 v10, v58, v63
	s_delay_alu instid0(VALU_DEP_1)
	v_add_nc_u32_e32 v11, v10, v64
	ds_store_2addr_b32 v29, v45, v46 offset0:16 offset1:17
	ds_store_2addr_b32 v29, v47, v48 offset0:18 offset1:19
	;; [unrolled: 1-line block ×8, first 2 shown]
.LBB10_27:
	s_or_b32 exec_lo, exec_lo, s8
	v_add_nc_u32_e32 v10, -1, v40
	v_dual_mov_b32 v5, 0 :: v_dual_add_nc_u32 v34, 0x280, v5
	v_add_nc_u32_e32 v32, 0x280, v8
	v_add_nc_u32_e32 v33, 0x280, v9
	s_delay_alu instid0(VALU_DEP_4) | instskip(SKIP_3) | instid1(VALU_DEP_3)
	v_lshrrev_b32_e32 v11, 5, v10
	v_dual_mov_b32 v6, 0 :: v_dual_add_nc_u32 v35, 0x280, v6
	v_add_nc_u32_e32 v36, 0x280, v7
	s_waitcnt lgkmcnt(0)
	v_add_nc_u32_e32 v8, v11, v10
	s_barrier
	buffer_gl0_inv
	v_lshl_add_u32 v37, v8, 2, 0x280
	s_and_saveexec_b32 s8, s3
	s_cbranch_execz .LBB10_29
; %bb.28:
	ds_load_b32 v6, v37
.LBB10_29:
	s_or_b32 exec_lo, exec_lo, s8
	s_waitcnt lgkmcnt(0)
	v_add_nc_u32_e32 v2, v6, v2
	v_add_nc_u32_e32 v31, 0x447c, v4
	s_barrier
	buffer_gl0_inv
	v_add_nc_u32_e32 v3, v2, v3
	s_lshl_b32 s36, s22, 20
	s_mov_b32 s35, 0
	s_delay_alu instid0(VALU_DEP_1) | instskip(NEXT) | instid1(VALU_DEP_1)
	v_add_nc_u32_e32 v0, v3, v0
	v_add_nc_u32_e32 v1, v0, v1
	ds_store_2addr_b32 v36, v2, v3 offset1:1
	ds_store_2addr_b32 v36, v0, v1 offset0:2 offset1:3
	s_waitcnt lgkmcnt(0)
	s_barrier
	buffer_gl0_inv
	ds_load_b32 v0, v32
	ds_load_b32 v1, v33 offset:4096
	ds_load_b32 v2, v34 offset:8192
	;; [unrolled: 1-line block ×3, first 2 shown]
	s_waitcnt lgkmcnt(3)
	flat_store_b32 v[12:13], v0 dlc
	s_waitcnt_vscnt null, 0x0
	s_waitcnt lgkmcnt(3)
	flat_store_b32 v[14:15], v1 dlc
	s_waitcnt_vscnt null, 0x0
	;; [unrolled: 3-line block ×4, first 2 shown]
	v_mov_b32_e32 v2, v31
	s_waitcnt lgkmcnt(0)
	s_barrier
	buffer_gl0_inv
	ds_load_b32 v0, v5 offset:12
	v_lshlrev_b32_e32 v1, 20, v40
	v_mov_b32_e32 v3, v40
	s_set_inst_prefetch_distance 0x1
	s_branch .LBB10_31
	.p2align	6
.LBB10_30:                              ;   in Loop: Header=BB10_31 Depth=1
	s_or_b32 exec_lo, exec_lo, s8
	v_add_nc_u32_e32 v3, s22, v3
	v_add_nc_u32_e32 v2, s23, v2
	;; [unrolled: 1-line block ×3, first 2 shown]
	s_delay_alu instid0(VALU_DEP_3) | instskip(SKIP_1) | instid1(SALU_CYCLE_1)
	v_cmp_lt_u32_e32 vcc_lo, 0xfff, v3
	s_or_b32 s35, vcc_lo, s35
	s_and_not1_b32 exec_lo, exec_lo, s35
	s_cbranch_execz .LBB10_35
.LBB10_31:                              ; =>This Inner Loop Header: Depth=1
	v_mov_b32_e32 v4, 0
	s_mov_b32 s8, exec_lo
	v_cmpx_ne_u32_e32 0, v3
	s_cbranch_execz .LBB10_33
; %bb.32:                               ;   in Loop: Header=BB10_31 Depth=1
	ds_load_b32 v4, v2
.LBB10_33:                              ;   in Loop: Header=BB10_31 Depth=1
	s_or_b32 exec_lo, exec_lo, s8
	ds_load_b32 v6, v2 offset:4
	s_waitcnt lgkmcnt(1)
	v_cmp_gt_i32_e32 vcc_lo, s24, v4
	s_waitcnt lgkmcnt(0)
	v_cmp_le_i32_e64 s8, s24, v6
	s_delay_alu instid0(VALU_DEP_1) | instskip(NEXT) | instid1(SALU_CYCLE_1)
	s_and_b32 s37, vcc_lo, s8
	s_and_saveexec_b32 s8, s37
	s_cbranch_execz .LBB10_30
; %bb.34:                               ;   in Loop: Header=BB10_31 Depth=1
	v_sub_nc_u32_e32 v7, s24, v4
	v_sub_nc_u32_e32 v8, v6, v4
	v_or_b32_e32 v0, v0, v1
	ds_store_b64 v5, v[7:8]
	ds_store_b32 v5, v0 offset:12
	s_branch .LBB10_30
.LBB10_35:
	s_set_inst_prefetch_distance 0x2
	s_or_b32 exec_lo, exec_lo, s35
	s_and_saveexec_b32 s8, s2
	s_cbranch_execz .LBB10_37
; %bb.36:
	v_mov_b32_e32 v0, 0
	ds_load_b32 v1, v0 offset:4
	s_waitcnt lgkmcnt(0)
	ds_store_b32 v0, v1 offset:8
.LBB10_37:
	s_or_b32 exec_lo, exec_lo, s8
	v_mov_b32_e32 v0, 0
	s_waitcnt lgkmcnt(0)
	s_barrier
	buffer_gl0_inv
	s_mov_b32 s35, 0
	ds_load_b64 v[26:27], v0
	s_waitcnt lgkmcnt(0)
	v_cmp_eq_u32_e32 vcc_lo, v27, v26
	s_cbranch_vccnz .LBB10_178
; %bb.38:
	v_dual_mov_b32 v1, v30 :: v_dual_mov_b32 v2, v40
	s_mov_b32 s8, 0
.LBB10_39:                              ; =>This Inner Loop Header: Depth=1
	s_delay_alu instid0(VALU_DEP_1) | instskip(SKIP_4) | instid1(SALU_CYCLE_1)
	v_add_nc_u32_e32 v2, s22, v2
	ds_store_b32 v1, v0
	v_add_nc_u32_e32 v1, s23, v1
	v_cmp_lt_u32_e32 vcc_lo, 0xfff, v2
	s_or_b32 s8, vcc_lo, s8
	s_and_not1_b32 exec_lo, exec_lo, s8
	s_cbranch_execnz .LBB10_39
; %bb.40:
	s_or_b32 exec_lo, exec_lo, s8
	s_and_saveexec_b32 s8, s2
	s_cbranch_execz .LBB10_42
; %bb.41:
	v_mov_b32_e32 v0, 0
	ds_store_b32 v0, v0 offset:128
.LBB10_42:
	s_or_b32 exec_lo, exec_lo, s8
	v_dual_mov_b32 v0, 0 :: v_dual_mov_b32 v27, v40
	s_waitcnt lgkmcnt(0)
	s_barrier
	buffer_gl0_inv
	ds_load_b32 v38, v0 offset:12
	s_and_saveexec_b32 s8, s7
	s_cbranch_execz .LBB10_78
; %bb.43:
	v_dual_mov_b32 v39, 1 :: v_dual_mov_b32 v8, v20
	v_mov_b32_e32 v9, v21
	v_dual_mov_b32 v27, v40 :: v_dual_mov_b32 v28, v41
	s_mov_b32 s35, 0
	s_branch .LBB10_45
.LBB10_44:                              ;   in Loop: Header=BB10_45 Depth=1
	s_or_b32 exec_lo, exec_lo, s36
	v_add_nc_u32_e32 v27, s23, v27
	s_delay_alu instid0(VALU_DEP_1) | instskip(SKIP_1) | instid1(VALU_DEP_2)
	v_ashrrev_i32_e32 v28, 31, v27
	v_add_co_u32 v8, vcc_lo, s29, v27
	v_add_co_ci_u32_e32 v9, vcc_lo, 0, v28, vcc_lo
	s_delay_alu instid0(VALU_DEP_1) | instskip(SKIP_1) | instid1(SALU_CYCLE_1)
	v_cmp_le_u64_e32 vcc_lo, s[16:17], v[8:9]
	s_or_b32 s35, vcc_lo, s35
	s_and_not1_b32 exec_lo, exec_lo, s35
	s_cbranch_execz .LBB10_77
.LBB10_45:                              ; =>This Inner Loop Header: Depth=1
	s_delay_alu instid0(VALU_DEP_1) | instskip(SKIP_1) | instid1(VALU_DEP_1)
	v_lshlrev_b64 v[10:11], 4, v[27:28]
	s_mov_b32 s36, exec_lo
	v_add_co_u32 v0, vcc_lo, s9, v10
	s_delay_alu instid0(VALU_DEP_2)
	v_add_co_ci_u32_e32 v1, vcc_lo, s28, v11, vcc_lo
	v_add_co_u32 v4, vcc_lo, s30, v10
	v_add_co_ci_u32_e32 v5, vcc_lo, s31, v11, vcc_lo
	s_clause 0x1
	global_load_b128 v[0:3], v[0:1], off
	global_load_b128 v[4:7], v[4:5], off
	s_waitcnt vmcnt(1)
	v_cmp_gt_i32_e32 vcc_lo, 0, v0
	v_cndmask_b32_e64 v28, 0x7fffffff, 0, vcc_lo
	s_delay_alu instid0(VALU_DEP_1) | instskip(NEXT) | instid1(VALU_DEP_1)
	v_xor_b32_e32 v0, v28, v0
	v_and_b32_e32 v28, 0xfff00000, v0
	s_waitcnt lgkmcnt(0)
	s_delay_alu instid0(VALU_DEP_1)
	v_cmpx_eq_u32_e64 v28, v38
	s_cbranch_execz .LBB10_47
; %bb.46:                               ;   in Loop: Header=BB10_45 Depth=1
	v_lshrrev_b32_e32 v0, 6, v0
	s_delay_alu instid0(VALU_DEP_1)
	v_and_b32_e32 v0, 0x3ffc, v0
	ds_add_u32 v0, v39 offset:17536
.LBB10_47:                              ;   in Loop: Header=BB10_45 Depth=1
	s_or_b32 exec_lo, exec_lo, s36
	v_cmp_gt_i32_e32 vcc_lo, 0, v1
	s_mov_b32 s36, exec_lo
	v_cndmask_b32_e64 v0, 0x7fffffff, 0, vcc_lo
	s_delay_alu instid0(VALU_DEP_1) | instskip(NEXT) | instid1(VALU_DEP_1)
	v_xor_b32_e32 v0, v0, v1
	v_and_b32_e32 v1, 0xfff00000, v0
	s_delay_alu instid0(VALU_DEP_1)
	v_cmpx_eq_u32_e64 v1, v38
	s_cbranch_execz .LBB10_49
; %bb.48:                               ;   in Loop: Header=BB10_45 Depth=1
	v_lshrrev_b32_e32 v0, 6, v0
	s_delay_alu instid0(VALU_DEP_1)
	v_and_b32_e32 v0, 0x3ffc, v0
	ds_add_u32 v0, v39 offset:17536
.LBB10_49:                              ;   in Loop: Header=BB10_45 Depth=1
	s_or_b32 exec_lo, exec_lo, s36
	v_cmp_gt_i32_e32 vcc_lo, 0, v2
	s_mov_b32 s36, exec_lo
	v_cndmask_b32_e64 v0, 0x7fffffff, 0, vcc_lo
	s_delay_alu instid0(VALU_DEP_1) | instskip(NEXT) | instid1(VALU_DEP_1)
	v_xor_b32_e32 v0, v0, v2
	v_and_b32_e32 v1, 0xfff00000, v0
	;; [unrolled: 16-line block ×3, first 2 shown]
	s_delay_alu instid0(VALU_DEP_1)
	v_cmpx_eq_u32_e64 v1, v38
	s_cbranch_execz .LBB10_53
; %bb.52:                               ;   in Loop: Header=BB10_45 Depth=1
	v_lshrrev_b32_e32 v0, 6, v0
	s_delay_alu instid0(VALU_DEP_1)
	v_and_b32_e32 v0, 0x3ffc, v0
	ds_add_u32 v0, v39 offset:17536
.LBB10_53:                              ;   in Loop: Header=BB10_45 Depth=1
	s_or_b32 exec_lo, exec_lo, s36
	v_lshlrev_b64 v[0:1], 4, v[8:9]
	v_add_co_u32 v2, vcc_lo, s33, v10
	v_add_co_ci_u32_e32 v3, vcc_lo, s34, v11, vcc_lo
	s_mov_b32 s36, exec_lo
	s_delay_alu instid0(VALU_DEP_3) | instskip(NEXT) | instid1(VALU_DEP_4)
	v_add_co_u32 v0, vcc_lo, s9, v0
	v_add_co_ci_u32_e32 v1, vcc_lo, s28, v1, vcc_lo
	s_waitcnt vmcnt(0)
	v_cmp_gt_i32_e32 vcc_lo, 0, v4
	s_clause 0x1
	global_load_b128 v[8:11], v[2:3], off
	global_load_b128 v[0:3], v[0:1], off
	v_cndmask_b32_e64 v28, 0x7fffffff, 0, vcc_lo
	s_delay_alu instid0(VALU_DEP_1) | instskip(NEXT) | instid1(VALU_DEP_1)
	v_xor_b32_e32 v4, v28, v4
	v_and_b32_e32 v28, 0xfff00000, v4
	s_delay_alu instid0(VALU_DEP_1)
	v_cmpx_eq_u32_e64 v28, v38
	s_cbranch_execz .LBB10_55
; %bb.54:                               ;   in Loop: Header=BB10_45 Depth=1
	v_lshrrev_b32_e32 v4, 6, v4
	s_delay_alu instid0(VALU_DEP_1)
	v_and_b32_e32 v4, 0x3ffc, v4
	ds_add_u32 v4, v39 offset:17536
.LBB10_55:                              ;   in Loop: Header=BB10_45 Depth=1
	s_or_b32 exec_lo, exec_lo, s36
	v_cmp_gt_i32_e32 vcc_lo, 0, v5
	s_mov_b32 s36, exec_lo
	v_cndmask_b32_e64 v4, 0x7fffffff, 0, vcc_lo
	s_delay_alu instid0(VALU_DEP_1) | instskip(NEXT) | instid1(VALU_DEP_1)
	v_xor_b32_e32 v4, v4, v5
	v_and_b32_e32 v5, 0xfff00000, v4
	s_delay_alu instid0(VALU_DEP_1)
	v_cmpx_eq_u32_e64 v5, v38
	s_cbranch_execz .LBB10_57
; %bb.56:                               ;   in Loop: Header=BB10_45 Depth=1
	v_lshrrev_b32_e32 v4, 6, v4
	s_delay_alu instid0(VALU_DEP_1)
	v_and_b32_e32 v4, 0x3ffc, v4
	ds_add_u32 v4, v39 offset:17536
.LBB10_57:                              ;   in Loop: Header=BB10_45 Depth=1
	s_or_b32 exec_lo, exec_lo, s36
	v_cmp_gt_i32_e32 vcc_lo, 0, v6
	s_mov_b32 s36, exec_lo
	;; [unrolled: 16-line block ×3, first 2 shown]
	v_cndmask_b32_e64 v4, 0x7fffffff, 0, vcc_lo
	s_delay_alu instid0(VALU_DEP_1) | instskip(NEXT) | instid1(VALU_DEP_1)
	v_xor_b32_e32 v4, v4, v7
	v_and_b32_e32 v5, 0xfff00000, v4
	s_delay_alu instid0(VALU_DEP_1)
	v_cmpx_eq_u32_e64 v5, v38
	s_cbranch_execz .LBB10_61
; %bb.60:                               ;   in Loop: Header=BB10_45 Depth=1
	v_lshrrev_b32_e32 v4, 6, v4
	s_delay_alu instid0(VALU_DEP_1)
	v_and_b32_e32 v4, 0x3ffc, v4
	ds_add_u32 v4, v39 offset:17536
.LBB10_61:                              ;   in Loop: Header=BB10_45 Depth=1
	s_or_b32 exec_lo, exec_lo, s36
	s_waitcnt vmcnt(1)
	v_cmp_gt_i32_e32 vcc_lo, 0, v8
	s_mov_b32 s36, exec_lo
	v_cndmask_b32_e64 v4, 0x7fffffff, 0, vcc_lo
	s_delay_alu instid0(VALU_DEP_1) | instskip(NEXT) | instid1(VALU_DEP_1)
	v_xor_b32_e32 v4, v4, v8
	v_and_b32_e32 v5, 0xfff00000, v4
	s_delay_alu instid0(VALU_DEP_1)
	v_cmpx_eq_u32_e64 v5, v38
	s_cbranch_execz .LBB10_63
; %bb.62:                               ;   in Loop: Header=BB10_45 Depth=1
	v_lshrrev_b32_e32 v4, 6, v4
	s_delay_alu instid0(VALU_DEP_1)
	v_and_b32_e32 v4, 0x3ffc, v4
	ds_add_u32 v4, v39 offset:17536
.LBB10_63:                              ;   in Loop: Header=BB10_45 Depth=1
	s_or_b32 exec_lo, exec_lo, s36
	v_cmp_gt_i32_e32 vcc_lo, 0, v9
	s_mov_b32 s36, exec_lo
	v_cndmask_b32_e64 v4, 0x7fffffff, 0, vcc_lo
	s_delay_alu instid0(VALU_DEP_1) | instskip(NEXT) | instid1(VALU_DEP_1)
	v_xor_b32_e32 v4, v4, v9
	v_and_b32_e32 v5, 0xfff00000, v4
	s_delay_alu instid0(VALU_DEP_1)
	v_cmpx_eq_u32_e64 v5, v38
	s_cbranch_execz .LBB10_65
; %bb.64:                               ;   in Loop: Header=BB10_45 Depth=1
	v_lshrrev_b32_e32 v4, 6, v4
	s_delay_alu instid0(VALU_DEP_1)
	v_and_b32_e32 v4, 0x3ffc, v4
	ds_add_u32 v4, v39 offset:17536
.LBB10_65:                              ;   in Loop: Header=BB10_45 Depth=1
	s_or_b32 exec_lo, exec_lo, s36
	;; [unrolled: 16-line block ×4, first 2 shown]
	s_waitcnt vmcnt(0)
	v_cmp_gt_i32_e32 vcc_lo, 0, v0
	s_mov_b32 s36, exec_lo
	v_cndmask_b32_e64 v4, 0x7fffffff, 0, vcc_lo
	s_delay_alu instid0(VALU_DEP_1) | instskip(NEXT) | instid1(VALU_DEP_1)
	v_xor_b32_e32 v0, v4, v0
	v_and_b32_e32 v4, 0xfff00000, v0
	s_delay_alu instid0(VALU_DEP_1)
	v_cmpx_eq_u32_e64 v4, v38
	s_cbranch_execz .LBB10_71
; %bb.70:                               ;   in Loop: Header=BB10_45 Depth=1
	v_lshrrev_b32_e32 v0, 6, v0
	s_delay_alu instid0(VALU_DEP_1)
	v_and_b32_e32 v0, 0x3ffc, v0
	ds_add_u32 v0, v39 offset:17536
.LBB10_71:                              ;   in Loop: Header=BB10_45 Depth=1
	s_or_b32 exec_lo, exec_lo, s36
	v_cmp_gt_i32_e32 vcc_lo, 0, v1
	s_mov_b32 s36, exec_lo
	v_cndmask_b32_e64 v0, 0x7fffffff, 0, vcc_lo
	s_delay_alu instid0(VALU_DEP_1) | instskip(NEXT) | instid1(VALU_DEP_1)
	v_xor_b32_e32 v0, v0, v1
	v_and_b32_e32 v1, 0xfff00000, v0
	s_delay_alu instid0(VALU_DEP_1)
	v_cmpx_eq_u32_e64 v1, v38
	s_cbranch_execz .LBB10_73
; %bb.72:                               ;   in Loop: Header=BB10_45 Depth=1
	v_lshrrev_b32_e32 v0, 6, v0
	s_delay_alu instid0(VALU_DEP_1)
	v_and_b32_e32 v0, 0x3ffc, v0
	ds_add_u32 v0, v39 offset:17536
.LBB10_73:                              ;   in Loop: Header=BB10_45 Depth=1
	s_or_b32 exec_lo, exec_lo, s36
	;; [unrolled: 16-line block ×3, first 2 shown]
	v_cmp_gt_i32_e32 vcc_lo, 0, v3
	s_mov_b32 s36, exec_lo
	v_cndmask_b32_e64 v0, 0x7fffffff, 0, vcc_lo
	s_delay_alu instid0(VALU_DEP_1) | instskip(NEXT) | instid1(VALU_DEP_1)
	v_xor_b32_e32 v0, v0, v3
	v_and_b32_e32 v1, 0xfff00000, v0
	s_delay_alu instid0(VALU_DEP_1)
	v_cmpx_eq_u32_e64 v1, v38
	s_cbranch_execz .LBB10_44
; %bb.76:                               ;   in Loop: Header=BB10_45 Depth=1
	v_lshrrev_b32_e32 v0, 6, v0
	s_delay_alu instid0(VALU_DEP_1)
	v_and_b32_e32 v0, 0x3ffc, v0
	ds_add_u32 v0, v39 offset:17536
	s_branch .LBB10_44
.LBB10_77:
	s_or_b32 exec_lo, exec_lo, s35
.LBB10_78:
	s_delay_alu instid0(SALU_CYCLE_1) | instskip(NEXT) | instid1(SALU_CYCLE_1)
	s_or_b32 exec_lo, exec_lo, s8
	s_mov_b32 s8, exec_lo
	v_cmpx_gt_i32_e64 s16, v27
	s_cbranch_execz .LBB10_89
; %bb.79:
	v_mov_b32_e32 v4, 1
	s_mov_b32 s35, 0
	s_branch .LBB10_81
.LBB10_80:                              ;   in Loop: Header=BB10_81 Depth=1
	s_or_b32 exec_lo, exec_lo, s36
	v_add_nc_u32_e32 v27, s22, v27
	s_delay_alu instid0(VALU_DEP_1) | instskip(SKIP_1) | instid1(SALU_CYCLE_1)
	v_cmp_le_i32_e32 vcc_lo, s16, v27
	s_or_b32 s35, vcc_lo, s35
	s_and_not1_b32 exec_lo, exec_lo, s35
	s_cbranch_execz .LBB10_89
.LBB10_81:                              ; =>This Inner Loop Header: Depth=1
	v_ashrrev_i32_e32 v28, 31, v27
	s_mov_b32 s36, exec_lo
	s_delay_alu instid0(VALU_DEP_1) | instskip(NEXT) | instid1(VALU_DEP_1)
	v_lshlrev_b64 v[0:1], 4, v[27:28]
	v_add_co_u32 v0, vcc_lo, s9, v0
	s_delay_alu instid0(VALU_DEP_2) | instskip(SKIP_4) | instid1(VALU_DEP_1)
	v_add_co_ci_u32_e32 v1, vcc_lo, s28, v1, vcc_lo
	global_load_b128 v[0:3], v[0:1], off
	s_waitcnt vmcnt(0)
	v_cmp_gt_i32_e32 vcc_lo, 0, v0
	v_cndmask_b32_e64 v5, 0x7fffffff, 0, vcc_lo
	v_xor_b32_e32 v0, v5, v0
	s_delay_alu instid0(VALU_DEP_1) | instskip(SKIP_1) | instid1(VALU_DEP_1)
	v_and_b32_e32 v5, 0xfff00000, v0
	s_waitcnt lgkmcnt(0)
	v_cmpx_eq_u32_e64 v5, v38
	s_cbranch_execz .LBB10_83
; %bb.82:                               ;   in Loop: Header=BB10_81 Depth=1
	v_lshrrev_b32_e32 v0, 6, v0
	s_delay_alu instid0(VALU_DEP_1)
	v_and_b32_e32 v0, 0x3ffc, v0
	ds_add_u32 v0, v4 offset:17536
.LBB10_83:                              ;   in Loop: Header=BB10_81 Depth=1
	s_or_b32 exec_lo, exec_lo, s36
	v_cmp_gt_i32_e32 vcc_lo, 0, v1
	s_mov_b32 s36, exec_lo
	v_cndmask_b32_e64 v0, 0x7fffffff, 0, vcc_lo
	s_delay_alu instid0(VALU_DEP_1) | instskip(NEXT) | instid1(VALU_DEP_1)
	v_xor_b32_e32 v0, v0, v1
	v_and_b32_e32 v1, 0xfff00000, v0
	s_delay_alu instid0(VALU_DEP_1)
	v_cmpx_eq_u32_e64 v1, v38
	s_cbranch_execz .LBB10_85
; %bb.84:                               ;   in Loop: Header=BB10_81 Depth=1
	v_lshrrev_b32_e32 v0, 6, v0
	s_delay_alu instid0(VALU_DEP_1)
	v_and_b32_e32 v0, 0x3ffc, v0
	ds_add_u32 v0, v4 offset:17536
.LBB10_85:                              ;   in Loop: Header=BB10_81 Depth=1
	s_or_b32 exec_lo, exec_lo, s36
	v_cmp_gt_i32_e32 vcc_lo, 0, v2
	s_mov_b32 s36, exec_lo
	v_cndmask_b32_e64 v0, 0x7fffffff, 0, vcc_lo
	s_delay_alu instid0(VALU_DEP_1) | instskip(NEXT) | instid1(VALU_DEP_1)
	v_xor_b32_e32 v0, v0, v2
	v_and_b32_e32 v1, 0xfff00000, v0
	s_delay_alu instid0(VALU_DEP_1)
	;; [unrolled: 16-line block ×3, first 2 shown]
	v_cmpx_eq_u32_e64 v1, v38
	s_cbranch_execz .LBB10_80
; %bb.88:                               ;   in Loop: Header=BB10_81 Depth=1
	v_lshrrev_b32_e32 v0, 6, v0
	s_delay_alu instid0(VALU_DEP_1)
	v_and_b32_e32 v0, 0x3ffc, v0
	ds_add_u32 v0, v4 offset:17536
	s_branch .LBB10_80
.LBB10_89:
	s_or_b32 exec_lo, exec_lo, s8
	s_and_saveexec_b32 s8, s4
	s_cbranch_execz .LBB10_92
; %bb.90:
	global_load_b32 v0, v[22:23], off
	s_waitcnt vmcnt(0)
	v_cmp_gt_i32_e32 vcc_lo, 0, v0
	v_cndmask_b32_e64 v1, 0x7fffffff, 0, vcc_lo
	s_delay_alu instid0(VALU_DEP_1) | instskip(NEXT) | instid1(VALU_DEP_1)
	v_xor_b32_e32 v0, v1, v0
	v_and_b32_e32 v1, 0xfff00000, v0
	s_waitcnt lgkmcnt(0)
	s_delay_alu instid0(VALU_DEP_1)
	v_cmp_eq_u32_e32 vcc_lo, v1, v38
	s_and_b32 exec_lo, exec_lo, vcc_lo
	s_cbranch_execz .LBB10_92
; %bb.91:
	v_lshrrev_b32_e32 v0, 6, v0
	s_delay_alu instid0(VALU_DEP_1)
	v_dual_mov_b32 v1, 1 :: v_dual_and_b32 v0, 0x3ffc, v0
	ds_add_u32 v0, v1 offset:17536
.LBB10_92:
	s_or_b32 exec_lo, exec_lo, s8
	s_and_saveexec_b32 s8, s5
	s_cbranch_execz .LBB10_95
; %bb.93:
	global_load_b32 v0, v[24:25], off
	s_waitcnt vmcnt(0)
	v_cmp_gt_i32_e32 vcc_lo, 0, v0
	v_cndmask_b32_e64 v1, 0x7fffffff, 0, vcc_lo
	s_delay_alu instid0(VALU_DEP_1) | instskip(NEXT) | instid1(VALU_DEP_1)
	v_xor_b32_e32 v0, v1, v0
	v_and_b32_e32 v1, 0xfff00000, v0
	s_waitcnt lgkmcnt(0)
	s_delay_alu instid0(VALU_DEP_1)
	v_cmp_eq_u32_e32 vcc_lo, v1, v38
	s_and_b32 exec_lo, exec_lo, vcc_lo
	s_cbranch_execz .LBB10_95
; %bb.94:
	v_lshrrev_b32_e32 v0, 6, v0
	s_delay_alu instid0(VALU_DEP_1)
	v_dual_mov_b32 v1, 1 :: v_dual_and_b32 v0, 0x3ffc, v0
	ds_add_u32 v0, v1 offset:17536
.LBB10_95:
	s_or_b32 exec_lo, exec_lo, s8
	s_waitcnt lgkmcnt(0)
	s_barrier
	buffer_gl0_inv
	flat_load_b32 v0, v[12:13] glc dlc
	s_waitcnt vmcnt(0)
	flat_load_b32 v1, v[14:15] glc dlc
	s_waitcnt vmcnt(0)
	;; [unrolled: 2-line block ×3, first 2 shown]
	flat_load_b32 v3, v[18:19] glc dlc
	s_waitcnt vmcnt(0) lgkmcnt(3)
	ds_store_b32 v32, v0
	s_waitcnt lgkmcnt(3)
	ds_store_b32 v33, v1 offset:4096
	s_waitcnt lgkmcnt(3)
	ds_store_b32 v34, v2 offset:8192
	;; [unrolled: 2-line block ×3, first 2 shown]
	s_waitcnt lgkmcnt(0)
	s_barrier
	buffer_gl0_inv
	ds_load_2addr_b32 v[2:3], v36 offset1:1
	ds_load_2addr_b32 v[0:1], v36 offset0:2 offset1:3
	s_waitcnt lgkmcnt(0)
	s_barrier
	buffer_gl0_inv
	v_add_nc_u32_e32 v4, v3, v2
	s_delay_alu instid0(VALU_DEP_1)
	v_add3_u32 v4, v4, v0, v1
	ds_store_b32 v32, v4
	s_waitcnt lgkmcnt(0)
	s_barrier
	buffer_gl0_inv
	s_and_saveexec_b32 s8, s6
	s_cbranch_execz .LBB10_97
; %bb.96:
	ds_load_2addr_b32 v[5:6], v29 offset1:1
	ds_load_2addr_b32 v[7:8], v29 offset0:2 offset1:3
	ds_load_2addr_b32 v[9:10], v29 offset0:4 offset1:5
	;; [unrolled: 1-line block ×15, first 2 shown]
	v_mbcnt_lo_u32_b32 v65, -1, 0
	s_delay_alu instid0(VALU_DEP_1) | instskip(SKIP_3) | instid1(VALU_DEP_1)
	v_bfe_i32 v68, v65, 4, 1
	s_waitcnt lgkmcnt(15)
	v_add_nc_u32_e32 v11, v6, v5
	s_waitcnt lgkmcnt(14)
	v_add3_u32 v11, v11, v7, v8
	s_waitcnt lgkmcnt(13)
	s_delay_alu instid0(VALU_DEP_1) | instskip(SKIP_1) | instid1(VALU_DEP_1)
	v_add3_u32 v11, v11, v9, v10
	s_waitcnt lgkmcnt(12)
	v_add3_u32 v11, v11, v27, v28
	s_waitcnt lgkmcnt(11)
	s_delay_alu instid0(VALU_DEP_1) | instskip(SKIP_1) | instid1(VALU_DEP_1)
	v_add3_u32 v11, v11, v38, v39
	s_waitcnt lgkmcnt(10)
	v_add3_u32 v11, v11, v43, v44
	s_waitcnt lgkmcnt(9)
	s_delay_alu instid0(VALU_DEP_1) | instskip(SKIP_1) | instid1(VALU_DEP_1)
	v_add3_u32 v11, v11, v45, v46
	s_waitcnt lgkmcnt(8)
	v_add3_u32 v11, v11, v47, v48
	s_waitcnt lgkmcnt(7)
	s_delay_alu instid0(VALU_DEP_1) | instskip(SKIP_1) | instid1(VALU_DEP_1)
	v_add3_u32 v11, v11, v49, v50
	s_waitcnt lgkmcnt(6)
	v_add3_u32 v11, v11, v51, v52
	s_waitcnt lgkmcnt(5)
	s_delay_alu instid0(VALU_DEP_1) | instskip(SKIP_1) | instid1(VALU_DEP_1)
	v_add3_u32 v11, v11, v53, v54
	s_waitcnt lgkmcnt(4)
	v_add3_u32 v11, v11, v55, v56
	s_waitcnt lgkmcnt(3)
	s_delay_alu instid0(VALU_DEP_1) | instskip(SKIP_1) | instid1(VALU_DEP_1)
	v_add3_u32 v11, v11, v57, v58
	s_waitcnt lgkmcnt(2)
	v_add3_u32 v11, v11, v59, v60
	s_waitcnt lgkmcnt(1)
	s_delay_alu instid0(VALU_DEP_1) | instskip(SKIP_1) | instid1(VALU_DEP_1)
	v_add3_u32 v11, v11, v61, v62
	s_waitcnt lgkmcnt(0)
	v_add3_u32 v11, v11, v63, v64
	s_delay_alu instid0(VALU_DEP_1) | instskip(SKIP_1) | instid1(VALU_DEP_1)
	v_mov_b32_dpp v67, v11 row_shr:1 row_mask:0xf bank_mask:0xf
	v_and_b32_e32 v66, 15, v65
	v_cmp_ne_u32_e32 vcc_lo, 0, v66
	s_delay_alu instid0(VALU_DEP_3) | instskip(SKIP_1) | instid1(VALU_DEP_2)
	v_cndmask_b32_e32 v67, 0, v67, vcc_lo
	v_cmp_lt_u32_e32 vcc_lo, 1, v66
	v_add_nc_u32_e32 v11, v67, v11
	s_delay_alu instid0(VALU_DEP_1) | instskip(NEXT) | instid1(VALU_DEP_1)
	v_mov_b32_dpp v67, v11 row_shr:2 row_mask:0xf bank_mask:0xf
	v_cndmask_b32_e32 v67, 0, v67, vcc_lo
	v_cmp_lt_u32_e32 vcc_lo, 3, v66
	s_delay_alu instid0(VALU_DEP_2) | instskip(NEXT) | instid1(VALU_DEP_1)
	v_add_nc_u32_e32 v11, v11, v67
	v_mov_b32_dpp v67, v11 row_shr:4 row_mask:0xf bank_mask:0xf
	s_delay_alu instid0(VALU_DEP_1) | instskip(SKIP_1) | instid1(VALU_DEP_2)
	v_cndmask_b32_e32 v67, 0, v67, vcc_lo
	v_cmp_lt_u32_e32 vcc_lo, 7, v66
	v_add_nc_u32_e32 v11, v11, v67
	s_delay_alu instid0(VALU_DEP_1) | instskip(NEXT) | instid1(VALU_DEP_1)
	v_mov_b32_dpp v67, v11 row_shr:8 row_mask:0xf bank_mask:0xf
	v_dual_cndmask_b32 v66, 0, v67 :: v_dual_add_nc_u32 v67, -1, v65
	s_delay_alu instid0(VALU_DEP_1) | instskip(NEXT) | instid1(VALU_DEP_2)
	v_add_nc_u32_e32 v11, v11, v66
	v_cmp_gt_i32_e32 vcc_lo, 0, v67
	ds_swizzle_b32 v66, v11 offset:swizzle(BROADCAST,32,15)
	v_cndmask_b32_e32 v65, v67, v65, vcc_lo
	s_delay_alu instid0(VALU_DEP_1) | instskip(SKIP_2) | instid1(VALU_DEP_1)
	v_lshlrev_b32_e32 v65, 2, v65
	s_waitcnt lgkmcnt(0)
	v_and_b32_e32 v66, v68, v66
	v_add_nc_u32_e32 v11, v11, v66
	ds_bpermute_b32 v11, v65, v11
	s_waitcnt lgkmcnt(0)
	v_add_nc_u32_e32 v5, v11, v5
	s_delay_alu instid0(VALU_DEP_1) | instskip(NEXT) | instid1(VALU_DEP_1)
	v_cndmask_b32_e64 v4, v5, v4, s2
	v_add_nc_u32_e32 v5, v4, v6
	s_delay_alu instid0(VALU_DEP_1) | instskip(NEXT) | instid1(VALU_DEP_1)
	v_add_nc_u32_e32 v6, v5, v7
	v_add_nc_u32_e32 v7, v6, v8
	s_delay_alu instid0(VALU_DEP_1) | instskip(NEXT) | instid1(VALU_DEP_1)
	v_add_nc_u32_e32 v8, v7, v9
	v_add_nc_u32_e32 v9, v8, v10
	s_delay_alu instid0(VALU_DEP_1) | instskip(NEXT) | instid1(VALU_DEP_1)
	v_add_nc_u32_e32 v10, v9, v27
	v_add_nc_u32_e32 v11, v10, v28
	ds_store_2addr_b32 v29, v4, v5 offset1:1
	ds_store_2addr_b32 v29, v6, v7 offset0:2 offset1:3
	ds_store_2addr_b32 v29, v8, v9 offset0:4 offset1:5
	;; [unrolled: 1-line block ×3, first 2 shown]
	v_add_nc_u32_e32 v27, v11, v38
	s_delay_alu instid0(VALU_DEP_1) | instskip(NEXT) | instid1(VALU_DEP_1)
	v_add_nc_u32_e32 v28, v27, v39
	v_add_nc_u32_e32 v38, v28, v43
	s_delay_alu instid0(VALU_DEP_1) | instskip(NEXT) | instid1(VALU_DEP_1)
	v_add_nc_u32_e32 v39, v38, v44
	;; [unrolled: 3-line block ×3, first 2 shown]
	v_add_nc_u32_e32 v45, v44, v47
	s_delay_alu instid0(VALU_DEP_1)
	v_add_nc_u32_e32 v46, v45, v48
	ds_store_2addr_b32 v29, v27, v28 offset0:8 offset1:9
	ds_store_2addr_b32 v29, v38, v39 offset0:10 offset1:11
	;; [unrolled: 1-line block ×4, first 2 shown]
	v_add_nc_u32_e32 v47, v46, v49
	s_delay_alu instid0(VALU_DEP_1) | instskip(NEXT) | instid1(VALU_DEP_1)
	v_add_nc_u32_e32 v48, v47, v50
	v_add_nc_u32_e32 v49, v48, v51
	s_delay_alu instid0(VALU_DEP_1) | instskip(NEXT) | instid1(VALU_DEP_1)
	v_add_nc_u32_e32 v50, v49, v52
	;; [unrolled: 3-line block ×7, first 2 shown]
	v_add_nc_u32_e32 v4, v60, v63
	s_delay_alu instid0(VALU_DEP_1)
	v_add_nc_u32_e32 v5, v4, v64
	ds_store_2addr_b32 v29, v47, v48 offset0:16 offset1:17
	ds_store_2addr_b32 v29, v49, v50 offset0:18 offset1:19
	;; [unrolled: 1-line block ×8, first 2 shown]
.LBB10_97:
	s_or_b32 exec_lo, exec_lo, s8
	v_dual_mov_b32 v4, 0 :: v_dual_mov_b32 v5, 0
	s_waitcnt lgkmcnt(0)
	s_barrier
	buffer_gl0_inv
	s_and_saveexec_b32 s8, s3
	s_cbranch_execz .LBB10_99
; %bb.98:
	ds_load_b32 v5, v37
.LBB10_99:
	s_or_b32 exec_lo, exec_lo, s8
	s_waitcnt lgkmcnt(0)
	v_add_nc_u32_e32 v2, v5, v2
	s_barrier
	buffer_gl0_inv
	s_lshl_b32 s36, s22, 8
	v_add_nc_u32_e32 v3, v2, v3
	s_mov_b32 s35, 0
	s_delay_alu instid0(VALU_DEP_1) | instskip(NEXT) | instid1(VALU_DEP_1)
	v_add_nc_u32_e32 v0, v3, v0
	v_add_nc_u32_e32 v1, v0, v1
	ds_store_2addr_b32 v36, v2, v3 offset1:1
	ds_store_2addr_b32 v36, v0, v1 offset0:2 offset1:3
	s_waitcnt lgkmcnt(0)
	s_barrier
	buffer_gl0_inv
	ds_load_b32 v0, v32
	ds_load_b32 v1, v33 offset:4096
	ds_load_b32 v2, v34 offset:8192
	;; [unrolled: 1-line block ×3, first 2 shown]
	s_waitcnt lgkmcnt(3)
	flat_store_b32 v[12:13], v0 dlc
	s_waitcnt_vscnt null, 0x0
	s_waitcnt lgkmcnt(3)
	flat_store_b32 v[14:15], v1 dlc
	s_waitcnt_vscnt null, 0x0
	;; [unrolled: 3-line block ×4, first 2 shown]
	v_mov_b32_e32 v2, v31
	s_waitcnt lgkmcnt(0)
	s_barrier
	buffer_gl0_inv
	ds_load_b32 v0, v4 offset:12
	v_lshlrev_b32_e32 v1, 8, v40
	v_mov_b32_e32 v3, v40
	s_set_inst_prefetch_distance 0x1
	s_branch .LBB10_101
	.p2align	6
.LBB10_100:                             ;   in Loop: Header=BB10_101 Depth=1
	s_or_b32 exec_lo, exec_lo, s8
	v_add_nc_u32_e32 v3, s22, v3
	v_add_nc_u32_e32 v1, s36, v1
	;; [unrolled: 1-line block ×3, first 2 shown]
	s_delay_alu instid0(VALU_DEP_3) | instskip(SKIP_1) | instid1(SALU_CYCLE_1)
	v_cmp_lt_u32_e32 vcc_lo, 0xfff, v3
	s_or_b32 s35, vcc_lo, s35
	s_and_not1_b32 exec_lo, exec_lo, s35
	s_cbranch_execz .LBB10_105
.LBB10_101:                             ; =>This Inner Loop Header: Depth=1
	v_mov_b32_e32 v5, 0
	s_mov_b32 s8, exec_lo
	v_cmpx_ne_u32_e32 0, v3
	s_cbranch_execz .LBB10_103
; %bb.102:                              ;   in Loop: Header=BB10_101 Depth=1
	ds_load_b32 v5, v2
.LBB10_103:                             ;   in Loop: Header=BB10_101 Depth=1
	s_or_b32 exec_lo, exec_lo, s8
	ds_load_b32 v6, v2 offset:4
	s_waitcnt lgkmcnt(1)
	v_cmp_gt_i32_e32 vcc_lo, v26, v5
	s_waitcnt lgkmcnt(0)
	v_cmp_ge_i32_e64 s8, v6, v26
	s_delay_alu instid0(VALU_DEP_1) | instskip(NEXT) | instid1(SALU_CYCLE_1)
	s_and_b32 s37, vcc_lo, s8
	s_and_saveexec_b32 s8, s37
	s_cbranch_execz .LBB10_100
; %bb.104:                              ;   in Loop: Header=BB10_101 Depth=1
	v_sub_nc_u32_e32 v7, v26, v5
	v_sub_nc_u32_e32 v8, v6, v5
	v_or_b32_e32 v0, v0, v1
	ds_store_b64 v4, v[7:8]
	ds_store_b32 v4, v0 offset:12
	s_branch .LBB10_100
.LBB10_105:
	s_set_inst_prefetch_distance 0x2
	s_or_b32 exec_lo, exec_lo, s35
	s_and_saveexec_b32 s8, s2
	s_cbranch_execz .LBB10_107
; %bb.106:
	v_mov_b32_e32 v0, 0
	ds_load_b32 v1, v0 offset:4
	s_waitcnt lgkmcnt(0)
	ds_store_b32 v0, v1 offset:8
.LBB10_107:
	s_or_b32 exec_lo, exec_lo, s8
	v_mov_b32_e32 v0, 0
	s_waitcnt lgkmcnt(0)
	s_barrier
	buffer_gl0_inv
	s_mov_b32 s35, 1
	ds_load_b64 v[26:27], v0
	s_waitcnt lgkmcnt(0)
	v_cmp_eq_u32_e32 vcc_lo, v27, v26
	s_cbranch_vccnz .LBB10_178
; %bb.108:
	v_mov_b32_e32 v1, v40
	s_mov_b32 s8, 0
.LBB10_109:                             ; =>This Inner Loop Header: Depth=1
	s_delay_alu instid0(VALU_DEP_1) | instskip(SKIP_4) | instid1(SALU_CYCLE_1)
	v_add_nc_u32_e32 v1, s22, v1
	ds_store_b32 v30, v0
	v_add_nc_u32_e32 v30, s23, v30
	v_cmp_lt_u32_e32 vcc_lo, 0xfff, v1
	s_or_b32 s8, vcc_lo, s8
	s_and_not1_b32 exec_lo, exec_lo, s8
	s_cbranch_execnz .LBB10_109
; %bb.110:
	s_or_b32 exec_lo, exec_lo, s8
	s_and_saveexec_b32 s8, s2
	s_cbranch_execz .LBB10_112
; %bb.111:
	v_mov_b32_e32 v0, 0
	ds_store_b32 v0, v0 offset:128
.LBB10_112:
	s_or_b32 exec_lo, exec_lo, s8
	v_dual_mov_b32 v0, 0 :: v_dual_mov_b32 v27, v40
	s_waitcnt lgkmcnt(0)
	s_barrier
	buffer_gl0_inv
	ds_load_b32 v30, v0 offset:12
	s_and_saveexec_b32 s8, s7
	s_cbranch_execz .LBB10_148
; %bb.113:
	v_dual_mov_b32 v38, 1 :: v_dual_mov_b32 v27, v40
	v_mov_b32_e32 v28, v41
	s_mov_b32 s7, 0
	s_branch .LBB10_115
.LBB10_114:                             ;   in Loop: Header=BB10_115 Depth=1
	s_or_b32 exec_lo, exec_lo, s35
	v_add_nc_u32_e32 v27, s23, v27
	s_delay_alu instid0(VALU_DEP_1) | instskip(SKIP_1) | instid1(VALU_DEP_2)
	v_ashrrev_i32_e32 v28, 31, v27
	v_add_co_u32 v20, vcc_lo, s29, v27
	v_add_co_ci_u32_e32 v21, vcc_lo, 0, v28, vcc_lo
	s_delay_alu instid0(VALU_DEP_1) | instskip(SKIP_1) | instid1(SALU_CYCLE_1)
	v_cmp_le_u64_e32 vcc_lo, s[16:17], v[20:21]
	s_or_b32 s7, vcc_lo, s7
	s_and_not1_b32 exec_lo, exec_lo, s7
	s_cbranch_execz .LBB10_147
.LBB10_115:                             ; =>This Inner Loop Header: Depth=1
	s_delay_alu instid0(VALU_DEP_1) | instskip(SKIP_1) | instid1(VALU_DEP_1)
	v_lshlrev_b64 v[8:9], 4, v[27:28]
	s_mov_b32 s35, exec_lo
	v_add_co_u32 v0, vcc_lo, s9, v8
	s_delay_alu instid0(VALU_DEP_2)
	v_add_co_ci_u32_e32 v1, vcc_lo, s28, v9, vcc_lo
	v_add_co_u32 v4, vcc_lo, s30, v8
	v_add_co_ci_u32_e32 v5, vcc_lo, s31, v9, vcc_lo
	s_clause 0x1
	global_load_b128 v[0:3], v[0:1], off
	global_load_b128 v[4:7], v[4:5], off
	s_waitcnt vmcnt(1)
	v_cmp_gt_i32_e32 vcc_lo, 0, v0
	v_cndmask_b32_e64 v10, 0x7fffffff, 0, vcc_lo
	s_delay_alu instid0(VALU_DEP_1) | instskip(NEXT) | instid1(VALU_DEP_1)
	v_xor_b32_e32 v0, v10, v0
	v_and_b32_e32 v10, 0xffffff00, v0
	s_waitcnt lgkmcnt(0)
	s_delay_alu instid0(VALU_DEP_1)
	v_cmpx_eq_u32_e64 v10, v30
	s_cbranch_execz .LBB10_117
; %bb.116:                              ;   in Loop: Header=BB10_115 Depth=1
	v_and_b32_e32 v0, 0xfff, v0
	s_delay_alu instid0(VALU_DEP_1)
	v_lshlrev_b32_e32 v0, 2, v0
	ds_add_u32 v0, v38 offset:17536
.LBB10_117:                             ;   in Loop: Header=BB10_115 Depth=1
	s_or_b32 exec_lo, exec_lo, s35
	v_cmp_gt_i32_e32 vcc_lo, 0, v1
	s_mov_b32 s35, exec_lo
	v_cndmask_b32_e64 v0, 0x7fffffff, 0, vcc_lo
	s_delay_alu instid0(VALU_DEP_1) | instskip(NEXT) | instid1(VALU_DEP_1)
	v_xor_b32_e32 v0, v0, v1
	v_and_b32_e32 v1, 0xffffff00, v0
	s_delay_alu instid0(VALU_DEP_1)
	v_cmpx_eq_u32_e64 v1, v30
	s_cbranch_execz .LBB10_119
; %bb.118:                              ;   in Loop: Header=BB10_115 Depth=1
	v_and_b32_e32 v0, 0xfff, v0
	s_delay_alu instid0(VALU_DEP_1)
	v_lshlrev_b32_e32 v0, 2, v0
	ds_add_u32 v0, v38 offset:17536
.LBB10_119:                             ;   in Loop: Header=BB10_115 Depth=1
	s_or_b32 exec_lo, exec_lo, s35
	v_cmp_gt_i32_e32 vcc_lo, 0, v2
	s_mov_b32 s35, exec_lo
	v_cndmask_b32_e64 v0, 0x7fffffff, 0, vcc_lo
	s_delay_alu instid0(VALU_DEP_1) | instskip(NEXT) | instid1(VALU_DEP_1)
	v_xor_b32_e32 v0, v0, v2
	v_and_b32_e32 v1, 0xffffff00, v0
	;; [unrolled: 16-line block ×3, first 2 shown]
	s_delay_alu instid0(VALU_DEP_1)
	v_cmpx_eq_u32_e64 v1, v30
	s_cbranch_execz .LBB10_123
; %bb.122:                              ;   in Loop: Header=BB10_115 Depth=1
	v_and_b32_e32 v0, 0xfff, v0
	s_delay_alu instid0(VALU_DEP_1)
	v_lshlrev_b32_e32 v0, 2, v0
	ds_add_u32 v0, v38 offset:17536
.LBB10_123:                             ;   in Loop: Header=BB10_115 Depth=1
	s_or_b32 exec_lo, exec_lo, s35
	v_lshlrev_b64 v[0:1], 4, v[20:21]
	v_add_co_u32 v2, vcc_lo, s33, v8
	v_add_co_ci_u32_e32 v3, vcc_lo, s34, v9, vcc_lo
	s_mov_b32 s35, exec_lo
	s_delay_alu instid0(VALU_DEP_3) | instskip(NEXT) | instid1(VALU_DEP_4)
	v_add_co_u32 v0, vcc_lo, s9, v0
	v_add_co_ci_u32_e32 v1, vcc_lo, s28, v1, vcc_lo
	s_waitcnt vmcnt(0)
	v_cmp_gt_i32_e32 vcc_lo, 0, v4
	s_clause 0x1
	global_load_b128 v[8:11], v[2:3], off
	global_load_b128 v[0:3], v[0:1], off
	v_cndmask_b32_e64 v20, 0x7fffffff, 0, vcc_lo
	s_delay_alu instid0(VALU_DEP_1) | instskip(NEXT) | instid1(VALU_DEP_1)
	v_xor_b32_e32 v4, v20, v4
	v_and_b32_e32 v20, 0xffffff00, v4
	s_delay_alu instid0(VALU_DEP_1)
	v_cmpx_eq_u32_e64 v20, v30
	s_cbranch_execz .LBB10_125
; %bb.124:                              ;   in Loop: Header=BB10_115 Depth=1
	v_and_b32_e32 v4, 0xfff, v4
	s_delay_alu instid0(VALU_DEP_1)
	v_lshlrev_b32_e32 v4, 2, v4
	ds_add_u32 v4, v38 offset:17536
.LBB10_125:                             ;   in Loop: Header=BB10_115 Depth=1
	s_or_b32 exec_lo, exec_lo, s35
	v_cmp_gt_i32_e32 vcc_lo, 0, v5
	s_mov_b32 s35, exec_lo
	v_cndmask_b32_e64 v4, 0x7fffffff, 0, vcc_lo
	s_delay_alu instid0(VALU_DEP_1) | instskip(NEXT) | instid1(VALU_DEP_1)
	v_xor_b32_e32 v4, v4, v5
	v_and_b32_e32 v5, 0xffffff00, v4
	s_delay_alu instid0(VALU_DEP_1)
	v_cmpx_eq_u32_e64 v5, v30
	s_cbranch_execz .LBB10_127
; %bb.126:                              ;   in Loop: Header=BB10_115 Depth=1
	v_and_b32_e32 v4, 0xfff, v4
	s_delay_alu instid0(VALU_DEP_1)
	v_lshlrev_b32_e32 v4, 2, v4
	ds_add_u32 v4, v38 offset:17536
.LBB10_127:                             ;   in Loop: Header=BB10_115 Depth=1
	s_or_b32 exec_lo, exec_lo, s35
	v_cmp_gt_i32_e32 vcc_lo, 0, v6
	s_mov_b32 s35, exec_lo
	;; [unrolled: 16-line block ×3, first 2 shown]
	v_cndmask_b32_e64 v4, 0x7fffffff, 0, vcc_lo
	s_delay_alu instid0(VALU_DEP_1) | instskip(NEXT) | instid1(VALU_DEP_1)
	v_xor_b32_e32 v4, v4, v7
	v_and_b32_e32 v5, 0xffffff00, v4
	s_delay_alu instid0(VALU_DEP_1)
	v_cmpx_eq_u32_e64 v5, v30
	s_cbranch_execz .LBB10_131
; %bb.130:                              ;   in Loop: Header=BB10_115 Depth=1
	v_and_b32_e32 v4, 0xfff, v4
	s_delay_alu instid0(VALU_DEP_1)
	v_lshlrev_b32_e32 v4, 2, v4
	ds_add_u32 v4, v38 offset:17536
.LBB10_131:                             ;   in Loop: Header=BB10_115 Depth=1
	s_or_b32 exec_lo, exec_lo, s35
	s_waitcnt vmcnt(1)
	v_cmp_gt_i32_e32 vcc_lo, 0, v8
	s_mov_b32 s35, exec_lo
	v_cndmask_b32_e64 v4, 0x7fffffff, 0, vcc_lo
	s_delay_alu instid0(VALU_DEP_1) | instskip(NEXT) | instid1(VALU_DEP_1)
	v_xor_b32_e32 v4, v4, v8
	v_and_b32_e32 v5, 0xffffff00, v4
	s_delay_alu instid0(VALU_DEP_1)
	v_cmpx_eq_u32_e64 v5, v30
	s_cbranch_execz .LBB10_133
; %bb.132:                              ;   in Loop: Header=BB10_115 Depth=1
	v_and_b32_e32 v4, 0xfff, v4
	s_delay_alu instid0(VALU_DEP_1)
	v_lshlrev_b32_e32 v4, 2, v4
	ds_add_u32 v4, v38 offset:17536
.LBB10_133:                             ;   in Loop: Header=BB10_115 Depth=1
	s_or_b32 exec_lo, exec_lo, s35
	v_cmp_gt_i32_e32 vcc_lo, 0, v9
	s_mov_b32 s35, exec_lo
	v_cndmask_b32_e64 v4, 0x7fffffff, 0, vcc_lo
	s_delay_alu instid0(VALU_DEP_1) | instskip(NEXT) | instid1(VALU_DEP_1)
	v_xor_b32_e32 v4, v4, v9
	v_and_b32_e32 v5, 0xffffff00, v4
	s_delay_alu instid0(VALU_DEP_1)
	v_cmpx_eq_u32_e64 v5, v30
	s_cbranch_execz .LBB10_135
; %bb.134:                              ;   in Loop: Header=BB10_115 Depth=1
	v_and_b32_e32 v4, 0xfff, v4
	s_delay_alu instid0(VALU_DEP_1)
	v_lshlrev_b32_e32 v4, 2, v4
	ds_add_u32 v4, v38 offset:17536
.LBB10_135:                             ;   in Loop: Header=BB10_115 Depth=1
	s_or_b32 exec_lo, exec_lo, s35
	v_cmp_gt_i32_e32 vcc_lo, 0, v10
	s_mov_b32 s35, exec_lo
	v_cndmask_b32_e64 v4, 0x7fffffff, 0, vcc_lo
	s_delay_alu instid0(VALU_DEP_1) | instskip(NEXT) | instid1(VALU_DEP_1)
	v_xor_b32_e32 v4, v4, v10
	v_and_b32_e32 v5, 0xffffff00, v4
	s_delay_alu instid0(VALU_DEP_1)
	v_cmpx_eq_u32_e64 v5, v30
	s_cbranch_execz .LBB10_137
; %bb.136:                              ;   in Loop: Header=BB10_115 Depth=1
	v_and_b32_e32 v4, 0xfff, v4
	s_delay_alu instid0(VALU_DEP_1)
	v_lshlrev_b32_e32 v4, 2, v4
	ds_add_u32 v4, v38 offset:17536
.LBB10_137:                             ;   in Loop: Header=BB10_115 Depth=1
	s_or_b32 exec_lo, exec_lo, s35
	v_cmp_gt_i32_e32 vcc_lo, 0, v11
	s_mov_b32 s35, exec_lo
	v_cndmask_b32_e64 v4, 0x7fffffff, 0, vcc_lo
	s_delay_alu instid0(VALU_DEP_1) | instskip(NEXT) | instid1(VALU_DEP_1)
	v_xor_b32_e32 v4, v4, v11
	v_and_b32_e32 v5, 0xffffff00, v4
	s_delay_alu instid0(VALU_DEP_1)
	v_cmpx_eq_u32_e64 v5, v30
	s_cbranch_execz .LBB10_139
; %bb.138:                              ;   in Loop: Header=BB10_115 Depth=1
	v_and_b32_e32 v4, 0xfff, v4
	s_delay_alu instid0(VALU_DEP_1)
	v_lshlrev_b32_e32 v4, 2, v4
	ds_add_u32 v4, v38 offset:17536
.LBB10_139:                             ;   in Loop: Header=BB10_115 Depth=1
	s_or_b32 exec_lo, exec_lo, s35
	s_waitcnt vmcnt(0)
	v_cmp_gt_i32_e32 vcc_lo, 0, v0
	s_mov_b32 s35, exec_lo
	v_cndmask_b32_e64 v4, 0x7fffffff, 0, vcc_lo
	s_delay_alu instid0(VALU_DEP_1) | instskip(NEXT) | instid1(VALU_DEP_1)
	v_xor_b32_e32 v0, v4, v0
	v_and_b32_e32 v4, 0xffffff00, v0
	s_delay_alu instid0(VALU_DEP_1)
	v_cmpx_eq_u32_e64 v4, v30
	s_cbranch_execz .LBB10_141
; %bb.140:                              ;   in Loop: Header=BB10_115 Depth=1
	v_and_b32_e32 v0, 0xfff, v0
	s_delay_alu instid0(VALU_DEP_1)
	v_lshlrev_b32_e32 v0, 2, v0
	ds_add_u32 v0, v38 offset:17536
.LBB10_141:                             ;   in Loop: Header=BB10_115 Depth=1
	s_or_b32 exec_lo, exec_lo, s35
	v_cmp_gt_i32_e32 vcc_lo, 0, v1
	s_mov_b32 s35, exec_lo
	v_cndmask_b32_e64 v0, 0x7fffffff, 0, vcc_lo
	s_delay_alu instid0(VALU_DEP_1) | instskip(NEXT) | instid1(VALU_DEP_1)
	v_xor_b32_e32 v0, v0, v1
	v_and_b32_e32 v1, 0xffffff00, v0
	s_delay_alu instid0(VALU_DEP_1)
	v_cmpx_eq_u32_e64 v1, v30
	s_cbranch_execz .LBB10_143
; %bb.142:                              ;   in Loop: Header=BB10_115 Depth=1
	v_and_b32_e32 v0, 0xfff, v0
	s_delay_alu instid0(VALU_DEP_1)
	v_lshlrev_b32_e32 v0, 2, v0
	ds_add_u32 v0, v38 offset:17536
.LBB10_143:                             ;   in Loop: Header=BB10_115 Depth=1
	s_or_b32 exec_lo, exec_lo, s35
	;; [unrolled: 16-line block ×3, first 2 shown]
	v_cmp_gt_i32_e32 vcc_lo, 0, v3
	s_mov_b32 s35, exec_lo
	v_cndmask_b32_e64 v0, 0x7fffffff, 0, vcc_lo
	s_delay_alu instid0(VALU_DEP_1) | instskip(NEXT) | instid1(VALU_DEP_1)
	v_xor_b32_e32 v0, v0, v3
	v_and_b32_e32 v1, 0xffffff00, v0
	s_delay_alu instid0(VALU_DEP_1)
	v_cmpx_eq_u32_e64 v1, v30
	s_cbranch_execz .LBB10_114
; %bb.146:                              ;   in Loop: Header=BB10_115 Depth=1
	v_and_b32_e32 v0, 0xfff, v0
	s_delay_alu instid0(VALU_DEP_1)
	v_lshlrev_b32_e32 v0, 2, v0
	ds_add_u32 v0, v38 offset:17536
	s_branch .LBB10_114
.LBB10_147:
	s_or_b32 exec_lo, exec_lo, s7
.LBB10_148:
	s_delay_alu instid0(SALU_CYCLE_1) | instskip(NEXT) | instid1(SALU_CYCLE_1)
	s_or_b32 exec_lo, exec_lo, s8
	s_mov_b32 s7, exec_lo
	v_cmpx_gt_i32_e64 s16, v27
	s_cbranch_execz .LBB10_159
; %bb.149:
	v_mov_b32_e32 v4, 1
	s_mov_b32 s8, 0
	s_branch .LBB10_151
.LBB10_150:                             ;   in Loop: Header=BB10_151 Depth=1
	s_or_b32 exec_lo, exec_lo, s17
	v_add_nc_u32_e32 v27, s22, v27
	s_delay_alu instid0(VALU_DEP_1) | instskip(SKIP_1) | instid1(SALU_CYCLE_1)
	v_cmp_le_i32_e32 vcc_lo, s16, v27
	s_or_b32 s8, vcc_lo, s8
	s_and_not1_b32 exec_lo, exec_lo, s8
	s_cbranch_execz .LBB10_159
.LBB10_151:                             ; =>This Inner Loop Header: Depth=1
	v_ashrrev_i32_e32 v28, 31, v27
	s_mov_b32 s17, exec_lo
	s_delay_alu instid0(VALU_DEP_1) | instskip(NEXT) | instid1(VALU_DEP_1)
	v_lshlrev_b64 v[0:1], 4, v[27:28]
	v_add_co_u32 v0, vcc_lo, s9, v0
	s_delay_alu instid0(VALU_DEP_2) | instskip(SKIP_4) | instid1(VALU_DEP_1)
	v_add_co_ci_u32_e32 v1, vcc_lo, s28, v1, vcc_lo
	global_load_b128 v[0:3], v[0:1], off
	s_waitcnt vmcnt(0)
	v_cmp_gt_i32_e32 vcc_lo, 0, v0
	v_cndmask_b32_e64 v5, 0x7fffffff, 0, vcc_lo
	v_xor_b32_e32 v0, v5, v0
	s_delay_alu instid0(VALU_DEP_1) | instskip(SKIP_1) | instid1(VALU_DEP_1)
	v_and_b32_e32 v5, 0xffffff00, v0
	s_waitcnt lgkmcnt(0)
	v_cmpx_eq_u32_e64 v5, v30
	s_cbranch_execz .LBB10_153
; %bb.152:                              ;   in Loop: Header=BB10_151 Depth=1
	v_and_b32_e32 v0, 0xfff, v0
	s_delay_alu instid0(VALU_DEP_1)
	v_lshlrev_b32_e32 v0, 2, v0
	ds_add_u32 v0, v4 offset:17536
.LBB10_153:                             ;   in Loop: Header=BB10_151 Depth=1
	s_or_b32 exec_lo, exec_lo, s17
	v_cmp_gt_i32_e32 vcc_lo, 0, v1
	s_mov_b32 s17, exec_lo
	v_cndmask_b32_e64 v0, 0x7fffffff, 0, vcc_lo
	s_delay_alu instid0(VALU_DEP_1) | instskip(NEXT) | instid1(VALU_DEP_1)
	v_xor_b32_e32 v0, v0, v1
	v_and_b32_e32 v1, 0xffffff00, v0
	s_delay_alu instid0(VALU_DEP_1)
	v_cmpx_eq_u32_e64 v1, v30
	s_cbranch_execz .LBB10_155
; %bb.154:                              ;   in Loop: Header=BB10_151 Depth=1
	v_and_b32_e32 v0, 0xfff, v0
	s_delay_alu instid0(VALU_DEP_1)
	v_lshlrev_b32_e32 v0, 2, v0
	ds_add_u32 v0, v4 offset:17536
.LBB10_155:                             ;   in Loop: Header=BB10_151 Depth=1
	s_or_b32 exec_lo, exec_lo, s17
	v_cmp_gt_i32_e32 vcc_lo, 0, v2
	s_mov_b32 s17, exec_lo
	v_cndmask_b32_e64 v0, 0x7fffffff, 0, vcc_lo
	s_delay_alu instid0(VALU_DEP_1) | instskip(NEXT) | instid1(VALU_DEP_1)
	v_xor_b32_e32 v0, v0, v2
	v_and_b32_e32 v1, 0xffffff00, v0
	s_delay_alu instid0(VALU_DEP_1)
	;; [unrolled: 16-line block ×3, first 2 shown]
	v_cmpx_eq_u32_e64 v1, v30
	s_cbranch_execz .LBB10_150
; %bb.158:                              ;   in Loop: Header=BB10_151 Depth=1
	v_and_b32_e32 v0, 0xfff, v0
	s_delay_alu instid0(VALU_DEP_1)
	v_lshlrev_b32_e32 v0, 2, v0
	ds_add_u32 v0, v4 offset:17536
	s_branch .LBB10_150
.LBB10_159:
	s_or_b32 exec_lo, exec_lo, s7
	s_and_saveexec_b32 s7, s4
	s_cbranch_execz .LBB10_162
; %bb.160:
	global_load_b32 v0, v[22:23], off
	s_waitcnt vmcnt(0)
	v_cmp_gt_i32_e32 vcc_lo, 0, v0
	v_cndmask_b32_e64 v1, 0x7fffffff, 0, vcc_lo
	s_delay_alu instid0(VALU_DEP_1) | instskip(NEXT) | instid1(VALU_DEP_1)
	v_xor_b32_e32 v0, v1, v0
	v_and_b32_e32 v1, 0xffffff00, v0
	s_waitcnt lgkmcnt(0)
	s_delay_alu instid0(VALU_DEP_1)
	v_cmp_eq_u32_e32 vcc_lo, v1, v30
	s_and_b32 exec_lo, exec_lo, vcc_lo
	s_cbranch_execz .LBB10_162
; %bb.161:
	v_dual_mov_b32 v1, 1 :: v_dual_and_b32 v0, 0xfff, v0
	s_delay_alu instid0(VALU_DEP_1)
	v_lshlrev_b32_e32 v0, 2, v0
	ds_add_u32 v0, v1 offset:17536
.LBB10_162:
	s_or_b32 exec_lo, exec_lo, s7
	s_and_saveexec_b32 s4, s5
	s_cbranch_execz .LBB10_165
; %bb.163:
	global_load_b32 v0, v[24:25], off
	s_waitcnt vmcnt(0)
	v_cmp_gt_i32_e32 vcc_lo, 0, v0
	v_cndmask_b32_e64 v1, 0x7fffffff, 0, vcc_lo
	s_delay_alu instid0(VALU_DEP_1) | instskip(NEXT) | instid1(VALU_DEP_1)
	v_xor_b32_e32 v0, v1, v0
	v_and_b32_e32 v1, 0xffffff00, v0
	s_waitcnt lgkmcnt(0)
	s_delay_alu instid0(VALU_DEP_1)
	v_cmp_eq_u32_e32 vcc_lo, v1, v30
	s_and_b32 exec_lo, exec_lo, vcc_lo
	s_cbranch_execz .LBB10_165
; %bb.164:
	v_dual_mov_b32 v1, 1 :: v_dual_and_b32 v0, 0xfff, v0
	s_delay_alu instid0(VALU_DEP_1)
	v_lshlrev_b32_e32 v0, 2, v0
	ds_add_u32 v0, v1 offset:17536
.LBB10_165:
	s_or_b32 exec_lo, exec_lo, s4
	s_waitcnt lgkmcnt(0)
	s_barrier
	buffer_gl0_inv
	flat_load_b32 v0, v[12:13] glc dlc
	s_waitcnt vmcnt(0)
	flat_load_b32 v1, v[14:15] glc dlc
	s_waitcnt vmcnt(0)
	;; [unrolled: 2-line block ×3, first 2 shown]
	flat_load_b32 v3, v[18:19] glc dlc
	s_waitcnt vmcnt(0) lgkmcnt(3)
	ds_store_b32 v32, v0
	s_waitcnt lgkmcnt(3)
	ds_store_b32 v33, v1 offset:4096
	s_waitcnt lgkmcnt(3)
	ds_store_b32 v34, v2 offset:8192
	;; [unrolled: 2-line block ×3, first 2 shown]
	s_waitcnt lgkmcnt(0)
	s_barrier
	buffer_gl0_inv
	ds_load_2addr_b32 v[2:3], v36 offset1:1
	ds_load_2addr_b32 v[0:1], v36 offset0:2 offset1:3
	s_waitcnt lgkmcnt(0)
	s_barrier
	buffer_gl0_inv
	v_add_nc_u32_e32 v4, v3, v2
	s_delay_alu instid0(VALU_DEP_1)
	v_add3_u32 v4, v4, v0, v1
	ds_store_b32 v32, v4
	s_waitcnt lgkmcnt(0)
	s_barrier
	buffer_gl0_inv
	s_and_saveexec_b32 s4, s6
	s_cbranch_execz .LBB10_167
; %bb.166:
	ds_load_2addr_b32 v[5:6], v29 offset1:1
	ds_load_2addr_b32 v[7:8], v29 offset0:2 offset1:3
	ds_load_2addr_b32 v[9:10], v29 offset0:4 offset1:5
	;; [unrolled: 1-line block ×7, first 2 shown]
	v_mbcnt_lo_u32_b32 v30, -1, 0
	ds_load_2addr_b32 v[43:44], v29 offset0:16 offset1:17
	ds_load_2addr_b32 v[45:46], v29 offset0:18 offset1:19
	;; [unrolled: 1-line block ×8, first 2 shown]
	v_and_b32_e32 v41, 15, v30
	v_bfe_i32 v60, v30, 4, 1
	s_waitcnt lgkmcnt(15)
	v_add_nc_u32_e32 v11, v6, v5
	s_delay_alu instid0(VALU_DEP_3) | instskip(SKIP_1) | instid1(VALU_DEP_2)
	v_cmp_ne_u32_e32 vcc_lo, 0, v41
	s_waitcnt lgkmcnt(14)
	v_add3_u32 v11, v11, v7, v8
	s_waitcnt lgkmcnt(13)
	s_delay_alu instid0(VALU_DEP_1) | instskip(SKIP_1) | instid1(VALU_DEP_1)
	v_add3_u32 v11, v11, v9, v10
	s_waitcnt lgkmcnt(12)
	v_add3_u32 v11, v11, v20, v21
	s_waitcnt lgkmcnt(11)
	s_delay_alu instid0(VALU_DEP_1) | instskip(SKIP_1) | instid1(VALU_DEP_1)
	v_add3_u32 v11, v11, v22, v23
	s_waitcnt lgkmcnt(10)
	v_add3_u32 v11, v11, v24, v25
	s_waitcnt lgkmcnt(9)
	s_delay_alu instid0(VALU_DEP_1) | instskip(SKIP_1) | instid1(VALU_DEP_1)
	v_add3_u32 v11, v11, v27, v28
	s_waitcnt lgkmcnt(8)
	v_add3_u32 v11, v11, v38, v39
	s_waitcnt lgkmcnt(7)
	s_delay_alu instid0(VALU_DEP_1) | instskip(SKIP_1) | instid1(VALU_DEP_1)
	v_add3_u32 v11, v11, v43, v44
	s_waitcnt lgkmcnt(6)
	v_add3_u32 v11, v11, v45, v46
	s_waitcnt lgkmcnt(5)
	s_delay_alu instid0(VALU_DEP_1) | instskip(SKIP_1) | instid1(VALU_DEP_1)
	v_add3_u32 v11, v11, v47, v48
	s_waitcnt lgkmcnt(4)
	v_add3_u32 v11, v11, v49, v50
	s_waitcnt lgkmcnt(3)
	s_delay_alu instid0(VALU_DEP_1) | instskip(SKIP_1) | instid1(VALU_DEP_1)
	v_add3_u32 v11, v11, v51, v52
	s_waitcnt lgkmcnt(2)
	v_add3_u32 v11, v11, v53, v54
	s_waitcnt lgkmcnt(1)
	s_delay_alu instid0(VALU_DEP_1) | instskip(SKIP_1) | instid1(VALU_DEP_1)
	v_add3_u32 v11, v11, v55, v56
	s_waitcnt lgkmcnt(0)
	v_add3_u32 v11, v11, v57, v58
	s_delay_alu instid0(VALU_DEP_1) | instskip(NEXT) | instid1(VALU_DEP_1)
	v_mov_b32_dpp v59, v11 row_shr:1 row_mask:0xf bank_mask:0xf
	v_cndmask_b32_e32 v59, 0, v59, vcc_lo
	v_cmp_lt_u32_e32 vcc_lo, 1, v41
	s_delay_alu instid0(VALU_DEP_2) | instskip(NEXT) | instid1(VALU_DEP_1)
	v_add_nc_u32_e32 v11, v59, v11
	v_mov_b32_dpp v59, v11 row_shr:2 row_mask:0xf bank_mask:0xf
	s_delay_alu instid0(VALU_DEP_1) | instskip(SKIP_1) | instid1(VALU_DEP_2)
	v_cndmask_b32_e32 v59, 0, v59, vcc_lo
	v_cmp_lt_u32_e32 vcc_lo, 3, v41
	v_add_nc_u32_e32 v11, v11, v59
	s_delay_alu instid0(VALU_DEP_1) | instskip(NEXT) | instid1(VALU_DEP_1)
	v_mov_b32_dpp v59, v11 row_shr:4 row_mask:0xf bank_mask:0xf
	v_cndmask_b32_e32 v59, 0, v59, vcc_lo
	v_cmp_lt_u32_e32 vcc_lo, 7, v41
	s_delay_alu instid0(VALU_DEP_2) | instskip(NEXT) | instid1(VALU_DEP_1)
	v_add_nc_u32_e32 v11, v11, v59
	v_mov_b32_dpp v59, v11 row_shr:8 row_mask:0xf bank_mask:0xf
	s_delay_alu instid0(VALU_DEP_1) | instskip(SKIP_1) | instid1(VALU_DEP_2)
	v_cndmask_b32_e32 v41, 0, v59, vcc_lo
	v_add_nc_u32_e32 v59, -1, v30
	v_add_nc_u32_e32 v11, v11, v41
	s_delay_alu instid0(VALU_DEP_2) | instskip(SKIP_2) | instid1(VALU_DEP_1)
	v_cmp_gt_i32_e32 vcc_lo, 0, v59
	ds_swizzle_b32 v41, v11 offset:swizzle(BROADCAST,32,15)
	v_cndmask_b32_e32 v30, v59, v30, vcc_lo
	v_lshlrev_b32_e32 v30, 2, v30
	s_waitcnt lgkmcnt(0)
	v_and_b32_e32 v41, v60, v41
	s_delay_alu instid0(VALU_DEP_1) | instskip(SKIP_3) | instid1(VALU_DEP_1)
	v_add_nc_u32_e32 v11, v11, v41
	ds_bpermute_b32 v11, v30, v11
	s_waitcnt lgkmcnt(0)
	v_add_nc_u32_e32 v5, v11, v5
	v_cndmask_b32_e64 v4, v5, v4, s2
	s_delay_alu instid0(VALU_DEP_1) | instskip(NEXT) | instid1(VALU_DEP_1)
	v_add_nc_u32_e32 v5, v4, v6
	v_add_nc_u32_e32 v6, v5, v7
	s_delay_alu instid0(VALU_DEP_1) | instskip(NEXT) | instid1(VALU_DEP_1)
	v_add_nc_u32_e32 v7, v6, v8
	v_add_nc_u32_e32 v8, v7, v9
	;; [unrolled: 3-line block ×3, first 2 shown]
	s_delay_alu instid0(VALU_DEP_1)
	v_add_nc_u32_e32 v11, v10, v21
	ds_store_2addr_b32 v29, v4, v5 offset1:1
	ds_store_2addr_b32 v29, v6, v7 offset0:2 offset1:3
	ds_store_2addr_b32 v29, v8, v9 offset0:4 offset1:5
	;; [unrolled: 1-line block ×3, first 2 shown]
	v_add_nc_u32_e32 v20, v11, v22
	s_delay_alu instid0(VALU_DEP_1) | instskip(NEXT) | instid1(VALU_DEP_1)
	v_add_nc_u32_e32 v21, v20, v23
	v_add_nc_u32_e32 v22, v21, v24
	s_delay_alu instid0(VALU_DEP_1) | instskip(NEXT) | instid1(VALU_DEP_1)
	v_add_nc_u32_e32 v23, v22, v25
	;; [unrolled: 3-line block ×3, first 2 shown]
	v_add_nc_u32_e32 v27, v25, v38
	s_delay_alu instid0(VALU_DEP_1)
	v_add_nc_u32_e32 v28, v27, v39
	ds_store_2addr_b32 v29, v20, v21 offset0:8 offset1:9
	ds_store_2addr_b32 v29, v22, v23 offset0:10 offset1:11
	;; [unrolled: 1-line block ×4, first 2 shown]
	v_add_nc_u32_e32 v30, v28, v43
	s_delay_alu instid0(VALU_DEP_1) | instskip(NEXT) | instid1(VALU_DEP_1)
	v_add_nc_u32_e32 v38, v30, v44
	v_add_nc_u32_e32 v39, v38, v45
	s_delay_alu instid0(VALU_DEP_1) | instskip(NEXT) | instid1(VALU_DEP_1)
	v_add_nc_u32_e32 v41, v39, v46
	;; [unrolled: 3-line block ×7, first 2 shown]
	v_add_nc_u32_e32 v4, v52, v57
	s_delay_alu instid0(VALU_DEP_1)
	v_add_nc_u32_e32 v5, v4, v58
	ds_store_2addr_b32 v29, v30, v38 offset0:16 offset1:17
	ds_store_2addr_b32 v29, v39, v41 offset0:18 offset1:19
	;; [unrolled: 1-line block ×8, first 2 shown]
.LBB10_167:
	s_or_b32 exec_lo, exec_lo, s4
	v_dual_mov_b32 v4, 0 :: v_dual_mov_b32 v5, 0
	s_waitcnt lgkmcnt(0)
	s_barrier
	buffer_gl0_inv
	s_and_saveexec_b32 s4, s3
	s_cbranch_execz .LBB10_169
; %bb.168:
	ds_load_b32 v5, v37
.LBB10_169:
	s_or_b32 exec_lo, exec_lo, s4
	s_waitcnt lgkmcnt(0)
	v_add_nc_u32_e32 v2, v5, v2
	s_barrier
	buffer_gl0_inv
	s_mov_b32 s4, 0
	v_add_nc_u32_e32 v3, v2, v3
	s_delay_alu instid0(VALU_DEP_1) | instskip(NEXT) | instid1(VALU_DEP_1)
	v_add_nc_u32_e32 v0, v3, v0
	v_add_nc_u32_e32 v1, v0, v1
	ds_store_2addr_b32 v36, v2, v3 offset1:1
	ds_store_2addr_b32 v36, v0, v1 offset0:2 offset1:3
	s_waitcnt lgkmcnt(0)
	s_barrier
	buffer_gl0_inv
	ds_load_b32 v0, v32
	ds_load_b32 v1, v33 offset:4096
	ds_load_b32 v2, v34 offset:8192
	ds_load_b32 v3, v35 offset:12288
	s_waitcnt lgkmcnt(3)
	flat_store_b32 v[12:13], v0 dlc
	s_waitcnt_vscnt null, 0x0
	s_waitcnt lgkmcnt(3)
	flat_store_b32 v[14:15], v1 dlc
	s_waitcnt_vscnt null, 0x0
	;; [unrolled: 3-line block ×4, first 2 shown]
	v_mov_b32_e32 v1, v40
	s_waitcnt lgkmcnt(0)
	s_barrier
	buffer_gl0_inv
	ds_load_b32 v0, v4 offset:12
	s_set_inst_prefetch_distance 0x1
	s_branch .LBB10_171
	.p2align	6
.LBB10_170:                             ;   in Loop: Header=BB10_171 Depth=1
	s_or_b32 exec_lo, exec_lo, s3
	v_add_nc_u32_e32 v1, s22, v1
	v_add_nc_u32_e32 v31, s23, v31
	s_delay_alu instid0(VALU_DEP_2) | instskip(SKIP_1) | instid1(SALU_CYCLE_1)
	v_cmp_lt_u32_e32 vcc_lo, 0xfff, v1
	s_or_b32 s4, vcc_lo, s4
	s_and_not1_b32 exec_lo, exec_lo, s4
	s_cbranch_execz .LBB10_175
.LBB10_171:                             ; =>This Inner Loop Header: Depth=1
	v_mov_b32_e32 v2, 0
	s_mov_b32 s3, exec_lo
	v_cmpx_ne_u32_e32 0, v1
	s_cbranch_execz .LBB10_173
; %bb.172:                              ;   in Loop: Header=BB10_171 Depth=1
	ds_load_b32 v2, v31
.LBB10_173:                             ;   in Loop: Header=BB10_171 Depth=1
	s_or_b32 exec_lo, exec_lo, s3
	ds_load_b32 v3, v31 offset:4
	s_waitcnt lgkmcnt(1)
	v_cmp_gt_i32_e32 vcc_lo, v26, v2
	s_waitcnt lgkmcnt(0)
	v_cmp_ge_i32_e64 s3, v3, v26
	s_delay_alu instid0(VALU_DEP_1) | instskip(NEXT) | instid1(SALU_CYCLE_1)
	s_and_b32 s5, vcc_lo, s3
	s_and_saveexec_b32 s3, s5
	s_cbranch_execz .LBB10_170
; %bb.174:                              ;   in Loop: Header=BB10_171 Depth=1
	v_sub_nc_u32_e32 v5, v26, v2
	v_sub_nc_u32_e32 v6, v3, v2
	v_or_b32_e32 v0, v0, v1
	ds_store_b64 v4, v[5:6]
	ds_store_b32 v4, v0 offset:12
	s_branch .LBB10_170
.LBB10_175:
	s_set_inst_prefetch_distance 0x2
	s_or_b32 exec_lo, exec_lo, s4
	s_and_saveexec_b32 s3, s2
	s_cbranch_execz .LBB10_177
; %bb.176:
	v_mov_b32_e32 v0, 0
	ds_load_b32 v1, v0 offset:4
	s_waitcnt lgkmcnt(0)
	ds_store_b32 v0, v1 offset:8
.LBB10_177:
	s_or_b32 exec_lo, exec_lo, s3
	s_mov_b32 s35, 2
	s_waitcnt lgkmcnt(0)
	s_barrier
	buffer_gl0_inv
.LBB10_178:
	s_lshl_b64 s[22:23], s[14:15], 2
	v_dual_mov_b32 v31, v40 :: v_dual_mov_b32 v0, s27
	s_add_u32 s4, s20, s22
	s_addc_u32 s5, s21, s23
	s_add_u32 s2, s10, s12
	s_addc_u32 s3, s11, s13
	s_cmp_lg_u64 s[10:11], 0
	v_dual_mov_b32 v5, s5 :: v_dual_mov_b32 v6, s25
	s_cselect_b32 s6, s2, 0
	s_cselect_b32 s7, s3, 0
	s_add_u32 s8, s0, 0x58
	s_addc_u32 s9, s1, 0
	s_mov_b64 s[0:1], src_shared_base
	v_dual_mov_b32 v1, s26 :: v_dual_mov_b32 v2, s6
	v_dual_mov_b32 v3, s7 :: v_dual_mov_b32 v4, s4
	;; [unrolled: 1-line block ×4, first 2 shown]
	s_mov_b32 s12, s18
	s_getpc_b64 s[2:3]
	s_add_u32 s2, s2, _ZN5aiter2ob11last_filterIfiLi12ELb0ELb0EEEvPKT_PKT0_PS2_PS5_S5_S5_PNS0_7CounterIS2_S5_EEbib@rel32@lo+4
	s_addc_u32 s3, s3, _ZN5aiter2ob11last_filterIfiLi12ELb0ELb0EEEvPKT_PKT0_PS2_PS5_S5_S5_PNS0_7CounterIS2_S5_EEbib@rel32@hi+12
	s_delay_alu instid0(SALU_CYCLE_1)
	s_swappc_b64 s[30:31], s[2:3]
	s_cmp_eq_u32 s19, 0
	s_cbranch_scc1 .LBB10_182
; %bb.179:
	s_waitcnt_vscnt null, 0x0
	s_barrier
	buffer_gl0_inv
	s_mov_b32 s0, exec_lo
	v_cmpx_gt_i32_e64 s24, v40
	s_cbranch_execz .LBB10_182
; %bb.180:
	s_add_u32 s0, s20, s22
	s_addc_u32 s1, s21, s23
	v_add_co_u32 v0, s0, s0, v42
	s_delay_alu instid0(VALU_DEP_1)
	v_add_co_ci_u32_e64 v1, null, s1, 0, s0
	s_mov_b32 s1, 0
.LBB10_181:                             ; =>This Inner Loop Header: Depth=1
	global_load_b32 v2, v[0:1], off
	v_add_nc_u32_e32 v40, 0x400, v40
	s_delay_alu instid0(VALU_DEP_1)
	v_cmp_le_i32_e32 vcc_lo, s24, v40
	s_or_b32 s1, vcc_lo, s1
	s_waitcnt vmcnt(0)
	v_add_nc_u32_e32 v2, s19, v2
	global_store_b32 v[0:1], v2, off
	v_add_co_u32 v0, s0, 0x1000, v0
	s_delay_alu instid0(VALU_DEP_1)
	v_add_co_ci_u32_e64 v1, s0, 0, v1, s0
	s_and_not1_b32 exec_lo, exec_lo, s1
	s_cbranch_execnz .LBB10_181
.LBB10_182:
	s_endpgm
	.section	.rodata,"a",@progbits
	.p2align	6, 0x0
	.amdhsa_kernel _ZN5aiter2ob27radix_topk_one_block_kernelIfiLi12ELi1024ELb0ELb0ELNS0_5PhaseE0EEEvPKT_PKT0_lS8_S8_S6_PS3_PS6_bPci
		.amdhsa_group_segment_fixed_size 33920
		.amdhsa_private_segment_fixed_size 0
		.amdhsa_kernarg_size 344
		.amdhsa_user_sgpr_count 15
		.amdhsa_user_sgpr_dispatch_ptr 0
		.amdhsa_user_sgpr_queue_ptr 0
		.amdhsa_user_sgpr_kernarg_segment_ptr 1
		.amdhsa_user_sgpr_dispatch_id 0
		.amdhsa_user_sgpr_private_segment_size 0
		.amdhsa_wavefront_size32 1
		.amdhsa_uses_dynamic_stack 0
		.amdhsa_enable_private_segment 0
		.amdhsa_system_sgpr_workgroup_id_x 1
		.amdhsa_system_sgpr_workgroup_id_y 0
		.amdhsa_system_sgpr_workgroup_id_z 0
		.amdhsa_system_sgpr_workgroup_info 0
		.amdhsa_system_vgpr_workitem_id 0
		.amdhsa_next_free_vgpr 81
		.amdhsa_next_free_sgpr 38
		.amdhsa_reserve_vcc 1
		.amdhsa_float_round_mode_32 0
		.amdhsa_float_round_mode_16_64 0
		.amdhsa_float_denorm_mode_32 3
		.amdhsa_float_denorm_mode_16_64 3
		.amdhsa_dx10_clamp 1
		.amdhsa_ieee_mode 1
		.amdhsa_fp16_overflow 0
		.amdhsa_workgroup_processor_mode 1
		.amdhsa_memory_ordered 1
		.amdhsa_forward_progress 0
		.amdhsa_shared_vgpr_count 0
		.amdhsa_exception_fp_ieee_invalid_op 0
		.amdhsa_exception_fp_denorm_src 0
		.amdhsa_exception_fp_ieee_div_zero 0
		.amdhsa_exception_fp_ieee_overflow 0
		.amdhsa_exception_fp_ieee_underflow 0
		.amdhsa_exception_fp_ieee_inexact 0
		.amdhsa_exception_int_div_zero 0
	.end_amdhsa_kernel
	.section	.text._ZN5aiter2ob27radix_topk_one_block_kernelIfiLi12ELi1024ELb0ELb0ELNS0_5PhaseE0EEEvPKT_PKT0_lS8_S8_S6_PS3_PS6_bPci,"axG",@progbits,_ZN5aiter2ob27radix_topk_one_block_kernelIfiLi12ELi1024ELb0ELb0ELNS0_5PhaseE0EEEvPKT_PKT0_lS8_S8_S6_PS3_PS6_bPci,comdat
.Lfunc_end10:
	.size	_ZN5aiter2ob27radix_topk_one_block_kernelIfiLi12ELi1024ELb0ELb0ELNS0_5PhaseE0EEEvPKT_PKT0_lS8_S8_S6_PS3_PS6_bPci, .Lfunc_end10-_ZN5aiter2ob27radix_topk_one_block_kernelIfiLi12ELi1024ELb0ELb0ELNS0_5PhaseE0EEEvPKT_PKT0_lS8_S8_S6_PS3_PS6_bPci
                                        ; -- End function
	.section	.AMDGPU.csdata,"",@progbits
; Kernel info:
; codeLenInByte = 11852
; NumSgprs: 40
; NumVgprs: 81
; ScratchSize: 0
; MemoryBound: 0
; FloatMode: 240
; IeeeMode: 1
; LDSByteSize: 33920 bytes/workgroup (compile time only)
; SGPRBlocks: 4
; VGPRBlocks: 10
; NumSGPRsForWavesPerEU: 40
; NumVGPRsForWavesPerEU: 81
; Occupancy: 16
; WaveLimiterHint : 0
; COMPUTE_PGM_RSRC2:SCRATCH_EN: 0
; COMPUTE_PGM_RSRC2:USER_SGPR: 15
; COMPUTE_PGM_RSRC2:TRAP_HANDLER: 0
; COMPUTE_PGM_RSRC2:TGID_X_EN: 1
; COMPUTE_PGM_RSRC2:TGID_Y_EN: 0
; COMPUTE_PGM_RSRC2:TGID_Z_EN: 0
; COMPUTE_PGM_RSRC2:TIDIG_COMP_CNT: 0
	.text
	.p2align	2                               ; -- Begin function _ZN5aiter2ob11last_filterIfiLi11ELb0ELb0EEEvPKT_PKT0_PS2_PS5_S5_S5_PNS0_7CounterIS2_S5_EEbib
	.type	_ZN5aiter2ob11last_filterIfiLi11ELb0ELb0EEEvPKT_PKT0_PS2_PS5_S5_S5_PNS0_7CounterIS2_S5_EEbib,@function
_ZN5aiter2ob11last_filterIfiLi11ELb0ELb0EEEvPKT_PKT0_PS2_PS5_S5_S5_PNS0_7CounterIS2_S5_EEbib: ; @_ZN5aiter2ob11last_filterIfiLi11ELb0ELb0EEEvPKT_PKT0_PS2_PS5_S5_S5_PNS0_7CounterIS2_S5_EEbib
; %bb.0:
	s_waitcnt vmcnt(0) expcnt(0) lgkmcnt(0)
	s_clause 0x1
	flat_load_b32 v33, v[8:9] offset:12
	flat_load_b32 v32, v[8:9]
	v_mad_u64_u32 v[11:12], null, v10, -11, 21
	v_and_b32_e32 v22, 0x3ff, v31
	s_mov_b32 s0, exec_lo
	s_delay_alu instid0(VALU_DEP_2)
	v_max_i32_e32 v15, 0, v11
	v_cmpx_ne_u64_e32 0, v[2:3]
	s_xor_b32 s1, exec_lo, s0
	s_cbranch_execnz .LBB11_3
; %bb.1:
	s_and_not1_saveexec_b32 s0, s1
	s_cbranch_execnz .LBB11_101
.LBB11_2:
	s_or_b32 exec_lo, exec_lo, s0
	s_waitcnt vmcnt(0) lgkmcnt(0)
	s_setpc_b64 s[30:31]
.LBB11_3:
	s_load_b32 s0, s[8:9], 0x0
	v_dual_mov_b32 v11, 0 :: v_dual_and_b32 v10, 0x3ff, v31
	s_waitcnt lgkmcnt(0)
	s_cmp_lt_u32 s12, s0
	s_cselect_b32 s0, 12, 18
	s_delay_alu instid0(SALU_CYCLE_1)
	s_add_u32 s2, s8, s0
	s_addc_u32 s3, s9, 0
	s_mov_b32 s0, exec_lo
	global_load_u16 v12, v11, s[2:3]
	s_waitcnt vmcnt(0)
	v_mul_lo_u32 v16, v12, 7
	v_readfirstlane_b32 s2, v12
	s_delay_alu instid0(VALU_DEP_2) | instskip(NEXT) | instid1(VALU_DEP_1)
	v_add_nc_u32_e32 v13, v10, v16
	v_cmpx_lt_i32_e64 v13, v6
	s_cbranch_execz .LBB11_87
; %bb.4:
	s_delay_alu instid0(VALU_DEP_3)
	s_lshl_b32 s3, s2, 1
	v_lshlrev_b32_e64 v17, v15, -1
	s_add_i32 s10, s3, s2
	v_mov_b32_e32 v18, 1
	s_add_i32 s10, s10, s2
	s_mul_i32 s4, s2, 3
	s_add_i32 s11, s10, s2
	s_lshl_b32 s5, s2, 2
	s_mul_i32 s6, s2, 5
	s_mul_i32 s7, s2, 6
	s_mov_b32 s10, 0
	s_add_i32 s11, s11, s2
	s_branch .LBB11_6
.LBB11_5:                               ;   in Loop: Header=BB11_6 Depth=1
	s_or_b32 exec_lo, exec_lo, s13
	v_add3_u32 v10, s11, s2, v12
	s_delay_alu instid0(VALU_DEP_1) | instskip(NEXT) | instid1(VALU_DEP_1)
	v_add_nc_u32_e32 v12, v16, v10
	v_cmp_ge_i32_e32 vcc_lo, v12, v6
	s_or_b32 s10, vcc_lo, s10
	s_delay_alu instid0(SALU_CYCLE_1)
	s_and_not1_b32 exec_lo, exec_lo, s10
	s_cbranch_execz .LBB11_86
.LBB11_6:                               ; =>This Inner Loop Header: Depth=1
	v_dual_mov_b32 v21, v11 :: v_dual_add_nc_u32 v20, s3, v10
	s_waitcnt vmcnt(0) lgkmcnt(0)
	v_dual_mov_b32 v13, v11 :: v_dual_add_nc_u32 v12, s2, v10
	v_lshlrev_b64 v[34:35], 2, v[10:11]
	v_add_nc_u32_e32 v19, v16, v10
	v_lshlrev_b64 v[36:37], 2, v[20:21]
	v_add_nc_u32_e32 v20, s4, v10
	v_lshlrev_b64 v[13:14], 2, v[12:13]
	s_mov_b32 s14, 0
	v_add_co_u32 v22, vcc_lo, v0, v34
	s_delay_alu instid0(VALU_DEP_3) | instskip(SKIP_3) | instid1(VALU_DEP_3)
	v_lshlrev_b64 v[38:39], 2, v[20:21]
	v_add_nc_u32_e32 v20, s5, v10
	v_add_co_ci_u32_e32 v23, vcc_lo, v1, v35, vcc_lo
	v_add_co_u32 v24, vcc_lo, v0, v13
	v_lshlrev_b64 v[48:49], 2, v[20:21]
	v_add_nc_u32_e32 v20, s6, v10
	v_add_co_ci_u32_e32 v25, vcc_lo, v1, v14, vcc_lo
	v_add_co_u32 v26, vcc_lo, v0, v36
	v_add_nc_u32_e32 v10, s7, v10
	v_add_co_ci_u32_e32 v27, vcc_lo, v1, v37, vcc_lo
	v_add_co_u32 v50, vcc_lo, v0, v38
	v_lshlrev_b64 v[52:53], 2, v[20:21]
	v_mov_b32_e32 v20, v11
	v_add_co_ci_u32_e32 v51, vcc_lo, v1, v39, vcc_lo
	v_add_co_u32 v54, vcc_lo, v0, v48
	v_lshlrev_b64 v[64:65], 2, v[10:11]
	v_add_co_ci_u32_e32 v55, vcc_lo, v1, v49, vcc_lo
	v_add_co_u32 v66, vcc_lo, v0, v52
	v_lshlrev_b64 v[68:69], 2, v[19:20]
	v_add_co_ci_u32_e32 v67, vcc_lo, v1, v53, vcc_lo
	v_add_co_u32 v19, vcc_lo, v0, v64
	v_add_co_ci_u32_e32 v20, vcc_lo, v1, v65, vcc_lo
	s_delay_alu instid0(VALU_DEP_4)
	v_add_co_u32 v70, vcc_lo, v0, v68
	v_add_co_ci_u32_e32 v71, vcc_lo, v1, v69, vcc_lo
	v_add_co_u32 v34, vcc_lo, v2, v34
	v_add_co_ci_u32_e32 v35, vcc_lo, v3, v35, vcc_lo
	;; [unrolled: 2-line block ×6, first 2 shown]
	s_clause 0x7
	flat_load_b32 v80, v[22:23]
	flat_load_b32 v31, v[24:25]
	;; [unrolled: 1-line block ×8, first 2 shown]
	v_add_co_u32 v50, vcc_lo, v2, v52
	v_add_co_ci_u32_e32 v51, vcc_lo, v3, v53, vcc_lo
	v_add_co_u32 v52, vcc_lo, v2, v64
	v_add_co_ci_u32_e32 v53, vcc_lo, v3, v65, vcc_lo
	v_add_co_u32 v54, vcc_lo, v2, v68
	v_add_co_ci_u32_e32 v55, vcc_lo, v3, v69, vcc_lo
	s_clause 0x7
	flat_load_b32 v34, v[34:35]
	flat_load_b32 v30, v[13:14]
	;; [unrolled: 1-line block ×8, first 2 shown]
	s_mov_b32 s13, exec_lo
	s_waitcnt vmcnt(15) lgkmcnt(15)
	v_cmp_gt_i32_e32 vcc_lo, 0, v80
	v_cndmask_b32_e64 v13, 0x7fffffff, 0, vcc_lo
	s_delay_alu instid0(VALU_DEP_1) | instskip(NEXT) | instid1(VALU_DEP_1)
	v_xor_b32_e32 v13, v13, v80
	v_and_b32_e32 v14, v13, v17
                                        ; implicit-def: $vgpr13
	s_delay_alu instid0(VALU_DEP_1)
	v_cmpx_ge_u32_e64 v14, v33
	s_xor_b32 s13, exec_lo, s13
	s_cbranch_execnz .LBB11_37
; %bb.7:                                ;   in Loop: Header=BB11_6 Depth=1
	s_and_not1_saveexec_b32 s13, s13
	s_cbranch_execnz .LBB11_42
.LBB11_8:                               ;   in Loop: Header=BB11_6 Depth=1
	s_or_b32 exec_lo, exec_lo, s13
	s_and_saveexec_b32 s13, s14
	s_cbranch_execz .LBB11_10
.LBB11_9:                               ;   in Loop: Header=BB11_6 Depth=1
	s_waitcnt vmcnt(0) lgkmcnt(0)
	v_ashrrev_i32_e32 v14, 31, v13
	s_delay_alu instid0(VALU_DEP_1) | instskip(NEXT) | instid1(VALU_DEP_1)
	v_lshlrev_b64 v[13:14], 2, v[13:14]
	v_add_co_u32 v13, vcc_lo, v4, v13
	s_delay_alu instid0(VALU_DEP_2)
	v_add_co_ci_u32_e32 v14, vcc_lo, v5, v14, vcc_lo
	flat_store_b32 v[13:14], v34
.LBB11_10:                              ;   in Loop: Header=BB11_6 Depth=1
	s_or_b32 exec_lo, exec_lo, s13
	s_waitcnt vmcnt(14) lgkmcnt(14)
	v_cmp_gt_i32_e32 vcc_lo, 0, v31
	s_mov_b32 s14, 0
	s_mov_b32 s13, exec_lo
	s_waitcnt vmcnt(0) lgkmcnt(0)
	v_cndmask_b32_e64 v13, 0x7fffffff, 0, vcc_lo
	s_delay_alu instid0(VALU_DEP_1) | instskip(NEXT) | instid1(VALU_DEP_1)
	v_xor_b32_e32 v13, v13, v31
	v_and_b32_e32 v14, v13, v17
                                        ; implicit-def: $vgpr13
	s_delay_alu instid0(VALU_DEP_1)
	v_cmpx_ge_u32_e64 v14, v33
	s_xor_b32 s13, exec_lo, s13
	s_cbranch_execnz .LBB11_43
; %bb.11:                               ;   in Loop: Header=BB11_6 Depth=1
	s_and_not1_saveexec_b32 s13, s13
	s_cbranch_execnz .LBB11_48
.LBB11_12:                              ;   in Loop: Header=BB11_6 Depth=1
	s_or_b32 exec_lo, exec_lo, s13
	s_and_saveexec_b32 s13, s14
	s_cbranch_execz .LBB11_14
.LBB11_13:                              ;   in Loop: Header=BB11_6 Depth=1
	s_waitcnt vmcnt(0) lgkmcnt(0)
	v_ashrrev_i32_e32 v14, 31, v13
	s_delay_alu instid0(VALU_DEP_1) | instskip(NEXT) | instid1(VALU_DEP_1)
	v_lshlrev_b64 v[13:14], 2, v[13:14]
	v_add_co_u32 v13, vcc_lo, v4, v13
	s_delay_alu instid0(VALU_DEP_2)
	v_add_co_ci_u32_e32 v14, vcc_lo, v5, v14, vcc_lo
	flat_store_b32 v[13:14], v30
.LBB11_14:                              ;   in Loop: Header=BB11_6 Depth=1
	s_or_b32 exec_lo, exec_lo, s13
	v_cmp_gt_i32_e32 vcc_lo, 0, v29
	s_mov_b32 s14, 0
	s_mov_b32 s13, exec_lo
	s_waitcnt vmcnt(0) lgkmcnt(0)
	v_cndmask_b32_e64 v13, 0x7fffffff, 0, vcc_lo
	s_delay_alu instid0(VALU_DEP_1) | instskip(NEXT) | instid1(VALU_DEP_1)
	v_xor_b32_e32 v13, v13, v29
	v_and_b32_e32 v14, v13, v17
                                        ; implicit-def: $vgpr13
	s_delay_alu instid0(VALU_DEP_1)
	v_cmpx_ge_u32_e64 v14, v33
	s_xor_b32 s13, exec_lo, s13
	s_cbranch_execnz .LBB11_49
; %bb.15:                               ;   in Loop: Header=BB11_6 Depth=1
	s_and_not1_saveexec_b32 s13, s13
	s_cbranch_execnz .LBB11_54
.LBB11_16:                              ;   in Loop: Header=BB11_6 Depth=1
	s_or_b32 exec_lo, exec_lo, s13
	s_and_saveexec_b32 s13, s14
	s_cbranch_execz .LBB11_18
.LBB11_17:                              ;   in Loop: Header=BB11_6 Depth=1
	s_waitcnt vmcnt(0) lgkmcnt(0)
	v_ashrrev_i32_e32 v14, 31, v13
	s_delay_alu instid0(VALU_DEP_1) | instskip(NEXT) | instid1(VALU_DEP_1)
	v_lshlrev_b64 v[13:14], 2, v[13:14]
	v_add_co_u32 v13, vcc_lo, v4, v13
	s_delay_alu instid0(VALU_DEP_2)
	v_add_co_ci_u32_e32 v14, vcc_lo, v5, v14, vcc_lo
	flat_store_b32 v[13:14], v28
.LBB11_18:                              ;   in Loop: Header=BB11_6 Depth=1
	s_or_b32 exec_lo, exec_lo, s13
	v_cmp_gt_i32_e32 vcc_lo, 0, v27
	s_mov_b32 s14, 0
	s_mov_b32 s13, exec_lo
	s_waitcnt vmcnt(0) lgkmcnt(0)
	v_cndmask_b32_e64 v13, 0x7fffffff, 0, vcc_lo
	s_delay_alu instid0(VALU_DEP_1) | instskip(NEXT) | instid1(VALU_DEP_1)
	v_xor_b32_e32 v13, v13, v27
	v_and_b32_e32 v14, v13, v17
                                        ; implicit-def: $vgpr13
	s_delay_alu instid0(VALU_DEP_1)
	v_cmpx_ge_u32_e64 v14, v33
	s_xor_b32 s13, exec_lo, s13
	s_cbranch_execnz .LBB11_55
; %bb.19:                               ;   in Loop: Header=BB11_6 Depth=1
	s_and_not1_saveexec_b32 s13, s13
	s_cbranch_execnz .LBB11_60
.LBB11_20:                              ;   in Loop: Header=BB11_6 Depth=1
	s_or_b32 exec_lo, exec_lo, s13
	s_and_saveexec_b32 s13, s14
	s_cbranch_execz .LBB11_22
.LBB11_21:                              ;   in Loop: Header=BB11_6 Depth=1
	s_waitcnt vmcnt(0) lgkmcnt(0)
	v_ashrrev_i32_e32 v14, 31, v13
	s_delay_alu instid0(VALU_DEP_1) | instskip(NEXT) | instid1(VALU_DEP_1)
	v_lshlrev_b64 v[13:14], 2, v[13:14]
	v_add_co_u32 v13, vcc_lo, v4, v13
	s_delay_alu instid0(VALU_DEP_2)
	v_add_co_ci_u32_e32 v14, vcc_lo, v5, v14, vcc_lo
	flat_store_b32 v[13:14], v26
.LBB11_22:                              ;   in Loop: Header=BB11_6 Depth=1
	s_or_b32 exec_lo, exec_lo, s13
	v_cmp_gt_i32_e32 vcc_lo, 0, v25
	s_mov_b32 s14, 0
	s_mov_b32 s13, exec_lo
	s_waitcnt vmcnt(0) lgkmcnt(0)
	v_cndmask_b32_e64 v13, 0x7fffffff, 0, vcc_lo
	s_delay_alu instid0(VALU_DEP_1) | instskip(NEXT) | instid1(VALU_DEP_1)
	v_xor_b32_e32 v13, v13, v25
	v_and_b32_e32 v14, v13, v17
                                        ; implicit-def: $vgpr13
	s_delay_alu instid0(VALU_DEP_1)
	v_cmpx_ge_u32_e64 v14, v33
	s_xor_b32 s13, exec_lo, s13
	s_cbranch_execnz .LBB11_61
; %bb.23:                               ;   in Loop: Header=BB11_6 Depth=1
	s_and_not1_saveexec_b32 s13, s13
	s_cbranch_execnz .LBB11_66
.LBB11_24:                              ;   in Loop: Header=BB11_6 Depth=1
	s_or_b32 exec_lo, exec_lo, s13
	s_and_saveexec_b32 s13, s14
	s_cbranch_execz .LBB11_26
.LBB11_25:                              ;   in Loop: Header=BB11_6 Depth=1
	s_waitcnt vmcnt(0) lgkmcnt(0)
	v_ashrrev_i32_e32 v14, 31, v13
	s_delay_alu instid0(VALU_DEP_1) | instskip(NEXT) | instid1(VALU_DEP_1)
	v_lshlrev_b64 v[13:14], 2, v[13:14]
	v_add_co_u32 v13, vcc_lo, v4, v13
	s_delay_alu instid0(VALU_DEP_2)
	v_add_co_ci_u32_e32 v14, vcc_lo, v5, v14, vcc_lo
	flat_store_b32 v[13:14], v24
.LBB11_26:                              ;   in Loop: Header=BB11_6 Depth=1
	s_or_b32 exec_lo, exec_lo, s13
	v_cmp_gt_i32_e32 vcc_lo, 0, v23
	s_mov_b32 s14, 0
	s_mov_b32 s13, exec_lo
	s_waitcnt vmcnt(0) lgkmcnt(0)
	v_cndmask_b32_e64 v13, 0x7fffffff, 0, vcc_lo
	s_delay_alu instid0(VALU_DEP_1) | instskip(NEXT) | instid1(VALU_DEP_1)
	v_xor_b32_e32 v13, v13, v23
	v_and_b32_e32 v14, v13, v17
                                        ; implicit-def: $vgpr13
	s_delay_alu instid0(VALU_DEP_1)
	v_cmpx_ge_u32_e64 v14, v33
	s_xor_b32 s13, exec_lo, s13
	s_cbranch_execnz .LBB11_67
; %bb.27:                               ;   in Loop: Header=BB11_6 Depth=1
	s_and_not1_saveexec_b32 s13, s13
	s_cbranch_execnz .LBB11_72
.LBB11_28:                              ;   in Loop: Header=BB11_6 Depth=1
	s_or_b32 exec_lo, exec_lo, s13
	s_and_saveexec_b32 s13, s14
	s_cbranch_execz .LBB11_30
.LBB11_29:                              ;   in Loop: Header=BB11_6 Depth=1
	s_waitcnt vmcnt(0) lgkmcnt(0)
	v_ashrrev_i32_e32 v14, 31, v13
	s_delay_alu instid0(VALU_DEP_1) | instskip(NEXT) | instid1(VALU_DEP_1)
	v_lshlrev_b64 v[13:14], 2, v[13:14]
	v_add_co_u32 v13, vcc_lo, v4, v13
	s_delay_alu instid0(VALU_DEP_2)
	v_add_co_ci_u32_e32 v14, vcc_lo, v5, v14, vcc_lo
	flat_store_b32 v[13:14], v22
.LBB11_30:                              ;   in Loop: Header=BB11_6 Depth=1
	s_or_b32 exec_lo, exec_lo, s13
	v_cmp_gt_i32_e32 vcc_lo, 0, v21
	s_mov_b32 s14, 0
	s_mov_b32 s13, exec_lo
	s_waitcnt vmcnt(0) lgkmcnt(0)
	v_cndmask_b32_e64 v13, 0x7fffffff, 0, vcc_lo
	s_delay_alu instid0(VALU_DEP_1) | instskip(NEXT) | instid1(VALU_DEP_1)
	v_xor_b32_e32 v13, v13, v21
	v_and_b32_e32 v14, v13, v17
                                        ; implicit-def: $vgpr13
	s_delay_alu instid0(VALU_DEP_1)
	v_cmpx_ge_u32_e64 v14, v33
	s_xor_b32 s13, exec_lo, s13
	s_cbranch_execnz .LBB11_73
; %bb.31:                               ;   in Loop: Header=BB11_6 Depth=1
	s_and_not1_saveexec_b32 s13, s13
	s_cbranch_execnz .LBB11_78
.LBB11_32:                              ;   in Loop: Header=BB11_6 Depth=1
	s_or_b32 exec_lo, exec_lo, s13
	s_and_saveexec_b32 s13, s14
	s_cbranch_execz .LBB11_34
.LBB11_33:                              ;   in Loop: Header=BB11_6 Depth=1
	s_waitcnt vmcnt(0) lgkmcnt(0)
	v_ashrrev_i32_e32 v14, 31, v13
	s_delay_alu instid0(VALU_DEP_1) | instskip(NEXT) | instid1(VALU_DEP_1)
	v_lshlrev_b64 v[13:14], 2, v[13:14]
	v_add_co_u32 v13, vcc_lo, v4, v13
	s_delay_alu instid0(VALU_DEP_2)
	v_add_co_ci_u32_e32 v14, vcc_lo, v5, v14, vcc_lo
	flat_store_b32 v[13:14], v20
.LBB11_34:                              ;   in Loop: Header=BB11_6 Depth=1
	s_or_b32 exec_lo, exec_lo, s13
	v_cmp_gt_i32_e32 vcc_lo, 0, v19
	s_mov_b32 s14, 0
	s_mov_b32 s13, exec_lo
	s_waitcnt vmcnt(0) lgkmcnt(0)
	v_cndmask_b32_e64 v13, 0x7fffffff, 0, vcc_lo
	s_delay_alu instid0(VALU_DEP_1) | instskip(NEXT) | instid1(VALU_DEP_1)
	v_xor_b32_e32 v13, v13, v19
	v_and_b32_e32 v14, v13, v17
                                        ; implicit-def: $vgpr13
	s_delay_alu instid0(VALU_DEP_1)
	v_cmpx_ge_u32_e64 v14, v33
	s_xor_b32 s13, exec_lo, s13
	s_cbranch_execnz .LBB11_79
; %bb.35:                               ;   in Loop: Header=BB11_6 Depth=1
	s_and_not1_saveexec_b32 s13, s13
	s_cbranch_execnz .LBB11_84
.LBB11_36:                              ;   in Loop: Header=BB11_6 Depth=1
	s_or_b32 exec_lo, exec_lo, s13
	s_and_saveexec_b32 s13, s14
	s_cbranch_execz .LBB11_5
	s_branch .LBB11_85
.LBB11_37:                              ;   in Loop: Header=BB11_6 Depth=1
	s_mov_b32 s15, 0
	s_mov_b32 s14, exec_lo
                                        ; implicit-def: $vgpr13
	v_cmpx_eq_u32_e64 v14, v33
	s_cbranch_execz .LBB11_41
; %bb.38:                               ;   in Loop: Header=BB11_6 Depth=1
	flat_atomic_add_u32 v14, v[8:9], v18 offset:512 glc
	s_mov_b32 s16, exec_lo
                                        ; implicit-def: $vgpr13
	s_waitcnt vmcnt(0) lgkmcnt(0)
	v_cmpx_lt_i32_e64 v14, v32
	s_xor_b32 s16, exec_lo, s16
; %bb.39:                               ;   in Loop: Header=BB11_6 Depth=1
	v_xad_u32 v13, v14, -1, v7
	s_mov_b32 s15, exec_lo
; %bb.40:                               ;   in Loop: Header=BB11_6 Depth=1
	s_or_b32 exec_lo, exec_lo, s16
	s_delay_alu instid0(SALU_CYCLE_1)
	s_and_b32 s15, s15, exec_lo
.LBB11_41:                              ;   in Loop: Header=BB11_6 Depth=1
	s_or_b32 exec_lo, exec_lo, s14
	s_delay_alu instid0(SALU_CYCLE_1)
	s_and_b32 s14, s15, exec_lo
	s_and_not1_saveexec_b32 s13, s13
	s_cbranch_execz .LBB11_8
.LBB11_42:                              ;   in Loop: Header=BB11_6 Depth=1
	flat_atomic_add_u32 v13, v[8:9], v18 offset:384 glc
	s_or_b32 s14, s14, exec_lo
	s_or_b32 exec_lo, exec_lo, s13
	s_and_saveexec_b32 s13, s14
	s_cbranch_execnz .LBB11_9
	s_branch .LBB11_10
.LBB11_43:                              ;   in Loop: Header=BB11_6 Depth=1
	s_mov_b32 s15, 0
	s_mov_b32 s14, exec_lo
                                        ; implicit-def: $vgpr13
	v_cmpx_eq_u32_e64 v14, v33
	s_cbranch_execz .LBB11_47
; %bb.44:                               ;   in Loop: Header=BB11_6 Depth=1
	flat_atomic_add_u32 v14, v[8:9], v18 offset:512 glc
	s_mov_b32 s16, exec_lo
                                        ; implicit-def: $vgpr13
	s_waitcnt vmcnt(0) lgkmcnt(0)
	v_cmpx_lt_i32_e64 v14, v32
	s_xor_b32 s16, exec_lo, s16
; %bb.45:                               ;   in Loop: Header=BB11_6 Depth=1
	v_xad_u32 v13, v14, -1, v7
	s_mov_b32 s15, exec_lo
; %bb.46:                               ;   in Loop: Header=BB11_6 Depth=1
	s_or_b32 exec_lo, exec_lo, s16
	s_delay_alu instid0(SALU_CYCLE_1)
	s_and_b32 s15, s15, exec_lo
.LBB11_47:                              ;   in Loop: Header=BB11_6 Depth=1
	s_or_b32 exec_lo, exec_lo, s14
	s_delay_alu instid0(SALU_CYCLE_1)
	s_and_b32 s14, s15, exec_lo
	s_and_not1_saveexec_b32 s13, s13
	s_cbranch_execz .LBB11_12
.LBB11_48:                              ;   in Loop: Header=BB11_6 Depth=1
	flat_atomic_add_u32 v13, v[8:9], v18 offset:384 glc
	s_or_b32 s14, s14, exec_lo
	s_or_b32 exec_lo, exec_lo, s13
	s_and_saveexec_b32 s13, s14
	s_cbranch_execnz .LBB11_13
	s_branch .LBB11_14
.LBB11_49:                              ;   in Loop: Header=BB11_6 Depth=1
	s_mov_b32 s15, 0
	s_mov_b32 s14, exec_lo
                                        ; implicit-def: $vgpr13
	v_cmpx_eq_u32_e64 v14, v33
	s_cbranch_execz .LBB11_53
; %bb.50:                               ;   in Loop: Header=BB11_6 Depth=1
	flat_atomic_add_u32 v14, v[8:9], v18 offset:512 glc
	s_mov_b32 s16, exec_lo
                                        ; implicit-def: $vgpr13
	s_waitcnt vmcnt(0) lgkmcnt(0)
	v_cmpx_lt_i32_e64 v14, v32
	s_xor_b32 s16, exec_lo, s16
; %bb.51:                               ;   in Loop: Header=BB11_6 Depth=1
	v_xad_u32 v13, v14, -1, v7
	s_mov_b32 s15, exec_lo
; %bb.52:                               ;   in Loop: Header=BB11_6 Depth=1
	s_or_b32 exec_lo, exec_lo, s16
	s_delay_alu instid0(SALU_CYCLE_1)
	s_and_b32 s15, s15, exec_lo
.LBB11_53:                              ;   in Loop: Header=BB11_6 Depth=1
	s_or_b32 exec_lo, exec_lo, s14
	s_delay_alu instid0(SALU_CYCLE_1)
	s_and_b32 s14, s15, exec_lo
	s_and_not1_saveexec_b32 s13, s13
	s_cbranch_execz .LBB11_16
.LBB11_54:                              ;   in Loop: Header=BB11_6 Depth=1
	flat_atomic_add_u32 v13, v[8:9], v18 offset:384 glc
	s_or_b32 s14, s14, exec_lo
	s_or_b32 exec_lo, exec_lo, s13
	s_and_saveexec_b32 s13, s14
	s_cbranch_execnz .LBB11_17
	s_branch .LBB11_18
.LBB11_55:                              ;   in Loop: Header=BB11_6 Depth=1
	s_mov_b32 s15, 0
	s_mov_b32 s14, exec_lo
                                        ; implicit-def: $vgpr13
	v_cmpx_eq_u32_e64 v14, v33
	s_cbranch_execz .LBB11_59
; %bb.56:                               ;   in Loop: Header=BB11_6 Depth=1
	flat_atomic_add_u32 v14, v[8:9], v18 offset:512 glc
	s_mov_b32 s16, exec_lo
                                        ; implicit-def: $vgpr13
	s_waitcnt vmcnt(0) lgkmcnt(0)
	v_cmpx_lt_i32_e64 v14, v32
	s_xor_b32 s16, exec_lo, s16
; %bb.57:                               ;   in Loop: Header=BB11_6 Depth=1
	v_xad_u32 v13, v14, -1, v7
	s_mov_b32 s15, exec_lo
; %bb.58:                               ;   in Loop: Header=BB11_6 Depth=1
	s_or_b32 exec_lo, exec_lo, s16
	s_delay_alu instid0(SALU_CYCLE_1)
	s_and_b32 s15, s15, exec_lo
.LBB11_59:                              ;   in Loop: Header=BB11_6 Depth=1
	s_or_b32 exec_lo, exec_lo, s14
	s_delay_alu instid0(SALU_CYCLE_1)
	s_and_b32 s14, s15, exec_lo
	s_and_not1_saveexec_b32 s13, s13
	s_cbranch_execz .LBB11_20
.LBB11_60:                              ;   in Loop: Header=BB11_6 Depth=1
	flat_atomic_add_u32 v13, v[8:9], v18 offset:384 glc
	s_or_b32 s14, s14, exec_lo
	s_or_b32 exec_lo, exec_lo, s13
	s_and_saveexec_b32 s13, s14
	s_cbranch_execnz .LBB11_21
	s_branch .LBB11_22
.LBB11_61:                              ;   in Loop: Header=BB11_6 Depth=1
	s_mov_b32 s15, 0
	s_mov_b32 s14, exec_lo
                                        ; implicit-def: $vgpr13
	v_cmpx_eq_u32_e64 v14, v33
	s_cbranch_execz .LBB11_65
; %bb.62:                               ;   in Loop: Header=BB11_6 Depth=1
	flat_atomic_add_u32 v14, v[8:9], v18 offset:512 glc
	s_mov_b32 s16, exec_lo
                                        ; implicit-def: $vgpr13
	s_waitcnt vmcnt(0) lgkmcnt(0)
	v_cmpx_lt_i32_e64 v14, v32
	s_xor_b32 s16, exec_lo, s16
; %bb.63:                               ;   in Loop: Header=BB11_6 Depth=1
	v_xad_u32 v13, v14, -1, v7
	s_mov_b32 s15, exec_lo
; %bb.64:                               ;   in Loop: Header=BB11_6 Depth=1
	s_or_b32 exec_lo, exec_lo, s16
	s_delay_alu instid0(SALU_CYCLE_1)
	s_and_b32 s15, s15, exec_lo
.LBB11_65:                              ;   in Loop: Header=BB11_6 Depth=1
	s_or_b32 exec_lo, exec_lo, s14
	s_delay_alu instid0(SALU_CYCLE_1)
	s_and_b32 s14, s15, exec_lo
	s_and_not1_saveexec_b32 s13, s13
	s_cbranch_execz .LBB11_24
.LBB11_66:                              ;   in Loop: Header=BB11_6 Depth=1
	flat_atomic_add_u32 v13, v[8:9], v18 offset:384 glc
	s_or_b32 s14, s14, exec_lo
	s_or_b32 exec_lo, exec_lo, s13
	s_and_saveexec_b32 s13, s14
	s_cbranch_execnz .LBB11_25
	s_branch .LBB11_26
.LBB11_67:                              ;   in Loop: Header=BB11_6 Depth=1
	s_mov_b32 s15, 0
	s_mov_b32 s14, exec_lo
                                        ; implicit-def: $vgpr13
	v_cmpx_eq_u32_e64 v14, v33
	s_cbranch_execz .LBB11_71
; %bb.68:                               ;   in Loop: Header=BB11_6 Depth=1
	flat_atomic_add_u32 v14, v[8:9], v18 offset:512 glc
	s_mov_b32 s16, exec_lo
                                        ; implicit-def: $vgpr13
	s_waitcnt vmcnt(0) lgkmcnt(0)
	v_cmpx_lt_i32_e64 v14, v32
	s_xor_b32 s16, exec_lo, s16
; %bb.69:                               ;   in Loop: Header=BB11_6 Depth=1
	v_xad_u32 v13, v14, -1, v7
	s_mov_b32 s15, exec_lo
; %bb.70:                               ;   in Loop: Header=BB11_6 Depth=1
	s_or_b32 exec_lo, exec_lo, s16
	s_delay_alu instid0(SALU_CYCLE_1)
	s_and_b32 s15, s15, exec_lo
.LBB11_71:                              ;   in Loop: Header=BB11_6 Depth=1
	s_or_b32 exec_lo, exec_lo, s14
	s_delay_alu instid0(SALU_CYCLE_1)
	s_and_b32 s14, s15, exec_lo
	s_and_not1_saveexec_b32 s13, s13
	s_cbranch_execz .LBB11_28
.LBB11_72:                              ;   in Loop: Header=BB11_6 Depth=1
	flat_atomic_add_u32 v13, v[8:9], v18 offset:384 glc
	s_or_b32 s14, s14, exec_lo
	s_or_b32 exec_lo, exec_lo, s13
	s_and_saveexec_b32 s13, s14
	s_cbranch_execnz .LBB11_29
	s_branch .LBB11_30
.LBB11_73:                              ;   in Loop: Header=BB11_6 Depth=1
	s_mov_b32 s15, 0
	s_mov_b32 s14, exec_lo
                                        ; implicit-def: $vgpr13
	v_cmpx_eq_u32_e64 v14, v33
	s_cbranch_execz .LBB11_77
; %bb.74:                               ;   in Loop: Header=BB11_6 Depth=1
	flat_atomic_add_u32 v14, v[8:9], v18 offset:512 glc
	s_mov_b32 s16, exec_lo
                                        ; implicit-def: $vgpr13
	s_waitcnt vmcnt(0) lgkmcnt(0)
	v_cmpx_lt_i32_e64 v14, v32
	s_xor_b32 s16, exec_lo, s16
; %bb.75:                               ;   in Loop: Header=BB11_6 Depth=1
	v_xad_u32 v13, v14, -1, v7
	s_mov_b32 s15, exec_lo
; %bb.76:                               ;   in Loop: Header=BB11_6 Depth=1
	s_or_b32 exec_lo, exec_lo, s16
	s_delay_alu instid0(SALU_CYCLE_1)
	s_and_b32 s15, s15, exec_lo
.LBB11_77:                              ;   in Loop: Header=BB11_6 Depth=1
	s_or_b32 exec_lo, exec_lo, s14
	s_delay_alu instid0(SALU_CYCLE_1)
	s_and_b32 s14, s15, exec_lo
	s_and_not1_saveexec_b32 s13, s13
	s_cbranch_execz .LBB11_32
.LBB11_78:                              ;   in Loop: Header=BB11_6 Depth=1
	flat_atomic_add_u32 v13, v[8:9], v18 offset:384 glc
	s_or_b32 s14, s14, exec_lo
	s_or_b32 exec_lo, exec_lo, s13
	s_and_saveexec_b32 s13, s14
	s_cbranch_execnz .LBB11_33
	s_branch .LBB11_34
.LBB11_79:                              ;   in Loop: Header=BB11_6 Depth=1
	s_mov_b32 s15, 0
	s_mov_b32 s14, exec_lo
                                        ; implicit-def: $vgpr13
	v_cmpx_eq_u32_e64 v14, v33
	s_cbranch_execz .LBB11_83
; %bb.80:                               ;   in Loop: Header=BB11_6 Depth=1
	flat_atomic_add_u32 v14, v[8:9], v18 offset:512 glc
	s_mov_b32 s16, exec_lo
                                        ; implicit-def: $vgpr13
	s_waitcnt vmcnt(0) lgkmcnt(0)
	v_cmpx_lt_i32_e64 v14, v32
	s_xor_b32 s16, exec_lo, s16
; %bb.81:                               ;   in Loop: Header=BB11_6 Depth=1
	v_xad_u32 v13, v14, -1, v7
	s_mov_b32 s15, exec_lo
; %bb.82:                               ;   in Loop: Header=BB11_6 Depth=1
	s_or_b32 exec_lo, exec_lo, s16
	s_delay_alu instid0(SALU_CYCLE_1)
	s_and_b32 s15, s15, exec_lo
.LBB11_83:                              ;   in Loop: Header=BB11_6 Depth=1
	s_or_b32 exec_lo, exec_lo, s14
	s_delay_alu instid0(SALU_CYCLE_1)
	s_and_b32 s14, s15, exec_lo
	s_and_not1_saveexec_b32 s13, s13
	s_cbranch_execz .LBB11_36
.LBB11_84:                              ;   in Loop: Header=BB11_6 Depth=1
	flat_atomic_add_u32 v13, v[8:9], v18 offset:384 glc
	s_or_b32 s14, s14, exec_lo
	s_or_b32 exec_lo, exec_lo, s13
	s_and_saveexec_b32 s13, s14
	s_cbranch_execz .LBB11_5
.LBB11_85:                              ;   in Loop: Header=BB11_6 Depth=1
	s_waitcnt vmcnt(0) lgkmcnt(0)
	v_ashrrev_i32_e32 v14, 31, v13
	s_delay_alu instid0(VALU_DEP_1) | instskip(NEXT) | instid1(VALU_DEP_1)
	v_lshlrev_b64 v[13:14], 2, v[13:14]
	v_add_co_u32 v13, vcc_lo, v4, v13
	s_delay_alu instid0(VALU_DEP_2)
	v_add_co_ci_u32_e32 v14, vcc_lo, v5, v14, vcc_lo
	flat_store_b32 v[13:14], v10
	s_branch .LBB11_5
.LBB11_86:
	s_or_b32 exec_lo, exec_lo, s10
.LBB11_87:
	s_delay_alu instid0(SALU_CYCLE_1) | instskip(NEXT) | instid1(SALU_CYCLE_1)
	s_or_b32 exec_lo, exec_lo, s0
	s_mov_b32 s3, exec_lo
	v_cmpx_lt_i32_e64 v10, v6
	s_cbranch_execz .LBB11_100
; %bb.88:
	v_dual_mov_b32 v11, 0 :: v_dual_mov_b32 v16, 1
	v_lshlrev_b32_e64 v15, v15, -1
	s_mov_b32 s4, 0
	s_lshl_b32 s5, s2, 2
	s_delay_alu instid0(VALU_DEP_2)
	v_lshlrev_b64 v[11:12], 2, v[10:11]
	s_branch .LBB11_90
.LBB11_89:                              ;   in Loop: Header=BB11_90 Depth=1
	s_or_b32 exec_lo, exec_lo, s0
	v_add_nc_u32_e32 v10, s2, v10
	v_add_co_u32 v11, s0, v11, s5
	s_delay_alu instid0(VALU_DEP_1) | instskip(NEXT) | instid1(VALU_DEP_3)
	v_add_co_ci_u32_e64 v12, s0, 0, v12, s0
	v_cmp_ge_i32_e32 vcc_lo, v10, v6
	s_or_b32 s4, vcc_lo, s4
	s_delay_alu instid0(SALU_CYCLE_1)
	s_and_not1_b32 exec_lo, exec_lo, s4
	s_cbranch_execz .LBB11_100
.LBB11_90:                              ; =>This Inner Loop Header: Depth=1
	s_waitcnt vmcnt(0) lgkmcnt(0)
	s_delay_alu instid0(VALU_DEP_1) | instskip(NEXT) | instid1(VALU_DEP_2)
	v_add_co_u32 v13, vcc_lo, v0, v11
	v_add_co_ci_u32_e32 v14, vcc_lo, v1, v12, vcc_lo
	s_mov_b32 s6, 0
	s_mov_b32 s0, exec_lo
	flat_load_b32 v18, v[13:14]
	v_add_co_u32 v13, vcc_lo, v2, v11
	v_add_co_ci_u32_e32 v14, vcc_lo, v3, v12, vcc_lo
	flat_load_b32 v17, v[13:14]
	s_waitcnt vmcnt(1) lgkmcnt(1)
	v_cmp_gt_i32_e32 vcc_lo, 0, v18
	v_cndmask_b32_e64 v13, 0x7fffffff, 0, vcc_lo
	s_delay_alu instid0(VALU_DEP_1) | instskip(NEXT) | instid1(VALU_DEP_1)
	v_xor_b32_e32 v13, v13, v18
	v_and_b32_e32 v14, v13, v15
                                        ; implicit-def: $vgpr13
	s_delay_alu instid0(VALU_DEP_1)
	v_cmpx_ge_u32_e64 v14, v33
	s_xor_b32 s0, exec_lo, s0
	s_cbranch_execnz .LBB11_93
; %bb.91:                               ;   in Loop: Header=BB11_90 Depth=1
	s_and_not1_saveexec_b32 s0, s0
	s_cbranch_execnz .LBB11_98
.LBB11_92:                              ;   in Loop: Header=BB11_90 Depth=1
	s_or_b32 exec_lo, exec_lo, s0
	s_and_saveexec_b32 s0, s6
	s_cbranch_execz .LBB11_89
	s_branch .LBB11_99
.LBB11_93:                              ;   in Loop: Header=BB11_90 Depth=1
	s_mov_b32 s7, 0
	s_mov_b32 s6, exec_lo
                                        ; implicit-def: $vgpr13
	v_cmpx_eq_u32_e64 v14, v33
	s_cbranch_execz .LBB11_97
; %bb.94:                               ;   in Loop: Header=BB11_90 Depth=1
	flat_atomic_add_u32 v14, v[8:9], v16 offset:512 glc
	s_mov_b32 s10, exec_lo
                                        ; implicit-def: $vgpr13
	s_waitcnt vmcnt(0) lgkmcnt(0)
	v_cmpx_lt_i32_e64 v14, v32
	s_xor_b32 s10, exec_lo, s10
; %bb.95:                               ;   in Loop: Header=BB11_90 Depth=1
	v_xad_u32 v13, v14, -1, v7
	s_mov_b32 s7, exec_lo
; %bb.96:                               ;   in Loop: Header=BB11_90 Depth=1
	s_or_b32 exec_lo, exec_lo, s10
	s_delay_alu instid0(SALU_CYCLE_1)
	s_and_b32 s7, s7, exec_lo
.LBB11_97:                              ;   in Loop: Header=BB11_90 Depth=1
	s_or_b32 exec_lo, exec_lo, s6
	s_delay_alu instid0(SALU_CYCLE_1)
	s_and_b32 s6, s7, exec_lo
	s_and_not1_saveexec_b32 s0, s0
	s_cbranch_execz .LBB11_92
.LBB11_98:                              ;   in Loop: Header=BB11_90 Depth=1
	flat_atomic_add_u32 v13, v[8:9], v16 offset:384 glc
	s_or_b32 s6, s6, exec_lo
	s_or_b32 exec_lo, exec_lo, s0
	s_and_saveexec_b32 s0, s6
	s_cbranch_execz .LBB11_89
.LBB11_99:                              ;   in Loop: Header=BB11_90 Depth=1
	s_waitcnt vmcnt(0) lgkmcnt(0)
	v_ashrrev_i32_e32 v14, 31, v13
	s_delay_alu instid0(VALU_DEP_1) | instskip(NEXT) | instid1(VALU_DEP_1)
	v_lshlrev_b64 v[13:14], 2, v[13:14]
	v_add_co_u32 v13, vcc_lo, v4, v13
	s_delay_alu instid0(VALU_DEP_2)
	v_add_co_ci_u32_e32 v14, vcc_lo, v5, v14, vcc_lo
	flat_store_b32 v[13:14], v17
	s_branch .LBB11_89
.LBB11_100:
	s_or_b32 exec_lo, exec_lo, s3
                                        ; implicit-def: $vgpr33
                                        ; implicit-def: $vgpr15
                                        ; implicit-def: $vgpr32
                                        ; implicit-def: $vgpr0
                                        ; implicit-def: $vgpr1
                                        ; implicit-def: $vgpr4
                                        ; implicit-def: $vgpr5
                                        ; implicit-def: $vgpr6
                                        ; implicit-def: $vgpr7
                                        ; implicit-def: $vgpr8_vgpr9
                                        ; implicit-def: $vgpr22
	s_and_not1_saveexec_b32 s0, s1
	s_cbranch_execz .LBB11_2
.LBB11_101:
	s_load_b32 s1, s[8:9], 0x0
	v_dual_mov_b32 v23, 0 :: v_dual_and_b32 v2, 15, v0
	v_lshlrev_b32_e64 v31, v15, -1
	v_mov_b32_e32 v26, v22
	s_delay_alu instid0(VALU_DEP_3) | instskip(NEXT) | instid1(VALU_DEP_1)
	v_sub_nc_u32_e32 v11, 16, v2
	v_lshrrev_b32_e32 v11, 2, v11
	v_mov_b32_e32 v3, v23
	s_delay_alu instid0(VALU_DEP_1)
	v_cmp_ne_u64_e32 vcc_lo, 0, v[2:3]
	s_waitcnt lgkmcnt(0)
	s_cmp_lt_u32 s12, s1
	s_cselect_b32 s1, 12, 18
	v_cndmask_b32_e32 v2, 0, v11, vcc_lo
	s_add_u32 s2, s8, s1
	s_addc_u32 s3, s9, 0
	global_load_u16 v10, v23, s[2:3]
	v_min_i32_e32 v2, v2, v6
	s_mov_b32 s2, 0
	s_delay_alu instid0(VALU_DEP_1) | instskip(NEXT) | instid1(VALU_DEP_1)
	v_sub_nc_u32_e32 v3, v6, v2
	v_ashrrev_i32_e32 v11, 31, v3
	s_delay_alu instid0(VALU_DEP_1) | instskip(SKIP_2) | instid1(VALU_DEP_2)
	v_lshrrev_b32_e32 v11, 30, v11
	s_waitcnt vmcnt(0)
	v_and_b32_e32 v34, 0xffff, v10
	v_add_nc_u32_e32 v10, v3, v11
	v_ashrrev_i32_e32 v3, 31, v2
	s_delay_alu instid0(VALU_DEP_3) | instskip(NEXT) | instid1(VALU_DEP_3)
	v_mul_lo_u32 v37, v34, 3
	v_ashrrev_i32_e32 v24, 2, v10
	s_delay_alu instid0(VALU_DEP_3) | instskip(SKIP_1) | instid1(VALU_DEP_3)
	v_lshlrev_b64 v[10:11], 2, v[2:3]
	v_lshlrev_b32_e32 v36, 2, v34
	v_ashrrev_i32_e32 v25, 31, v24
	v_add_co_u32 v28, s1, v37, v22
	s_delay_alu instid0(VALU_DEP_4) | instskip(SKIP_3) | instid1(VALU_DEP_2)
	v_add_co_u32 v3, vcc_lo, v0, v10
	v_add_co_ci_u32_e64 v29, null, 0, 0, s1
	v_add_co_ci_u32_e32 v35, vcc_lo, v1, v11, vcc_lo
	s_mov_b32 s1, exec_lo
	v_cmpx_lt_u64_e64 v[28:29], v[24:25]
	s_cbranch_execz .LBB11_265
; %bb.102:
	v_dual_mov_b32 v39, 1 :: v_dual_lshlrev_b32 v38, 4, v34
	v_dual_mov_b32 v27, v23 :: v_dual_mov_b32 v26, v22
	s_branch .LBB11_104
.LBB11_103:                             ;   in Loop: Header=BB11_104 Depth=1
	s_or_b32 exec_lo, exec_lo, s3
	v_add_nc_u32_e32 v26, v36, v26
	s_delay_alu instid0(VALU_DEP_1) | instskip(SKIP_1) | instid1(VALU_DEP_2)
	v_ashrrev_i32_e32 v27, 31, v26
	v_add_co_u32 v28, vcc_lo, v37, v26
	v_add_co_ci_u32_e32 v29, vcc_lo, 0, v27, vcc_lo
	s_delay_alu instid0(VALU_DEP_1) | instskip(SKIP_1) | instid1(SALU_CYCLE_1)
	v_cmp_ge_u64_e32 vcc_lo, v[28:29], v[24:25]
	s_or_b32 s2, vcc_lo, s2
	s_and_not1_b32 exec_lo, exec_lo, s2
	s_cbranch_execz .LBB11_264
.LBB11_104:                             ; =>This Inner Loop Header: Depth=1
	s_waitcnt vmcnt(0) lgkmcnt(0)
	s_delay_alu instid0(VALU_DEP_1) | instskip(SKIP_2) | instid1(VALU_DEP_1)
	v_lshlrev_b64 v[10:11], 4, v[26:27]
	s_mov_b32 s4, 0
	s_mov_b32 s3, exec_lo
	v_add_co_u32 v14, vcc_lo, v3, v10
	s_delay_alu instid0(VALU_DEP_2) | instskip(NEXT) | instid1(VALU_DEP_2)
	v_add_co_ci_u32_e32 v15, vcc_lo, v35, v11, vcc_lo
	v_add_co_u32 v18, vcc_lo, v14, v38
	flat_load_b128 v[10:13], v[14:15]
	v_add_co_ci_u32_e32 v19, vcc_lo, 0, v15, vcc_lo
	flat_load_b128 v[14:17], v[18:19]
	s_waitcnt vmcnt(1) lgkmcnt(1)
	v_cmp_gt_i32_e32 vcc_lo, 0, v10
	v_cndmask_b32_e64 v20, 0x7fffffff, 0, vcc_lo
	s_delay_alu instid0(VALU_DEP_1) | instskip(NEXT) | instid1(VALU_DEP_1)
	v_xor_b32_e32 v10, v20, v10
                                        ; implicit-def: $vgpr20
	v_and_b32_e32 v10, v10, v31
	s_delay_alu instid0(VALU_DEP_1)
	v_cmpx_ge_u32_e64 v10, v33
	s_xor_b32 s3, exec_lo, s3
	s_cbranch_execnz .LBB11_179
; %bb.105:                              ;   in Loop: Header=BB11_104 Depth=1
	s_and_not1_saveexec_b32 s3, s3
	s_cbranch_execnz .LBB11_184
.LBB11_106:                             ;   in Loop: Header=BB11_104 Depth=1
	s_or_b32 exec_lo, exec_lo, s3
	v_lshl_add_u32 v23, v26, 2, v2
	s_and_saveexec_b32 s3, s4
	s_cbranch_execz .LBB11_108
.LBB11_107:                             ;   in Loop: Header=BB11_104 Depth=1
	s_waitcnt vmcnt(0) lgkmcnt(0)
	v_ashrrev_i32_e32 v21, 31, v20
	s_delay_alu instid0(VALU_DEP_1) | instskip(NEXT) | instid1(VALU_DEP_1)
	v_lshlrev_b64 v[20:21], 2, v[20:21]
	v_add_co_u32 v20, vcc_lo, v4, v20
	s_delay_alu instid0(VALU_DEP_2)
	v_add_co_ci_u32_e32 v21, vcc_lo, v5, v21, vcc_lo
	flat_store_b32 v[20:21], v23
.LBB11_108:                             ;   in Loop: Header=BB11_104 Depth=1
	s_or_b32 exec_lo, exec_lo, s3
	v_cmp_gt_i32_e32 vcc_lo, 0, v11
	s_mov_b32 s4, 0
	s_mov_b32 s3, exec_lo
	v_cndmask_b32_e64 v10, 0x7fffffff, 0, vcc_lo
	s_delay_alu instid0(VALU_DEP_1) | instskip(NEXT) | instid1(VALU_DEP_1)
	v_xor_b32_e32 v10, v10, v11
	v_and_b32_e32 v11, v10, v31
                                        ; implicit-def: $vgpr10
	s_delay_alu instid0(VALU_DEP_1)
	v_cmpx_ge_u32_e64 v11, v33
	s_xor_b32 s3, exec_lo, s3
	s_cbranch_execnz .LBB11_185
; %bb.109:                              ;   in Loop: Header=BB11_104 Depth=1
	s_and_not1_saveexec_b32 s3, s3
	s_cbranch_execnz .LBB11_190
.LBB11_110:                             ;   in Loop: Header=BB11_104 Depth=1
	s_or_b32 exec_lo, exec_lo, s3
	s_and_saveexec_b32 s3, s4
	s_cbranch_execz .LBB11_112
.LBB11_111:                             ;   in Loop: Header=BB11_104 Depth=1
	s_waitcnt vmcnt(0) lgkmcnt(0)
	v_ashrrev_i32_e32 v11, 31, v10
	v_add_nc_u32_e32 v20, 1, v23
	s_delay_alu instid0(VALU_DEP_2) | instskip(NEXT) | instid1(VALU_DEP_1)
	v_lshlrev_b64 v[10:11], 2, v[10:11]
	v_add_co_u32 v10, vcc_lo, v4, v10
	s_delay_alu instid0(VALU_DEP_2)
	v_add_co_ci_u32_e32 v11, vcc_lo, v5, v11, vcc_lo
	flat_store_b32 v[10:11], v20
.LBB11_112:                             ;   in Loop: Header=BB11_104 Depth=1
	s_or_b32 exec_lo, exec_lo, s3
	v_cmp_gt_i32_e32 vcc_lo, 0, v12
	s_mov_b32 s4, 0
	s_mov_b32 s3, exec_lo
	s_waitcnt vmcnt(0) lgkmcnt(0)
	v_cndmask_b32_e64 v10, 0x7fffffff, 0, vcc_lo
	s_delay_alu instid0(VALU_DEP_1) | instskip(NEXT) | instid1(VALU_DEP_1)
	v_xor_b32_e32 v10, v10, v12
	v_and_b32_e32 v11, v10, v31
                                        ; implicit-def: $vgpr10
	s_delay_alu instid0(VALU_DEP_1)
	v_cmpx_ge_u32_e64 v11, v33
	s_xor_b32 s3, exec_lo, s3
	s_cbranch_execnz .LBB11_191
; %bb.113:                              ;   in Loop: Header=BB11_104 Depth=1
	s_and_not1_saveexec_b32 s3, s3
	s_cbranch_execnz .LBB11_196
.LBB11_114:                             ;   in Loop: Header=BB11_104 Depth=1
	s_or_b32 exec_lo, exec_lo, s3
	s_and_saveexec_b32 s3, s4
	s_cbranch_execz .LBB11_116
.LBB11_115:                             ;   in Loop: Header=BB11_104 Depth=1
	s_waitcnt vmcnt(0) lgkmcnt(0)
	v_ashrrev_i32_e32 v11, 31, v10
	v_add_nc_u32_e32 v12, 2, v23
	s_delay_alu instid0(VALU_DEP_2) | instskip(NEXT) | instid1(VALU_DEP_1)
	v_lshlrev_b64 v[10:11], 2, v[10:11]
	v_add_co_u32 v10, vcc_lo, v4, v10
	s_delay_alu instid0(VALU_DEP_2)
	v_add_co_ci_u32_e32 v11, vcc_lo, v5, v11, vcc_lo
	flat_store_b32 v[10:11], v12
.LBB11_116:                             ;   in Loop: Header=BB11_104 Depth=1
	s_or_b32 exec_lo, exec_lo, s3
	v_cmp_gt_i32_e32 vcc_lo, 0, v13
	s_mov_b32 s4, 0
	s_mov_b32 s3, exec_lo
	s_waitcnt vmcnt(0) lgkmcnt(0)
	v_cndmask_b32_e64 v10, 0x7fffffff, 0, vcc_lo
	s_delay_alu instid0(VALU_DEP_1) | instskip(NEXT) | instid1(VALU_DEP_1)
	v_xor_b32_e32 v10, v10, v13
	v_and_b32_e32 v11, v10, v31
                                        ; implicit-def: $vgpr10
	s_delay_alu instid0(VALU_DEP_1)
	v_cmpx_ge_u32_e64 v11, v33
	s_xor_b32 s3, exec_lo, s3
	s_cbranch_execnz .LBB11_197
; %bb.117:                              ;   in Loop: Header=BB11_104 Depth=1
	s_and_not1_saveexec_b32 s3, s3
	s_cbranch_execnz .LBB11_202
.LBB11_118:                             ;   in Loop: Header=BB11_104 Depth=1
	s_or_b32 exec_lo, exec_lo, s3
	s_and_saveexec_b32 s3, s4
	s_cbranch_execz .LBB11_120
.LBB11_119:                             ;   in Loop: Header=BB11_104 Depth=1
	s_waitcnt vmcnt(0) lgkmcnt(0)
	v_ashrrev_i32_e32 v11, 31, v10
	v_add_nc_u32_e32 v12, 3, v23
	s_delay_alu instid0(VALU_DEP_2) | instskip(NEXT) | instid1(VALU_DEP_1)
	v_lshlrev_b64 v[10:11], 2, v[10:11]
	v_add_co_u32 v10, vcc_lo, v4, v10
	s_delay_alu instid0(VALU_DEP_2)
	v_add_co_ci_u32_e32 v11, vcc_lo, v5, v11, vcc_lo
	flat_store_b32 v[10:11], v12
.LBB11_120:                             ;   in Loop: Header=BB11_104 Depth=1
	s_or_b32 exec_lo, exec_lo, s3
	s_waitcnt vmcnt(0) lgkmcnt(0)
	v_lshlrev_b64 v[10:11], 4, v[28:29]
	v_add_co_u32 v12, vcc_lo, v18, v38
	v_add_co_ci_u32_e32 v13, vcc_lo, 0, v19, vcc_lo
	s_mov_b32 s4, 0
	s_delay_alu instid0(VALU_DEP_3) | instskip(NEXT) | instid1(VALU_DEP_4)
	v_add_co_u32 v10, vcc_lo, v3, v10
	v_add_co_ci_u32_e32 v11, vcc_lo, v35, v11, vcc_lo
	v_cmp_gt_i32_e32 vcc_lo, 0, v14
	s_mov_b32 s3, exec_lo
	s_clause 0x1
	flat_load_b128 v[18:21], v[12:13]
	flat_load_b128 v[10:13], v[10:11]
                                        ; implicit-def: $vgpr29
	v_cndmask_b32_e64 v23, 0x7fffffff, 0, vcc_lo
	s_delay_alu instid0(VALU_DEP_1) | instskip(NEXT) | instid1(VALU_DEP_1)
	v_xor_b32_e32 v14, v23, v14
	v_and_b32_e32 v14, v14, v31
	s_delay_alu instid0(VALU_DEP_1)
	v_cmpx_ge_u32_e64 v14, v33
	s_xor_b32 s3, exec_lo, s3
	s_cbranch_execz .LBB11_126
; %bb.121:                              ;   in Loop: Header=BB11_104 Depth=1
	s_mov_b32 s5, 0
	s_mov_b32 s4, exec_lo
                                        ; implicit-def: $vgpr29
	v_cmpx_eq_u32_e64 v14, v33
	s_cbranch_execz .LBB11_125
; %bb.122:                              ;   in Loop: Header=BB11_104 Depth=1
	flat_atomic_add_u32 v14, v[8:9], v39 offset:512 glc
	s_mov_b32 s6, exec_lo
                                        ; implicit-def: $vgpr29
	s_waitcnt vmcnt(0) lgkmcnt(0)
	v_cmpx_lt_i32_e64 v14, v32
	s_xor_b32 s6, exec_lo, s6
; %bb.123:                              ;   in Loop: Header=BB11_104 Depth=1
	v_xad_u32 v29, v14, -1, v7
	s_mov_b32 s5, exec_lo
; %bb.124:                              ;   in Loop: Header=BB11_104 Depth=1
	s_or_b32 exec_lo, exec_lo, s6
	s_delay_alu instid0(SALU_CYCLE_1)
	s_and_b32 s5, s5, exec_lo
.LBB11_125:                             ;   in Loop: Header=BB11_104 Depth=1
	s_or_b32 exec_lo, exec_lo, s4
	s_delay_alu instid0(SALU_CYCLE_1)
	s_and_b32 s4, s5, exec_lo
.LBB11_126:                             ;   in Loop: Header=BB11_104 Depth=1
	s_and_not1_saveexec_b32 s3, s3
	s_cbranch_execz .LBB11_128
; %bb.127:                              ;   in Loop: Header=BB11_104 Depth=1
	flat_atomic_add_u32 v29, v[8:9], v39 offset:384 glc
	s_or_b32 s4, s4, exec_lo
.LBB11_128:                             ;   in Loop: Header=BB11_104 Depth=1
	s_or_b32 exec_lo, exec_lo, s3
	v_add_co_u32 v23, null, v26, v34
	s_delay_alu instid0(VALU_DEP_1)
	v_lshl_add_u32 v27, v23, 2, v2
	s_and_saveexec_b32 s3, s4
	s_cbranch_execz .LBB11_130
; %bb.129:                              ;   in Loop: Header=BB11_104 Depth=1
	s_waitcnt vmcnt(0) lgkmcnt(0)
	v_ashrrev_i32_e32 v30, 31, v29
	s_delay_alu instid0(VALU_DEP_1) | instskip(NEXT) | instid1(VALU_DEP_1)
	v_lshlrev_b64 v[29:30], 2, v[29:30]
	v_add_co_u32 v29, vcc_lo, v4, v29
	s_delay_alu instid0(VALU_DEP_2)
	v_add_co_ci_u32_e32 v30, vcc_lo, v5, v30, vcc_lo
	flat_store_b32 v[29:30], v27
.LBB11_130:                             ;   in Loop: Header=BB11_104 Depth=1
	s_or_b32 exec_lo, exec_lo, s3
	v_cmp_gt_i32_e32 vcc_lo, 0, v15
	s_mov_b32 s4, 0
	s_mov_b32 s3, exec_lo
	v_cndmask_b32_e64 v14, 0x7fffffff, 0, vcc_lo
	s_delay_alu instid0(VALU_DEP_1) | instskip(NEXT) | instid1(VALU_DEP_1)
	v_xor_b32_e32 v14, v14, v15
	v_and_b32_e32 v15, v14, v31
                                        ; implicit-def: $vgpr14
	s_delay_alu instid0(VALU_DEP_1)
	v_cmpx_ge_u32_e64 v15, v33
	s_xor_b32 s3, exec_lo, s3
	s_cbranch_execnz .LBB11_203
; %bb.131:                              ;   in Loop: Header=BB11_104 Depth=1
	s_and_not1_saveexec_b32 s3, s3
	s_cbranch_execnz .LBB11_208
.LBB11_132:                             ;   in Loop: Header=BB11_104 Depth=1
	s_or_b32 exec_lo, exec_lo, s3
	s_and_saveexec_b32 s3, s4
	s_cbranch_execz .LBB11_134
.LBB11_133:                             ;   in Loop: Header=BB11_104 Depth=1
	s_waitcnt vmcnt(0) lgkmcnt(0)
	v_ashrrev_i32_e32 v15, 31, v14
	v_add_nc_u32_e32 v29, 1, v27
	s_delay_alu instid0(VALU_DEP_2) | instskip(NEXT) | instid1(VALU_DEP_1)
	v_lshlrev_b64 v[14:15], 2, v[14:15]
	v_add_co_u32 v14, vcc_lo, v4, v14
	s_delay_alu instid0(VALU_DEP_2)
	v_add_co_ci_u32_e32 v15, vcc_lo, v5, v15, vcc_lo
	flat_store_b32 v[14:15], v29
.LBB11_134:                             ;   in Loop: Header=BB11_104 Depth=1
	s_or_b32 exec_lo, exec_lo, s3
	v_cmp_gt_i32_e32 vcc_lo, 0, v16
	s_mov_b32 s4, 0
	s_mov_b32 s3, exec_lo
	s_waitcnt vmcnt(0) lgkmcnt(0)
	v_cndmask_b32_e64 v14, 0x7fffffff, 0, vcc_lo
	s_delay_alu instid0(VALU_DEP_1) | instskip(NEXT) | instid1(VALU_DEP_1)
	v_xor_b32_e32 v14, v14, v16
	v_and_b32_e32 v15, v14, v31
                                        ; implicit-def: $vgpr14
	s_delay_alu instid0(VALU_DEP_1)
	v_cmpx_ge_u32_e64 v15, v33
	s_xor_b32 s3, exec_lo, s3
	s_cbranch_execnz .LBB11_209
; %bb.135:                              ;   in Loop: Header=BB11_104 Depth=1
	s_and_not1_saveexec_b32 s3, s3
	s_cbranch_execnz .LBB11_214
.LBB11_136:                             ;   in Loop: Header=BB11_104 Depth=1
	s_or_b32 exec_lo, exec_lo, s3
	s_and_saveexec_b32 s3, s4
	s_cbranch_execz .LBB11_138
.LBB11_137:                             ;   in Loop: Header=BB11_104 Depth=1
	s_waitcnt vmcnt(0) lgkmcnt(0)
	v_ashrrev_i32_e32 v15, 31, v14
	v_add_nc_u32_e32 v16, 2, v27
	s_delay_alu instid0(VALU_DEP_2) | instskip(NEXT) | instid1(VALU_DEP_1)
	v_lshlrev_b64 v[14:15], 2, v[14:15]
	v_add_co_u32 v14, vcc_lo, v4, v14
	s_delay_alu instid0(VALU_DEP_2)
	v_add_co_ci_u32_e32 v15, vcc_lo, v5, v15, vcc_lo
	flat_store_b32 v[14:15], v16
.LBB11_138:                             ;   in Loop: Header=BB11_104 Depth=1
	s_or_b32 exec_lo, exec_lo, s3
	v_cmp_gt_i32_e32 vcc_lo, 0, v17
	s_mov_b32 s4, 0
	s_mov_b32 s3, exec_lo
	s_waitcnt vmcnt(0) lgkmcnt(0)
	v_cndmask_b32_e64 v14, 0x7fffffff, 0, vcc_lo
	s_delay_alu instid0(VALU_DEP_1) | instskip(NEXT) | instid1(VALU_DEP_1)
	v_xor_b32_e32 v14, v14, v17
	v_and_b32_e32 v15, v14, v31
                                        ; implicit-def: $vgpr14
	s_delay_alu instid0(VALU_DEP_1)
	v_cmpx_ge_u32_e64 v15, v33
	s_xor_b32 s3, exec_lo, s3
	s_cbranch_execnz .LBB11_215
; %bb.139:                              ;   in Loop: Header=BB11_104 Depth=1
	s_and_not1_saveexec_b32 s3, s3
	s_cbranch_execnz .LBB11_220
.LBB11_140:                             ;   in Loop: Header=BB11_104 Depth=1
	s_or_b32 exec_lo, exec_lo, s3
	s_and_saveexec_b32 s3, s4
	s_cbranch_execz .LBB11_142
.LBB11_141:                             ;   in Loop: Header=BB11_104 Depth=1
	s_waitcnt vmcnt(0) lgkmcnt(0)
	v_ashrrev_i32_e32 v15, 31, v14
	v_add_nc_u32_e32 v16, 3, v27
	s_delay_alu instid0(VALU_DEP_2) | instskip(NEXT) | instid1(VALU_DEP_1)
	v_lshlrev_b64 v[14:15], 2, v[14:15]
	v_add_co_u32 v14, vcc_lo, v4, v14
	s_delay_alu instid0(VALU_DEP_2)
	v_add_co_ci_u32_e32 v15, vcc_lo, v5, v15, vcc_lo
	flat_store_b32 v[14:15], v16
.LBB11_142:                             ;   in Loop: Header=BB11_104 Depth=1
	s_or_b32 exec_lo, exec_lo, s3
	v_cmp_gt_i32_e32 vcc_lo, 0, v18
	s_mov_b32 s4, 0
	s_mov_b32 s3, exec_lo
	s_waitcnt vmcnt(0) lgkmcnt(0)
	v_cndmask_b32_e64 v14, 0x7fffffff, 0, vcc_lo
	s_delay_alu instid0(VALU_DEP_1) | instskip(NEXT) | instid1(VALU_DEP_1)
	v_xor_b32_e32 v14, v14, v18
	v_and_b32_e32 v15, v14, v31
                                        ; implicit-def: $vgpr14
	s_delay_alu instid0(VALU_DEP_1)
	v_cmpx_ge_u32_e64 v15, v33
	s_xor_b32 s3, exec_lo, s3
	s_cbranch_execz .LBB11_148
; %bb.143:                              ;   in Loop: Header=BB11_104 Depth=1
	s_mov_b32 s5, 0
	s_mov_b32 s4, exec_lo
                                        ; implicit-def: $vgpr14
	v_cmpx_eq_u32_e64 v15, v33
	s_cbranch_execz .LBB11_147
; %bb.144:                              ;   in Loop: Header=BB11_104 Depth=1
	flat_atomic_add_u32 v15, v[8:9], v39 offset:512 glc
	s_mov_b32 s6, exec_lo
                                        ; implicit-def: $vgpr14
	s_waitcnt vmcnt(0) lgkmcnt(0)
	v_cmpx_lt_i32_e64 v15, v32
	s_xor_b32 s6, exec_lo, s6
; %bb.145:                              ;   in Loop: Header=BB11_104 Depth=1
	v_xad_u32 v14, v15, -1, v7
	s_mov_b32 s5, exec_lo
; %bb.146:                              ;   in Loop: Header=BB11_104 Depth=1
	s_or_b32 exec_lo, exec_lo, s6
	s_delay_alu instid0(SALU_CYCLE_1)
	s_and_b32 s5, s5, exec_lo
.LBB11_147:                             ;   in Loop: Header=BB11_104 Depth=1
	s_or_b32 exec_lo, exec_lo, s4
	s_delay_alu instid0(SALU_CYCLE_1)
	s_and_b32 s4, s5, exec_lo
.LBB11_148:                             ;   in Loop: Header=BB11_104 Depth=1
	s_and_not1_saveexec_b32 s3, s3
	s_cbranch_execz .LBB11_150
; %bb.149:                              ;   in Loop: Header=BB11_104 Depth=1
	flat_atomic_add_u32 v14, v[8:9], v39 offset:384 glc
	s_or_b32 s4, s4, exec_lo
.LBB11_150:                             ;   in Loop: Header=BB11_104 Depth=1
	s_or_b32 exec_lo, exec_lo, s3
	v_add_nc_u32_e32 v15, v23, v34
	s_delay_alu instid0(VALU_DEP_1)
	v_lshl_add_u32 v16, v15, 2, v2
	s_and_saveexec_b32 s3, s4
	s_cbranch_execz .LBB11_152
; %bb.151:                              ;   in Loop: Header=BB11_104 Depth=1
	s_waitcnt vmcnt(0) lgkmcnt(0)
	v_ashrrev_i32_e32 v15, 31, v14
	s_delay_alu instid0(VALU_DEP_1) | instskip(NEXT) | instid1(VALU_DEP_1)
	v_lshlrev_b64 v[14:15], 2, v[14:15]
	v_add_co_u32 v14, vcc_lo, v4, v14
	s_delay_alu instid0(VALU_DEP_2)
	v_add_co_ci_u32_e32 v15, vcc_lo, v5, v15, vcc_lo
	flat_store_b32 v[14:15], v16
.LBB11_152:                             ;   in Loop: Header=BB11_104 Depth=1
	s_or_b32 exec_lo, exec_lo, s3
	v_cmp_gt_i32_e32 vcc_lo, 0, v19
	s_mov_b32 s4, 0
	s_mov_b32 s3, exec_lo
	s_waitcnt vmcnt(0) lgkmcnt(0)
	v_cndmask_b32_e64 v14, 0x7fffffff, 0, vcc_lo
	s_delay_alu instid0(VALU_DEP_1) | instskip(NEXT) | instid1(VALU_DEP_1)
	v_xor_b32_e32 v14, v14, v19
	v_and_b32_e32 v15, v14, v31
                                        ; implicit-def: $vgpr14
	s_delay_alu instid0(VALU_DEP_1)
	v_cmpx_ge_u32_e64 v15, v33
	s_xor_b32 s3, exec_lo, s3
	s_cbranch_execnz .LBB11_221
; %bb.153:                              ;   in Loop: Header=BB11_104 Depth=1
	s_and_not1_saveexec_b32 s3, s3
	s_cbranch_execnz .LBB11_226
.LBB11_154:                             ;   in Loop: Header=BB11_104 Depth=1
	s_or_b32 exec_lo, exec_lo, s3
	s_and_saveexec_b32 s3, s4
	s_cbranch_execz .LBB11_156
.LBB11_155:                             ;   in Loop: Header=BB11_104 Depth=1
	s_waitcnt vmcnt(0) lgkmcnt(0)
	v_ashrrev_i32_e32 v15, 31, v14
	v_add_nc_u32_e32 v17, 1, v16
	s_delay_alu instid0(VALU_DEP_2) | instskip(NEXT) | instid1(VALU_DEP_1)
	v_lshlrev_b64 v[14:15], 2, v[14:15]
	v_add_co_u32 v14, vcc_lo, v4, v14
	s_delay_alu instid0(VALU_DEP_2)
	v_add_co_ci_u32_e32 v15, vcc_lo, v5, v15, vcc_lo
	flat_store_b32 v[14:15], v17
.LBB11_156:                             ;   in Loop: Header=BB11_104 Depth=1
	s_or_b32 exec_lo, exec_lo, s3
	v_cmp_gt_i32_e32 vcc_lo, 0, v20
	s_mov_b32 s4, 0
	s_mov_b32 s3, exec_lo
	s_waitcnt vmcnt(0) lgkmcnt(0)
	v_cndmask_b32_e64 v14, 0x7fffffff, 0, vcc_lo
	s_delay_alu instid0(VALU_DEP_1) | instskip(NEXT) | instid1(VALU_DEP_1)
	v_xor_b32_e32 v14, v14, v20
	v_and_b32_e32 v15, v14, v31
                                        ; implicit-def: $vgpr14
	s_delay_alu instid0(VALU_DEP_1)
	v_cmpx_ge_u32_e64 v15, v33
	s_xor_b32 s3, exec_lo, s3
	s_cbranch_execnz .LBB11_227
; %bb.157:                              ;   in Loop: Header=BB11_104 Depth=1
	s_and_not1_saveexec_b32 s3, s3
	s_cbranch_execnz .LBB11_232
.LBB11_158:                             ;   in Loop: Header=BB11_104 Depth=1
	s_or_b32 exec_lo, exec_lo, s3
	s_and_saveexec_b32 s3, s4
	s_cbranch_execz .LBB11_160
.LBB11_159:                             ;   in Loop: Header=BB11_104 Depth=1
	s_waitcnt vmcnt(0) lgkmcnt(0)
	v_ashrrev_i32_e32 v15, 31, v14
	v_add_nc_u32_e32 v17, 2, v16
	s_delay_alu instid0(VALU_DEP_2) | instskip(NEXT) | instid1(VALU_DEP_1)
	v_lshlrev_b64 v[14:15], 2, v[14:15]
	v_add_co_u32 v14, vcc_lo, v4, v14
	s_delay_alu instid0(VALU_DEP_2)
	v_add_co_ci_u32_e32 v15, vcc_lo, v5, v15, vcc_lo
	flat_store_b32 v[14:15], v17
.LBB11_160:                             ;   in Loop: Header=BB11_104 Depth=1
	s_or_b32 exec_lo, exec_lo, s3
	v_cmp_gt_i32_e32 vcc_lo, 0, v21
	s_mov_b32 s4, 0
	s_mov_b32 s3, exec_lo
	s_waitcnt vmcnt(0) lgkmcnt(0)
	v_cndmask_b32_e64 v14, 0x7fffffff, 0, vcc_lo
	s_delay_alu instid0(VALU_DEP_1) | instskip(NEXT) | instid1(VALU_DEP_1)
	v_xor_b32_e32 v14, v14, v21
	v_and_b32_e32 v15, v14, v31
                                        ; implicit-def: $vgpr14
	s_delay_alu instid0(VALU_DEP_1)
	v_cmpx_ge_u32_e64 v15, v33
	s_xor_b32 s3, exec_lo, s3
	s_cbranch_execnz .LBB11_233
; %bb.161:                              ;   in Loop: Header=BB11_104 Depth=1
	s_and_not1_saveexec_b32 s3, s3
	s_cbranch_execnz .LBB11_238
.LBB11_162:                             ;   in Loop: Header=BB11_104 Depth=1
	s_or_b32 exec_lo, exec_lo, s3
	s_and_saveexec_b32 s3, s4
	s_cbranch_execz .LBB11_164
.LBB11_163:                             ;   in Loop: Header=BB11_104 Depth=1
	s_waitcnt vmcnt(0) lgkmcnt(0)
	v_ashrrev_i32_e32 v15, 31, v14
	v_add_nc_u32_e32 v16, 3, v16
	s_delay_alu instid0(VALU_DEP_2) | instskip(NEXT) | instid1(VALU_DEP_1)
	v_lshlrev_b64 v[14:15], 2, v[14:15]
	v_add_co_u32 v14, vcc_lo, v4, v14
	s_delay_alu instid0(VALU_DEP_2)
	v_add_co_ci_u32_e32 v15, vcc_lo, v5, v15, vcc_lo
	flat_store_b32 v[14:15], v16
.LBB11_164:                             ;   in Loop: Header=BB11_104 Depth=1
	s_or_b32 exec_lo, exec_lo, s3
	v_cmp_gt_i32_e32 vcc_lo, 0, v10
	s_mov_b32 s4, 0
	s_mov_b32 s3, exec_lo
	s_waitcnt vmcnt(0) lgkmcnt(0)
	v_cndmask_b32_e64 v14, 0x7fffffff, 0, vcc_lo
	s_delay_alu instid0(VALU_DEP_1) | instskip(NEXT) | instid1(VALU_DEP_1)
	v_xor_b32_e32 v10, v14, v10
                                        ; implicit-def: $vgpr14
	v_and_b32_e32 v10, v10, v31
	s_delay_alu instid0(VALU_DEP_1)
	v_cmpx_ge_u32_e64 v10, v33
	s_xor_b32 s3, exec_lo, s3
	s_cbranch_execnz .LBB11_239
; %bb.165:                              ;   in Loop: Header=BB11_104 Depth=1
	s_and_not1_saveexec_b32 s3, s3
	s_cbranch_execnz .LBB11_244
.LBB11_166:                             ;   in Loop: Header=BB11_104 Depth=1
	s_or_b32 exec_lo, exec_lo, s3
	v_lshl_add_u32 v16, v28, 2, v2
	s_and_saveexec_b32 s3, s4
	s_cbranch_execz .LBB11_168
.LBB11_167:                             ;   in Loop: Header=BB11_104 Depth=1
	s_waitcnt vmcnt(0) lgkmcnt(0)
	v_ashrrev_i32_e32 v15, 31, v14
	s_delay_alu instid0(VALU_DEP_1) | instskip(NEXT) | instid1(VALU_DEP_1)
	v_lshlrev_b64 v[14:15], 2, v[14:15]
	v_add_co_u32 v14, vcc_lo, v4, v14
	s_delay_alu instid0(VALU_DEP_2)
	v_add_co_ci_u32_e32 v15, vcc_lo, v5, v15, vcc_lo
	flat_store_b32 v[14:15], v16
.LBB11_168:                             ;   in Loop: Header=BB11_104 Depth=1
	s_or_b32 exec_lo, exec_lo, s3
	v_cmp_gt_i32_e32 vcc_lo, 0, v11
	s_mov_b32 s4, 0
	s_mov_b32 s3, exec_lo
	v_cndmask_b32_e64 v10, 0x7fffffff, 0, vcc_lo
	s_delay_alu instid0(VALU_DEP_1) | instskip(NEXT) | instid1(VALU_DEP_1)
	v_xor_b32_e32 v10, v10, v11
	v_and_b32_e32 v11, v10, v31
                                        ; implicit-def: $vgpr10
	s_delay_alu instid0(VALU_DEP_1)
	v_cmpx_ge_u32_e64 v11, v33
	s_xor_b32 s3, exec_lo, s3
	s_cbranch_execnz .LBB11_245
; %bb.169:                              ;   in Loop: Header=BB11_104 Depth=1
	s_and_not1_saveexec_b32 s3, s3
	s_cbranch_execnz .LBB11_250
.LBB11_170:                             ;   in Loop: Header=BB11_104 Depth=1
	s_or_b32 exec_lo, exec_lo, s3
	s_and_saveexec_b32 s3, s4
	s_cbranch_execz .LBB11_172
.LBB11_171:                             ;   in Loop: Header=BB11_104 Depth=1
	s_waitcnt vmcnt(0) lgkmcnt(0)
	v_ashrrev_i32_e32 v11, 31, v10
	v_add_nc_u32_e32 v14, 1, v16
	s_delay_alu instid0(VALU_DEP_2) | instskip(NEXT) | instid1(VALU_DEP_1)
	v_lshlrev_b64 v[10:11], 2, v[10:11]
	v_add_co_u32 v10, vcc_lo, v4, v10
	s_delay_alu instid0(VALU_DEP_2)
	v_add_co_ci_u32_e32 v11, vcc_lo, v5, v11, vcc_lo
	flat_store_b32 v[10:11], v14
.LBB11_172:                             ;   in Loop: Header=BB11_104 Depth=1
	s_or_b32 exec_lo, exec_lo, s3
	v_cmp_gt_i32_e32 vcc_lo, 0, v12
	s_mov_b32 s4, 0
	s_mov_b32 s3, exec_lo
	s_waitcnt vmcnt(0) lgkmcnt(0)
	v_cndmask_b32_e64 v10, 0x7fffffff, 0, vcc_lo
	s_delay_alu instid0(VALU_DEP_1) | instskip(NEXT) | instid1(VALU_DEP_1)
	v_xor_b32_e32 v10, v10, v12
	v_and_b32_e32 v11, v10, v31
                                        ; implicit-def: $vgpr10
	s_delay_alu instid0(VALU_DEP_1)
	v_cmpx_ge_u32_e64 v11, v33
	s_xor_b32 s3, exec_lo, s3
	s_cbranch_execnz .LBB11_251
; %bb.173:                              ;   in Loop: Header=BB11_104 Depth=1
	s_and_not1_saveexec_b32 s3, s3
	s_cbranch_execnz .LBB11_256
.LBB11_174:                             ;   in Loop: Header=BB11_104 Depth=1
	s_or_b32 exec_lo, exec_lo, s3
	s_and_saveexec_b32 s3, s4
	s_cbranch_execz .LBB11_176
.LBB11_175:                             ;   in Loop: Header=BB11_104 Depth=1
	s_waitcnt vmcnt(0) lgkmcnt(0)
	v_ashrrev_i32_e32 v11, 31, v10
	v_add_nc_u32_e32 v12, 2, v16
	s_delay_alu instid0(VALU_DEP_2) | instskip(NEXT) | instid1(VALU_DEP_1)
	v_lshlrev_b64 v[10:11], 2, v[10:11]
	v_add_co_u32 v10, vcc_lo, v4, v10
	s_delay_alu instid0(VALU_DEP_2)
	v_add_co_ci_u32_e32 v11, vcc_lo, v5, v11, vcc_lo
	flat_store_b32 v[10:11], v12
.LBB11_176:                             ;   in Loop: Header=BB11_104 Depth=1
	s_or_b32 exec_lo, exec_lo, s3
	v_cmp_gt_i32_e32 vcc_lo, 0, v13
	s_mov_b32 s4, 0
	s_mov_b32 s3, exec_lo
	s_waitcnt vmcnt(0) lgkmcnt(0)
	v_cndmask_b32_e64 v10, 0x7fffffff, 0, vcc_lo
	s_delay_alu instid0(VALU_DEP_1) | instskip(NEXT) | instid1(VALU_DEP_1)
	v_xor_b32_e32 v10, v10, v13
	v_and_b32_e32 v11, v10, v31
                                        ; implicit-def: $vgpr10
	s_delay_alu instid0(VALU_DEP_1)
	v_cmpx_ge_u32_e64 v11, v33
	s_xor_b32 s3, exec_lo, s3
	s_cbranch_execnz .LBB11_257
; %bb.177:                              ;   in Loop: Header=BB11_104 Depth=1
	s_and_not1_saveexec_b32 s3, s3
	s_cbranch_execnz .LBB11_262
.LBB11_178:                             ;   in Loop: Header=BB11_104 Depth=1
	s_or_b32 exec_lo, exec_lo, s3
	s_and_saveexec_b32 s3, s4
	s_cbranch_execz .LBB11_103
	s_branch .LBB11_263
.LBB11_179:                             ;   in Loop: Header=BB11_104 Depth=1
	s_mov_b32 s5, 0
	s_mov_b32 s4, exec_lo
                                        ; implicit-def: $vgpr20
	v_cmpx_eq_u32_e64 v10, v33
	s_cbranch_execz .LBB11_183
; %bb.180:                              ;   in Loop: Header=BB11_104 Depth=1
	flat_atomic_add_u32 v10, v[8:9], v39 offset:512 glc
	s_mov_b32 s6, exec_lo
                                        ; implicit-def: $vgpr20
	s_waitcnt vmcnt(0) lgkmcnt(0)
	v_cmpx_lt_i32_e64 v10, v32
	s_xor_b32 s6, exec_lo, s6
; %bb.181:                              ;   in Loop: Header=BB11_104 Depth=1
	v_xad_u32 v20, v10, -1, v7
	s_mov_b32 s5, exec_lo
; %bb.182:                              ;   in Loop: Header=BB11_104 Depth=1
	s_or_b32 exec_lo, exec_lo, s6
	s_delay_alu instid0(SALU_CYCLE_1)
	s_and_b32 s5, s5, exec_lo
.LBB11_183:                             ;   in Loop: Header=BB11_104 Depth=1
	s_or_b32 exec_lo, exec_lo, s4
	s_delay_alu instid0(SALU_CYCLE_1)
	s_and_b32 s4, s5, exec_lo
	s_and_not1_saveexec_b32 s3, s3
	s_cbranch_execz .LBB11_106
.LBB11_184:                             ;   in Loop: Header=BB11_104 Depth=1
	flat_atomic_add_u32 v20, v[8:9], v39 offset:384 glc
	s_or_b32 s4, s4, exec_lo
	s_or_b32 exec_lo, exec_lo, s3
	v_lshl_add_u32 v23, v26, 2, v2
	s_and_saveexec_b32 s3, s4
	s_cbranch_execnz .LBB11_107
	s_branch .LBB11_108
.LBB11_185:                             ;   in Loop: Header=BB11_104 Depth=1
	s_mov_b32 s5, 0
	s_mov_b32 s4, exec_lo
                                        ; implicit-def: $vgpr10
	v_cmpx_eq_u32_e64 v11, v33
	s_cbranch_execz .LBB11_189
; %bb.186:                              ;   in Loop: Header=BB11_104 Depth=1
	flat_atomic_add_u32 v11, v[8:9], v39 offset:512 glc
	s_mov_b32 s6, exec_lo
                                        ; implicit-def: $vgpr10
	s_waitcnt vmcnt(0) lgkmcnt(0)
	v_cmpx_lt_i32_e64 v11, v32
; %bb.187:                              ;   in Loop: Header=BB11_104 Depth=1
	v_xad_u32 v10, v11, -1, v7
	s_mov_b32 s5, exec_lo
; %bb.188:                              ;   in Loop: Header=BB11_104 Depth=1
	s_or_b32 exec_lo, exec_lo, s6
	s_delay_alu instid0(SALU_CYCLE_1)
	s_and_b32 s5, s5, exec_lo
.LBB11_189:                             ;   in Loop: Header=BB11_104 Depth=1
	s_or_b32 exec_lo, exec_lo, s4
	s_delay_alu instid0(SALU_CYCLE_1)
	s_and_b32 s4, s5, exec_lo
	s_and_not1_saveexec_b32 s3, s3
	s_cbranch_execz .LBB11_110
.LBB11_190:                             ;   in Loop: Header=BB11_104 Depth=1
	flat_atomic_add_u32 v10, v[8:9], v39 offset:384 glc
	s_or_b32 s4, s4, exec_lo
	s_or_b32 exec_lo, exec_lo, s3
	s_and_saveexec_b32 s3, s4
	s_cbranch_execnz .LBB11_111
	s_branch .LBB11_112
.LBB11_191:                             ;   in Loop: Header=BB11_104 Depth=1
	s_mov_b32 s5, 0
	s_mov_b32 s4, exec_lo
                                        ; implicit-def: $vgpr10
	v_cmpx_eq_u32_e64 v11, v33
	s_cbranch_execz .LBB11_195
; %bb.192:                              ;   in Loop: Header=BB11_104 Depth=1
	flat_atomic_add_u32 v11, v[8:9], v39 offset:512 glc
	s_mov_b32 s6, exec_lo
                                        ; implicit-def: $vgpr10
	s_waitcnt vmcnt(0) lgkmcnt(0)
	v_cmpx_lt_i32_e64 v11, v32
; %bb.193:                              ;   in Loop: Header=BB11_104 Depth=1
	v_xad_u32 v10, v11, -1, v7
	s_mov_b32 s5, exec_lo
; %bb.194:                              ;   in Loop: Header=BB11_104 Depth=1
	s_or_b32 exec_lo, exec_lo, s6
	s_delay_alu instid0(SALU_CYCLE_1)
	s_and_b32 s5, s5, exec_lo
.LBB11_195:                             ;   in Loop: Header=BB11_104 Depth=1
	s_or_b32 exec_lo, exec_lo, s4
	s_delay_alu instid0(SALU_CYCLE_1)
	s_and_b32 s4, s5, exec_lo
	s_and_not1_saveexec_b32 s3, s3
	s_cbranch_execz .LBB11_114
.LBB11_196:                             ;   in Loop: Header=BB11_104 Depth=1
	flat_atomic_add_u32 v10, v[8:9], v39 offset:384 glc
	s_or_b32 s4, s4, exec_lo
	s_or_b32 exec_lo, exec_lo, s3
	s_and_saveexec_b32 s3, s4
	s_cbranch_execnz .LBB11_115
	s_branch .LBB11_116
.LBB11_197:                             ;   in Loop: Header=BB11_104 Depth=1
	s_mov_b32 s5, 0
	s_mov_b32 s4, exec_lo
                                        ; implicit-def: $vgpr10
	v_cmpx_eq_u32_e64 v11, v33
	s_cbranch_execz .LBB11_201
; %bb.198:                              ;   in Loop: Header=BB11_104 Depth=1
	flat_atomic_add_u32 v11, v[8:9], v39 offset:512 glc
	s_mov_b32 s6, exec_lo
                                        ; implicit-def: $vgpr10
	s_waitcnt vmcnt(0) lgkmcnt(0)
	v_cmpx_lt_i32_e64 v11, v32
; %bb.199:                              ;   in Loop: Header=BB11_104 Depth=1
	v_xad_u32 v10, v11, -1, v7
	s_mov_b32 s5, exec_lo
; %bb.200:                              ;   in Loop: Header=BB11_104 Depth=1
	s_or_b32 exec_lo, exec_lo, s6
	s_delay_alu instid0(SALU_CYCLE_1)
	s_and_b32 s5, s5, exec_lo
.LBB11_201:                             ;   in Loop: Header=BB11_104 Depth=1
	s_or_b32 exec_lo, exec_lo, s4
	s_delay_alu instid0(SALU_CYCLE_1)
	s_and_b32 s4, s5, exec_lo
	s_and_not1_saveexec_b32 s3, s3
	s_cbranch_execz .LBB11_118
.LBB11_202:                             ;   in Loop: Header=BB11_104 Depth=1
	flat_atomic_add_u32 v10, v[8:9], v39 offset:384 glc
	s_or_b32 s4, s4, exec_lo
	s_or_b32 exec_lo, exec_lo, s3
	s_and_saveexec_b32 s3, s4
	s_cbranch_execnz .LBB11_119
	s_branch .LBB11_120
.LBB11_203:                             ;   in Loop: Header=BB11_104 Depth=1
	s_mov_b32 s5, 0
	s_mov_b32 s4, exec_lo
                                        ; implicit-def: $vgpr14
	v_cmpx_eq_u32_e64 v15, v33
	s_cbranch_execz .LBB11_207
; %bb.204:                              ;   in Loop: Header=BB11_104 Depth=1
	flat_atomic_add_u32 v15, v[8:9], v39 offset:512 glc
	s_mov_b32 s6, exec_lo
                                        ; implicit-def: $vgpr14
	s_waitcnt vmcnt(0) lgkmcnt(0)
	v_cmpx_lt_i32_e64 v15, v32
; %bb.205:                              ;   in Loop: Header=BB11_104 Depth=1
	v_xad_u32 v14, v15, -1, v7
	s_mov_b32 s5, exec_lo
; %bb.206:                              ;   in Loop: Header=BB11_104 Depth=1
	s_or_b32 exec_lo, exec_lo, s6
	s_delay_alu instid0(SALU_CYCLE_1)
	s_and_b32 s5, s5, exec_lo
.LBB11_207:                             ;   in Loop: Header=BB11_104 Depth=1
	s_or_b32 exec_lo, exec_lo, s4
	s_delay_alu instid0(SALU_CYCLE_1)
	s_and_b32 s4, s5, exec_lo
	s_and_not1_saveexec_b32 s3, s3
	s_cbranch_execz .LBB11_132
.LBB11_208:                             ;   in Loop: Header=BB11_104 Depth=1
	flat_atomic_add_u32 v14, v[8:9], v39 offset:384 glc
	s_or_b32 s4, s4, exec_lo
	s_or_b32 exec_lo, exec_lo, s3
	s_and_saveexec_b32 s3, s4
	s_cbranch_execnz .LBB11_133
	s_branch .LBB11_134
.LBB11_209:                             ;   in Loop: Header=BB11_104 Depth=1
	s_mov_b32 s5, 0
	s_mov_b32 s4, exec_lo
                                        ; implicit-def: $vgpr14
	v_cmpx_eq_u32_e64 v15, v33
	s_cbranch_execz .LBB11_213
; %bb.210:                              ;   in Loop: Header=BB11_104 Depth=1
	flat_atomic_add_u32 v15, v[8:9], v39 offset:512 glc
	s_mov_b32 s6, exec_lo
                                        ; implicit-def: $vgpr14
	s_waitcnt vmcnt(0) lgkmcnt(0)
	v_cmpx_lt_i32_e64 v15, v32
; %bb.211:                              ;   in Loop: Header=BB11_104 Depth=1
	v_xad_u32 v14, v15, -1, v7
	s_mov_b32 s5, exec_lo
; %bb.212:                              ;   in Loop: Header=BB11_104 Depth=1
	s_or_b32 exec_lo, exec_lo, s6
	s_delay_alu instid0(SALU_CYCLE_1)
	s_and_b32 s5, s5, exec_lo
.LBB11_213:                             ;   in Loop: Header=BB11_104 Depth=1
	s_or_b32 exec_lo, exec_lo, s4
	s_delay_alu instid0(SALU_CYCLE_1)
	s_and_b32 s4, s5, exec_lo
	s_and_not1_saveexec_b32 s3, s3
	s_cbranch_execz .LBB11_136
.LBB11_214:                             ;   in Loop: Header=BB11_104 Depth=1
	flat_atomic_add_u32 v14, v[8:9], v39 offset:384 glc
	s_or_b32 s4, s4, exec_lo
	s_or_b32 exec_lo, exec_lo, s3
	s_and_saveexec_b32 s3, s4
	s_cbranch_execnz .LBB11_137
	s_branch .LBB11_138
.LBB11_215:                             ;   in Loop: Header=BB11_104 Depth=1
	s_mov_b32 s5, 0
	s_mov_b32 s4, exec_lo
                                        ; implicit-def: $vgpr14
	v_cmpx_eq_u32_e64 v15, v33
	s_cbranch_execz .LBB11_219
; %bb.216:                              ;   in Loop: Header=BB11_104 Depth=1
	flat_atomic_add_u32 v15, v[8:9], v39 offset:512 glc
	s_mov_b32 s6, exec_lo
                                        ; implicit-def: $vgpr14
	s_waitcnt vmcnt(0) lgkmcnt(0)
	v_cmpx_lt_i32_e64 v15, v32
; %bb.217:                              ;   in Loop: Header=BB11_104 Depth=1
	v_xad_u32 v14, v15, -1, v7
	s_mov_b32 s5, exec_lo
; %bb.218:                              ;   in Loop: Header=BB11_104 Depth=1
	s_or_b32 exec_lo, exec_lo, s6
	s_delay_alu instid0(SALU_CYCLE_1)
	s_and_b32 s5, s5, exec_lo
.LBB11_219:                             ;   in Loop: Header=BB11_104 Depth=1
	s_or_b32 exec_lo, exec_lo, s4
	s_delay_alu instid0(SALU_CYCLE_1)
	s_and_b32 s4, s5, exec_lo
	s_and_not1_saveexec_b32 s3, s3
	s_cbranch_execz .LBB11_140
.LBB11_220:                             ;   in Loop: Header=BB11_104 Depth=1
	flat_atomic_add_u32 v14, v[8:9], v39 offset:384 glc
	s_or_b32 s4, s4, exec_lo
	s_or_b32 exec_lo, exec_lo, s3
	s_and_saveexec_b32 s3, s4
	s_cbranch_execnz .LBB11_141
	s_branch .LBB11_142
.LBB11_221:                             ;   in Loop: Header=BB11_104 Depth=1
	s_mov_b32 s5, 0
	s_mov_b32 s4, exec_lo
                                        ; implicit-def: $vgpr14
	v_cmpx_eq_u32_e64 v15, v33
	s_cbranch_execz .LBB11_225
; %bb.222:                              ;   in Loop: Header=BB11_104 Depth=1
	flat_atomic_add_u32 v15, v[8:9], v39 offset:512 glc
	s_mov_b32 s6, exec_lo
                                        ; implicit-def: $vgpr14
	s_waitcnt vmcnt(0) lgkmcnt(0)
	v_cmpx_lt_i32_e64 v15, v32
; %bb.223:                              ;   in Loop: Header=BB11_104 Depth=1
	v_xad_u32 v14, v15, -1, v7
	s_mov_b32 s5, exec_lo
; %bb.224:                              ;   in Loop: Header=BB11_104 Depth=1
	s_or_b32 exec_lo, exec_lo, s6
	s_delay_alu instid0(SALU_CYCLE_1)
	s_and_b32 s5, s5, exec_lo
.LBB11_225:                             ;   in Loop: Header=BB11_104 Depth=1
	s_or_b32 exec_lo, exec_lo, s4
	s_delay_alu instid0(SALU_CYCLE_1)
	s_and_b32 s4, s5, exec_lo
	s_and_not1_saveexec_b32 s3, s3
	s_cbranch_execz .LBB11_154
.LBB11_226:                             ;   in Loop: Header=BB11_104 Depth=1
	flat_atomic_add_u32 v14, v[8:9], v39 offset:384 glc
	s_or_b32 s4, s4, exec_lo
	s_or_b32 exec_lo, exec_lo, s3
	s_and_saveexec_b32 s3, s4
	s_cbranch_execnz .LBB11_155
	s_branch .LBB11_156
.LBB11_227:                             ;   in Loop: Header=BB11_104 Depth=1
	s_mov_b32 s5, 0
	s_mov_b32 s4, exec_lo
                                        ; implicit-def: $vgpr14
	v_cmpx_eq_u32_e64 v15, v33
	s_cbranch_execz .LBB11_231
; %bb.228:                              ;   in Loop: Header=BB11_104 Depth=1
	flat_atomic_add_u32 v15, v[8:9], v39 offset:512 glc
	s_mov_b32 s6, exec_lo
                                        ; implicit-def: $vgpr14
	s_waitcnt vmcnt(0) lgkmcnt(0)
	v_cmpx_lt_i32_e64 v15, v32
; %bb.229:                              ;   in Loop: Header=BB11_104 Depth=1
	v_xad_u32 v14, v15, -1, v7
	s_mov_b32 s5, exec_lo
; %bb.230:                              ;   in Loop: Header=BB11_104 Depth=1
	s_or_b32 exec_lo, exec_lo, s6
	s_delay_alu instid0(SALU_CYCLE_1)
	s_and_b32 s5, s5, exec_lo
.LBB11_231:                             ;   in Loop: Header=BB11_104 Depth=1
	s_or_b32 exec_lo, exec_lo, s4
	s_delay_alu instid0(SALU_CYCLE_1)
	s_and_b32 s4, s5, exec_lo
	s_and_not1_saveexec_b32 s3, s3
	s_cbranch_execz .LBB11_158
.LBB11_232:                             ;   in Loop: Header=BB11_104 Depth=1
	flat_atomic_add_u32 v14, v[8:9], v39 offset:384 glc
	s_or_b32 s4, s4, exec_lo
	s_or_b32 exec_lo, exec_lo, s3
	s_and_saveexec_b32 s3, s4
	s_cbranch_execnz .LBB11_159
	s_branch .LBB11_160
.LBB11_233:                             ;   in Loop: Header=BB11_104 Depth=1
	s_mov_b32 s5, 0
	s_mov_b32 s4, exec_lo
                                        ; implicit-def: $vgpr14
	v_cmpx_eq_u32_e64 v15, v33
	s_cbranch_execz .LBB11_237
; %bb.234:                              ;   in Loop: Header=BB11_104 Depth=1
	flat_atomic_add_u32 v15, v[8:9], v39 offset:512 glc
	s_mov_b32 s6, exec_lo
                                        ; implicit-def: $vgpr14
	s_waitcnt vmcnt(0) lgkmcnt(0)
	v_cmpx_lt_i32_e64 v15, v32
; %bb.235:                              ;   in Loop: Header=BB11_104 Depth=1
	v_xad_u32 v14, v15, -1, v7
	s_mov_b32 s5, exec_lo
; %bb.236:                              ;   in Loop: Header=BB11_104 Depth=1
	s_or_b32 exec_lo, exec_lo, s6
	s_delay_alu instid0(SALU_CYCLE_1)
	s_and_b32 s5, s5, exec_lo
.LBB11_237:                             ;   in Loop: Header=BB11_104 Depth=1
	s_or_b32 exec_lo, exec_lo, s4
	s_delay_alu instid0(SALU_CYCLE_1)
	s_and_b32 s4, s5, exec_lo
	s_and_not1_saveexec_b32 s3, s3
	s_cbranch_execz .LBB11_162
.LBB11_238:                             ;   in Loop: Header=BB11_104 Depth=1
	flat_atomic_add_u32 v14, v[8:9], v39 offset:384 glc
	s_or_b32 s4, s4, exec_lo
	s_or_b32 exec_lo, exec_lo, s3
	s_and_saveexec_b32 s3, s4
	s_cbranch_execnz .LBB11_163
	s_branch .LBB11_164
.LBB11_239:                             ;   in Loop: Header=BB11_104 Depth=1
	s_mov_b32 s5, 0
	s_mov_b32 s4, exec_lo
                                        ; implicit-def: $vgpr14
	v_cmpx_eq_u32_e64 v10, v33
	s_cbranch_execz .LBB11_243
; %bb.240:                              ;   in Loop: Header=BB11_104 Depth=1
	flat_atomic_add_u32 v10, v[8:9], v39 offset:512 glc
	s_mov_b32 s6, exec_lo
                                        ; implicit-def: $vgpr14
	s_waitcnt vmcnt(0) lgkmcnt(0)
	v_cmpx_lt_i32_e64 v10, v32
	s_xor_b32 s6, exec_lo, s6
; %bb.241:                              ;   in Loop: Header=BB11_104 Depth=1
	v_xad_u32 v14, v10, -1, v7
	s_mov_b32 s5, exec_lo
; %bb.242:                              ;   in Loop: Header=BB11_104 Depth=1
	s_or_b32 exec_lo, exec_lo, s6
	s_delay_alu instid0(SALU_CYCLE_1)
	s_and_b32 s5, s5, exec_lo
.LBB11_243:                             ;   in Loop: Header=BB11_104 Depth=1
	s_or_b32 exec_lo, exec_lo, s4
	s_delay_alu instid0(SALU_CYCLE_1)
	s_and_b32 s4, s5, exec_lo
	s_and_not1_saveexec_b32 s3, s3
	s_cbranch_execz .LBB11_166
.LBB11_244:                             ;   in Loop: Header=BB11_104 Depth=1
	flat_atomic_add_u32 v14, v[8:9], v39 offset:384 glc
	s_or_b32 s4, s4, exec_lo
	s_or_b32 exec_lo, exec_lo, s3
	v_lshl_add_u32 v16, v28, 2, v2
	s_and_saveexec_b32 s3, s4
	s_cbranch_execnz .LBB11_167
	s_branch .LBB11_168
.LBB11_245:                             ;   in Loop: Header=BB11_104 Depth=1
	s_mov_b32 s5, 0
	s_mov_b32 s4, exec_lo
                                        ; implicit-def: $vgpr10
	v_cmpx_eq_u32_e64 v11, v33
	s_cbranch_execz .LBB11_249
; %bb.246:                              ;   in Loop: Header=BB11_104 Depth=1
	flat_atomic_add_u32 v11, v[8:9], v39 offset:512 glc
	s_mov_b32 s6, exec_lo
                                        ; implicit-def: $vgpr10
	s_waitcnt vmcnt(0) lgkmcnt(0)
	v_cmpx_lt_i32_e64 v11, v32
; %bb.247:                              ;   in Loop: Header=BB11_104 Depth=1
	v_xad_u32 v10, v11, -1, v7
	s_mov_b32 s5, exec_lo
; %bb.248:                              ;   in Loop: Header=BB11_104 Depth=1
	s_or_b32 exec_lo, exec_lo, s6
	s_delay_alu instid0(SALU_CYCLE_1)
	s_and_b32 s5, s5, exec_lo
.LBB11_249:                             ;   in Loop: Header=BB11_104 Depth=1
	s_or_b32 exec_lo, exec_lo, s4
	s_delay_alu instid0(SALU_CYCLE_1)
	s_and_b32 s4, s5, exec_lo
	s_and_not1_saveexec_b32 s3, s3
	s_cbranch_execz .LBB11_170
.LBB11_250:                             ;   in Loop: Header=BB11_104 Depth=1
	flat_atomic_add_u32 v10, v[8:9], v39 offset:384 glc
	s_or_b32 s4, s4, exec_lo
	s_or_b32 exec_lo, exec_lo, s3
	s_and_saveexec_b32 s3, s4
	s_cbranch_execnz .LBB11_171
	s_branch .LBB11_172
.LBB11_251:                             ;   in Loop: Header=BB11_104 Depth=1
	s_mov_b32 s5, 0
	s_mov_b32 s4, exec_lo
                                        ; implicit-def: $vgpr10
	v_cmpx_eq_u32_e64 v11, v33
	s_cbranch_execz .LBB11_255
; %bb.252:                              ;   in Loop: Header=BB11_104 Depth=1
	flat_atomic_add_u32 v11, v[8:9], v39 offset:512 glc
	s_mov_b32 s6, exec_lo
                                        ; implicit-def: $vgpr10
	s_waitcnt vmcnt(0) lgkmcnt(0)
	v_cmpx_lt_i32_e64 v11, v32
; %bb.253:                              ;   in Loop: Header=BB11_104 Depth=1
	v_xad_u32 v10, v11, -1, v7
	s_mov_b32 s5, exec_lo
; %bb.254:                              ;   in Loop: Header=BB11_104 Depth=1
	s_or_b32 exec_lo, exec_lo, s6
	s_delay_alu instid0(SALU_CYCLE_1)
	s_and_b32 s5, s5, exec_lo
.LBB11_255:                             ;   in Loop: Header=BB11_104 Depth=1
	s_or_b32 exec_lo, exec_lo, s4
	s_delay_alu instid0(SALU_CYCLE_1)
	s_and_b32 s4, s5, exec_lo
	s_and_not1_saveexec_b32 s3, s3
	s_cbranch_execz .LBB11_174
.LBB11_256:                             ;   in Loop: Header=BB11_104 Depth=1
	flat_atomic_add_u32 v10, v[8:9], v39 offset:384 glc
	s_or_b32 s4, s4, exec_lo
	s_or_b32 exec_lo, exec_lo, s3
	s_and_saveexec_b32 s3, s4
	s_cbranch_execnz .LBB11_175
	s_branch .LBB11_176
.LBB11_257:                             ;   in Loop: Header=BB11_104 Depth=1
	s_mov_b32 s5, 0
	s_mov_b32 s4, exec_lo
                                        ; implicit-def: $vgpr10
	v_cmpx_eq_u32_e64 v11, v33
	s_cbranch_execz .LBB11_261
; %bb.258:                              ;   in Loop: Header=BB11_104 Depth=1
	flat_atomic_add_u32 v11, v[8:9], v39 offset:512 glc
	s_mov_b32 s6, exec_lo
                                        ; implicit-def: $vgpr10
	s_waitcnt vmcnt(0) lgkmcnt(0)
	v_cmpx_lt_i32_e64 v11, v32
; %bb.259:                              ;   in Loop: Header=BB11_104 Depth=1
	v_xad_u32 v10, v11, -1, v7
	s_mov_b32 s5, exec_lo
; %bb.260:                              ;   in Loop: Header=BB11_104 Depth=1
	s_or_b32 exec_lo, exec_lo, s6
	s_delay_alu instid0(SALU_CYCLE_1)
	s_and_b32 s5, s5, exec_lo
.LBB11_261:                             ;   in Loop: Header=BB11_104 Depth=1
	s_or_b32 exec_lo, exec_lo, s4
	s_delay_alu instid0(SALU_CYCLE_1)
	s_and_b32 s4, s5, exec_lo
	s_and_not1_saveexec_b32 s3, s3
	s_cbranch_execz .LBB11_178
.LBB11_262:                             ;   in Loop: Header=BB11_104 Depth=1
	flat_atomic_add_u32 v10, v[8:9], v39 offset:384 glc
	s_or_b32 s4, s4, exec_lo
	s_or_b32 exec_lo, exec_lo, s3
	s_and_saveexec_b32 s3, s4
	s_cbranch_execz .LBB11_103
.LBB11_263:                             ;   in Loop: Header=BB11_104 Depth=1
	s_waitcnt vmcnt(0) lgkmcnt(0)
	v_ashrrev_i32_e32 v11, 31, v10
	v_add_nc_u32_e32 v12, 3, v16
	s_delay_alu instid0(VALU_DEP_2) | instskip(NEXT) | instid1(VALU_DEP_1)
	v_lshlrev_b64 v[10:11], 2, v[10:11]
	v_add_co_u32 v10, vcc_lo, v4, v10
	s_delay_alu instid0(VALU_DEP_2)
	v_add_co_ci_u32_e32 v11, vcc_lo, v5, v11, vcc_lo
	flat_store_b32 v[10:11], v12
	s_branch .LBB11_103
.LBB11_264:
	s_or_b32 exec_lo, exec_lo, s2
.LBB11_265:
	s_delay_alu instid0(SALU_CYCLE_1) | instskip(NEXT) | instid1(SALU_CYCLE_1)
	s_or_b32 exec_lo, exec_lo, s1
	s_mov_b32 s1, exec_lo
	v_cmpx_lt_i32_e64 v26, v24
	s_cbranch_execz .LBB11_308
; %bb.266:
	v_lshl_add_u32 v16, v26, 2, v2
	v_mov_b32_e32 v17, 1
	s_mov_b32 s2, 0
	s_branch .LBB11_268
.LBB11_267:                             ;   in Loop: Header=BB11_268 Depth=1
	s_or_b32 exec_lo, exec_lo, s3
	v_add_nc_u32_e32 v26, v26, v34
	v_add_nc_u32_e32 v16, v16, v36
	s_delay_alu instid0(VALU_DEP_2) | instskip(SKIP_1) | instid1(SALU_CYCLE_1)
	v_cmp_ge_i32_e32 vcc_lo, v26, v24
	s_or_b32 s2, vcc_lo, s2
	s_and_not1_b32 exec_lo, exec_lo, s2
	s_cbranch_execz .LBB11_308
.LBB11_268:                             ; =>This Inner Loop Header: Depth=1
	v_ashrrev_i32_e32 v27, 31, v26
	s_mov_b32 s4, 0
	s_mov_b32 s3, exec_lo
	s_waitcnt vmcnt(0) lgkmcnt(0)
	s_delay_alu instid0(VALU_DEP_1) | instskip(NEXT) | instid1(VALU_DEP_1)
	v_lshlrev_b64 v[10:11], 4, v[26:27]
	v_add_co_u32 v10, vcc_lo, v3, v10
	s_delay_alu instid0(VALU_DEP_2) | instskip(SKIP_4) | instid1(VALU_DEP_1)
	v_add_co_ci_u32_e32 v11, vcc_lo, v35, v11, vcc_lo
	flat_load_b128 v[10:13], v[10:11]
	s_waitcnt vmcnt(0) lgkmcnt(0)
	v_cmp_gt_i32_e32 vcc_lo, 0, v10
	v_cndmask_b32_e64 v14, 0x7fffffff, 0, vcc_lo
	v_xor_b32_e32 v10, v14, v10
                                        ; implicit-def: $vgpr14
	s_delay_alu instid0(VALU_DEP_1) | instskip(NEXT) | instid1(VALU_DEP_1)
	v_and_b32_e32 v10, v10, v31
	v_cmpx_ge_u32_e64 v10, v33
	s_xor_b32 s3, exec_lo, s3
	s_cbranch_execnz .LBB11_283
; %bb.269:                              ;   in Loop: Header=BB11_268 Depth=1
	s_and_not1_saveexec_b32 s3, s3
	s_cbranch_execnz .LBB11_288
.LBB11_270:                             ;   in Loop: Header=BB11_268 Depth=1
	s_or_b32 exec_lo, exec_lo, s3
	s_and_saveexec_b32 s3, s4
	s_cbranch_execz .LBB11_272
.LBB11_271:                             ;   in Loop: Header=BB11_268 Depth=1
	s_waitcnt vmcnt(0) lgkmcnt(0)
	v_ashrrev_i32_e32 v15, 31, v14
	s_delay_alu instid0(VALU_DEP_1) | instskip(NEXT) | instid1(VALU_DEP_1)
	v_lshlrev_b64 v[14:15], 2, v[14:15]
	v_add_co_u32 v14, vcc_lo, v4, v14
	s_delay_alu instid0(VALU_DEP_2)
	v_add_co_ci_u32_e32 v15, vcc_lo, v5, v15, vcc_lo
	flat_store_b32 v[14:15], v16
.LBB11_272:                             ;   in Loop: Header=BB11_268 Depth=1
	s_or_b32 exec_lo, exec_lo, s3
	v_cmp_gt_i32_e32 vcc_lo, 0, v11
	s_mov_b32 s4, 0
	s_mov_b32 s3, exec_lo
	v_cndmask_b32_e64 v10, 0x7fffffff, 0, vcc_lo
	s_delay_alu instid0(VALU_DEP_1) | instskip(NEXT) | instid1(VALU_DEP_1)
	v_xor_b32_e32 v10, v10, v11
	v_and_b32_e32 v11, v10, v31
                                        ; implicit-def: $vgpr10
	s_delay_alu instid0(VALU_DEP_1)
	v_cmpx_ge_u32_e64 v11, v33
	s_xor_b32 s3, exec_lo, s3
	s_cbranch_execnz .LBB11_289
; %bb.273:                              ;   in Loop: Header=BB11_268 Depth=1
	s_and_not1_saveexec_b32 s3, s3
	s_cbranch_execnz .LBB11_294
.LBB11_274:                             ;   in Loop: Header=BB11_268 Depth=1
	s_or_b32 exec_lo, exec_lo, s3
	s_and_saveexec_b32 s3, s4
	s_cbranch_execz .LBB11_276
.LBB11_275:                             ;   in Loop: Header=BB11_268 Depth=1
	s_waitcnt vmcnt(0) lgkmcnt(0)
	v_ashrrev_i32_e32 v11, 31, v10
	v_add_nc_u32_e32 v14, 1, v16
	s_delay_alu instid0(VALU_DEP_2) | instskip(NEXT) | instid1(VALU_DEP_1)
	v_lshlrev_b64 v[10:11], 2, v[10:11]
	v_add_co_u32 v10, vcc_lo, v4, v10
	s_delay_alu instid0(VALU_DEP_2)
	v_add_co_ci_u32_e32 v11, vcc_lo, v5, v11, vcc_lo
	flat_store_b32 v[10:11], v14
.LBB11_276:                             ;   in Loop: Header=BB11_268 Depth=1
	s_or_b32 exec_lo, exec_lo, s3
	v_cmp_gt_i32_e32 vcc_lo, 0, v12
	s_mov_b32 s4, 0
	s_mov_b32 s3, exec_lo
	s_waitcnt vmcnt(0) lgkmcnt(0)
	v_cndmask_b32_e64 v10, 0x7fffffff, 0, vcc_lo
	s_delay_alu instid0(VALU_DEP_1) | instskip(NEXT) | instid1(VALU_DEP_1)
	v_xor_b32_e32 v10, v10, v12
	v_and_b32_e32 v11, v10, v31
                                        ; implicit-def: $vgpr10
	s_delay_alu instid0(VALU_DEP_1)
	v_cmpx_ge_u32_e64 v11, v33
	s_xor_b32 s3, exec_lo, s3
	s_cbranch_execnz .LBB11_295
; %bb.277:                              ;   in Loop: Header=BB11_268 Depth=1
	s_and_not1_saveexec_b32 s3, s3
	s_cbranch_execnz .LBB11_300
.LBB11_278:                             ;   in Loop: Header=BB11_268 Depth=1
	s_or_b32 exec_lo, exec_lo, s3
	s_and_saveexec_b32 s3, s4
	s_cbranch_execz .LBB11_280
.LBB11_279:                             ;   in Loop: Header=BB11_268 Depth=1
	s_waitcnt vmcnt(0) lgkmcnt(0)
	v_ashrrev_i32_e32 v11, 31, v10
	v_add_nc_u32_e32 v12, 2, v16
	s_delay_alu instid0(VALU_DEP_2) | instskip(NEXT) | instid1(VALU_DEP_1)
	v_lshlrev_b64 v[10:11], 2, v[10:11]
	v_add_co_u32 v10, vcc_lo, v4, v10
	s_delay_alu instid0(VALU_DEP_2)
	v_add_co_ci_u32_e32 v11, vcc_lo, v5, v11, vcc_lo
	flat_store_b32 v[10:11], v12
.LBB11_280:                             ;   in Loop: Header=BB11_268 Depth=1
	s_or_b32 exec_lo, exec_lo, s3
	v_cmp_gt_i32_e32 vcc_lo, 0, v13
	s_mov_b32 s4, 0
	s_mov_b32 s3, exec_lo
	s_waitcnt vmcnt(0) lgkmcnt(0)
	v_cndmask_b32_e64 v10, 0x7fffffff, 0, vcc_lo
	s_delay_alu instid0(VALU_DEP_1) | instskip(NEXT) | instid1(VALU_DEP_1)
	v_xor_b32_e32 v10, v10, v13
	v_and_b32_e32 v11, v10, v31
                                        ; implicit-def: $vgpr10
	s_delay_alu instid0(VALU_DEP_1)
	v_cmpx_ge_u32_e64 v11, v33
	s_xor_b32 s3, exec_lo, s3
	s_cbranch_execnz .LBB11_301
; %bb.281:                              ;   in Loop: Header=BB11_268 Depth=1
	s_and_not1_saveexec_b32 s3, s3
	s_cbranch_execnz .LBB11_306
.LBB11_282:                             ;   in Loop: Header=BB11_268 Depth=1
	s_or_b32 exec_lo, exec_lo, s3
	s_and_saveexec_b32 s3, s4
	s_cbranch_execz .LBB11_267
	s_branch .LBB11_307
.LBB11_283:                             ;   in Loop: Header=BB11_268 Depth=1
	s_mov_b32 s5, 0
	s_mov_b32 s4, exec_lo
                                        ; implicit-def: $vgpr14
	v_cmpx_eq_u32_e64 v10, v33
	s_cbranch_execz .LBB11_287
; %bb.284:                              ;   in Loop: Header=BB11_268 Depth=1
	flat_atomic_add_u32 v10, v[8:9], v17 offset:512 glc
	s_mov_b32 s6, exec_lo
                                        ; implicit-def: $vgpr14
	s_waitcnt vmcnt(0) lgkmcnt(0)
	v_cmpx_lt_i32_e64 v10, v32
	s_xor_b32 s6, exec_lo, s6
; %bb.285:                              ;   in Loop: Header=BB11_268 Depth=1
	v_xad_u32 v14, v10, -1, v7
	s_mov_b32 s5, exec_lo
; %bb.286:                              ;   in Loop: Header=BB11_268 Depth=1
	s_or_b32 exec_lo, exec_lo, s6
	s_delay_alu instid0(SALU_CYCLE_1)
	s_and_b32 s5, s5, exec_lo
.LBB11_287:                             ;   in Loop: Header=BB11_268 Depth=1
	s_or_b32 exec_lo, exec_lo, s4
	s_delay_alu instid0(SALU_CYCLE_1)
	s_and_b32 s4, s5, exec_lo
	s_and_not1_saveexec_b32 s3, s3
	s_cbranch_execz .LBB11_270
.LBB11_288:                             ;   in Loop: Header=BB11_268 Depth=1
	flat_atomic_add_u32 v14, v[8:9], v17 offset:384 glc
	s_or_b32 s4, s4, exec_lo
	s_or_b32 exec_lo, exec_lo, s3
	s_and_saveexec_b32 s3, s4
	s_cbranch_execnz .LBB11_271
	s_branch .LBB11_272
.LBB11_289:                             ;   in Loop: Header=BB11_268 Depth=1
	s_mov_b32 s5, 0
	s_mov_b32 s4, exec_lo
                                        ; implicit-def: $vgpr10
	v_cmpx_eq_u32_e64 v11, v33
	s_cbranch_execz .LBB11_293
; %bb.290:                              ;   in Loop: Header=BB11_268 Depth=1
	flat_atomic_add_u32 v11, v[8:9], v17 offset:512 glc
	s_mov_b32 s6, exec_lo
                                        ; implicit-def: $vgpr10
	s_waitcnt vmcnt(0) lgkmcnt(0)
	v_cmpx_lt_i32_e64 v11, v32
; %bb.291:                              ;   in Loop: Header=BB11_268 Depth=1
	v_xad_u32 v10, v11, -1, v7
	s_mov_b32 s5, exec_lo
; %bb.292:                              ;   in Loop: Header=BB11_268 Depth=1
	s_or_b32 exec_lo, exec_lo, s6
	s_delay_alu instid0(SALU_CYCLE_1)
	s_and_b32 s5, s5, exec_lo
.LBB11_293:                             ;   in Loop: Header=BB11_268 Depth=1
	s_or_b32 exec_lo, exec_lo, s4
	s_delay_alu instid0(SALU_CYCLE_1)
	s_and_b32 s4, s5, exec_lo
	s_and_not1_saveexec_b32 s3, s3
	s_cbranch_execz .LBB11_274
.LBB11_294:                             ;   in Loop: Header=BB11_268 Depth=1
	flat_atomic_add_u32 v10, v[8:9], v17 offset:384 glc
	s_or_b32 s4, s4, exec_lo
	s_or_b32 exec_lo, exec_lo, s3
	s_and_saveexec_b32 s3, s4
	s_cbranch_execnz .LBB11_275
	s_branch .LBB11_276
.LBB11_295:                             ;   in Loop: Header=BB11_268 Depth=1
	s_mov_b32 s5, 0
	s_mov_b32 s4, exec_lo
                                        ; implicit-def: $vgpr10
	v_cmpx_eq_u32_e64 v11, v33
	s_cbranch_execz .LBB11_299
; %bb.296:                              ;   in Loop: Header=BB11_268 Depth=1
	flat_atomic_add_u32 v11, v[8:9], v17 offset:512 glc
	s_mov_b32 s6, exec_lo
                                        ; implicit-def: $vgpr10
	s_waitcnt vmcnt(0) lgkmcnt(0)
	v_cmpx_lt_i32_e64 v11, v32
; %bb.297:                              ;   in Loop: Header=BB11_268 Depth=1
	v_xad_u32 v10, v11, -1, v7
	s_mov_b32 s5, exec_lo
; %bb.298:                              ;   in Loop: Header=BB11_268 Depth=1
	s_or_b32 exec_lo, exec_lo, s6
	s_delay_alu instid0(SALU_CYCLE_1)
	s_and_b32 s5, s5, exec_lo
.LBB11_299:                             ;   in Loop: Header=BB11_268 Depth=1
	s_or_b32 exec_lo, exec_lo, s4
	s_delay_alu instid0(SALU_CYCLE_1)
	s_and_b32 s4, s5, exec_lo
	s_and_not1_saveexec_b32 s3, s3
	s_cbranch_execz .LBB11_278
.LBB11_300:                             ;   in Loop: Header=BB11_268 Depth=1
	flat_atomic_add_u32 v10, v[8:9], v17 offset:384 glc
	s_or_b32 s4, s4, exec_lo
	s_or_b32 exec_lo, exec_lo, s3
	s_and_saveexec_b32 s3, s4
	s_cbranch_execnz .LBB11_279
	s_branch .LBB11_280
.LBB11_301:                             ;   in Loop: Header=BB11_268 Depth=1
	s_mov_b32 s5, 0
	s_mov_b32 s4, exec_lo
                                        ; implicit-def: $vgpr10
	v_cmpx_eq_u32_e64 v11, v33
	s_cbranch_execz .LBB11_305
; %bb.302:                              ;   in Loop: Header=BB11_268 Depth=1
	flat_atomic_add_u32 v11, v[8:9], v17 offset:512 glc
	s_mov_b32 s6, exec_lo
                                        ; implicit-def: $vgpr10
	s_waitcnt vmcnt(0) lgkmcnt(0)
	v_cmpx_lt_i32_e64 v11, v32
; %bb.303:                              ;   in Loop: Header=BB11_268 Depth=1
	v_xad_u32 v10, v11, -1, v7
	s_mov_b32 s5, exec_lo
; %bb.304:                              ;   in Loop: Header=BB11_268 Depth=1
	s_or_b32 exec_lo, exec_lo, s6
	s_delay_alu instid0(SALU_CYCLE_1)
	s_and_b32 s5, s5, exec_lo
.LBB11_305:                             ;   in Loop: Header=BB11_268 Depth=1
	s_or_b32 exec_lo, exec_lo, s4
	s_delay_alu instid0(SALU_CYCLE_1)
	s_and_b32 s4, s5, exec_lo
	s_and_not1_saveexec_b32 s3, s3
	s_cbranch_execz .LBB11_282
.LBB11_306:                             ;   in Loop: Header=BB11_268 Depth=1
	flat_atomic_add_u32 v10, v[8:9], v17 offset:384 glc
	s_or_b32 s4, s4, exec_lo
	s_or_b32 exec_lo, exec_lo, s3
	s_and_saveexec_b32 s3, s4
	s_cbranch_execz .LBB11_267
.LBB11_307:                             ;   in Loop: Header=BB11_268 Depth=1
	s_waitcnt vmcnt(0) lgkmcnt(0)
	v_ashrrev_i32_e32 v11, 31, v10
	v_add_nc_u32_e32 v12, 3, v16
	s_delay_alu instid0(VALU_DEP_2) | instskip(NEXT) | instid1(VALU_DEP_1)
	v_lshlrev_b64 v[10:11], 2, v[10:11]
	v_add_co_u32 v10, vcc_lo, v4, v10
	s_delay_alu instid0(VALU_DEP_2)
	v_add_co_ci_u32_e32 v11, vcc_lo, v5, v11, vcc_lo
	flat_store_b32 v[10:11], v12
	s_branch .LBB11_267
.LBB11_308:
	s_or_b32 exec_lo, exec_lo, s1
	s_delay_alu instid0(SALU_CYCLE_1)
	s_mov_b32 s1, exec_lo
	v_cmpx_gt_u32_e64 v2, v22
	s_cbranch_execz .LBB11_313
; %bb.309:
	v_lshlrev_b32_e32 v3, 2, v22
	s_mov_b32 s3, 0
	s_mov_b32 s2, exec_lo
	s_waitcnt vmcnt(0) lgkmcnt(0)
	s_delay_alu instid0(VALU_DEP_1)
	v_add_co_u32 v10, vcc_lo, v0, v3
	v_add_co_ci_u32_e32 v11, vcc_lo, 0, v1, vcc_lo
	flat_load_b32 v3, v[10:11]
	s_waitcnt vmcnt(0) lgkmcnt(0)
	v_cmp_gt_i32_e32 vcc_lo, 0, v3
	v_cndmask_b32_e64 v10, 0x7fffffff, 0, vcc_lo
	s_delay_alu instid0(VALU_DEP_1) | instskip(NEXT) | instid1(VALU_DEP_1)
	v_xor_b32_e32 v3, v10, v3
                                        ; implicit-def: $vgpr10
	v_and_b32_e32 v3, v3, v31
	s_delay_alu instid0(VALU_DEP_1)
	v_cmpx_ge_u32_e64 v3, v33
	s_xor_b32 s2, exec_lo, s2
	s_cbranch_execnz .LBB11_319
; %bb.310:
	s_and_not1_saveexec_b32 s2, s2
	s_cbranch_execnz .LBB11_324
.LBB11_311:
	s_or_b32 exec_lo, exec_lo, s2
	s_delay_alu instid0(SALU_CYCLE_1)
	s_and_b32 exec_lo, exec_lo, s3
	s_cbranch_execz .LBB11_313
.LBB11_312:
	s_waitcnt vmcnt(0) lgkmcnt(0)
	v_ashrrev_i32_e32 v11, 31, v10
	s_delay_alu instid0(VALU_DEP_1) | instskip(NEXT) | instid1(VALU_DEP_1)
	v_lshlrev_b64 v[10:11], 2, v[10:11]
	v_add_co_u32 v10, vcc_lo, v4, v10
	s_delay_alu instid0(VALU_DEP_2)
	v_add_co_ci_u32_e32 v11, vcc_lo, v5, v11, vcc_lo
	flat_store_b32 v[10:11], v22
.LBB11_313:
	s_or_b32 exec_lo, exec_lo, s1
	v_lshlrev_b32_e32 v3, 2, v24
	s_mov_b32 s1, exec_lo
	s_delay_alu instid0(VALU_DEP_1) | instskip(NEXT) | instid1(VALU_DEP_1)
	v_add3_u32 v2, v2, v22, v3
	v_cmpx_lt_i32_e64 v2, v6
	s_cbranch_execz .LBB11_318
; %bb.314:
	v_ashrrev_i32_e32 v3, 31, v2
	s_mov_b32 s3, 0
	s_mov_b32 s2, exec_lo
	s_waitcnt vmcnt(0) lgkmcnt(0)
	s_delay_alu instid0(VALU_DEP_1) | instskip(NEXT) | instid1(VALU_DEP_1)
	v_lshlrev_b64 v[10:11], 2, v[2:3]
	v_add_co_u32 v0, vcc_lo, v0, v10
	s_delay_alu instid0(VALU_DEP_2) | instskip(SKIP_4) | instid1(VALU_DEP_1)
	v_add_co_ci_u32_e32 v1, vcc_lo, v1, v11, vcc_lo
	flat_load_b32 v0, v[0:1]
	s_waitcnt vmcnt(0) lgkmcnt(0)
	v_cmp_gt_i32_e32 vcc_lo, 0, v0
	v_cndmask_b32_e64 v1, 0x7fffffff, 0, vcc_lo
	v_xor_b32_e32 v0, v1, v0
	s_delay_alu instid0(VALU_DEP_1) | instskip(NEXT) | instid1(VALU_DEP_1)
	v_and_b32_e32 v1, v0, v31
                                        ; implicit-def: $vgpr0
	v_cmpx_ge_u32_e64 v1, v33
	s_xor_b32 s2, exec_lo, s2
	s_cbranch_execnz .LBB11_325
; %bb.315:
	s_and_not1_saveexec_b32 s2, s2
	s_cbranch_execnz .LBB11_330
.LBB11_316:
	s_or_b32 exec_lo, exec_lo, s2
	s_delay_alu instid0(SALU_CYCLE_1)
	s_and_b32 exec_lo, exec_lo, s3
	s_cbranch_execz .LBB11_318
.LBB11_317:
	s_waitcnt vmcnt(0) lgkmcnt(0)
	v_ashrrev_i32_e32 v1, 31, v0
	s_delay_alu instid0(VALU_DEP_1) | instskip(NEXT) | instid1(VALU_DEP_1)
	v_lshlrev_b64 v[0:1], 2, v[0:1]
	v_add_co_u32 v0, vcc_lo, v4, v0
	s_delay_alu instid0(VALU_DEP_2)
	v_add_co_ci_u32_e32 v1, vcc_lo, v5, v1, vcc_lo
	flat_store_b32 v[0:1], v2
.LBB11_318:
	s_or_b32 exec_lo, exec_lo, s1
	s_delay_alu instid0(SALU_CYCLE_1)
	s_or_b32 exec_lo, exec_lo, s0
	s_waitcnt vmcnt(0) lgkmcnt(0)
	s_setpc_b64 s[30:31]
.LBB11_319:
	s_mov_b32 s4, 0
	s_mov_b32 s3, exec_lo
                                        ; implicit-def: $vgpr10
	v_cmpx_eq_u32_e64 v3, v33
	s_cbranch_execz .LBB11_323
; %bb.320:
	v_mov_b32_e32 v3, 1
	s_mov_b32 s5, exec_lo
                                        ; implicit-def: $vgpr10
	flat_atomic_add_u32 v3, v[8:9], v3 offset:512 glc
	s_waitcnt vmcnt(0) lgkmcnt(0)
	v_cmpx_lt_i32_e64 v3, v32
	s_xor_b32 s5, exec_lo, s5
; %bb.321:
	v_xad_u32 v10, v3, -1, v7
	s_mov_b32 s4, exec_lo
; %bb.322:
	s_or_b32 exec_lo, exec_lo, s5
	s_delay_alu instid0(SALU_CYCLE_1)
	s_and_b32 s4, s4, exec_lo
.LBB11_323:
	s_or_b32 exec_lo, exec_lo, s3
	s_delay_alu instid0(SALU_CYCLE_1)
	s_and_b32 s3, s4, exec_lo
	s_and_not1_saveexec_b32 s2, s2
	s_cbranch_execz .LBB11_311
.LBB11_324:
	v_mov_b32_e32 v3, 1
	s_or_b32 s3, s3, exec_lo
	flat_atomic_add_u32 v10, v[8:9], v3 offset:384 glc
	s_or_b32 exec_lo, exec_lo, s2
	s_delay_alu instid0(SALU_CYCLE_1)
	s_and_b32 exec_lo, exec_lo, s3
	s_cbranch_execnz .LBB11_312
	s_branch .LBB11_313
.LBB11_325:
	s_mov_b32 s4, 0
	s_mov_b32 s3, exec_lo
                                        ; implicit-def: $vgpr0
	v_cmpx_eq_u32_e64 v1, v33
	s_cbranch_execz .LBB11_329
; %bb.326:
	v_mov_b32_e32 v0, 1
	s_mov_b32 s5, exec_lo
	flat_atomic_add_u32 v1, v[8:9], v0 offset:512 glc
                                        ; implicit-def: $vgpr0
	s_waitcnt vmcnt(0) lgkmcnt(0)
	v_cmpx_lt_i32_e64 v1, v32
	s_xor_b32 s5, exec_lo, s5
; %bb.327:
	v_xad_u32 v0, v1, -1, v7
	s_mov_b32 s4, exec_lo
; %bb.328:
	s_or_b32 exec_lo, exec_lo, s5
	s_delay_alu instid0(SALU_CYCLE_1)
	s_and_b32 s4, s4, exec_lo
.LBB11_329:
	s_or_b32 exec_lo, exec_lo, s3
	s_delay_alu instid0(SALU_CYCLE_1)
	s_and_b32 s3, s4, exec_lo
                                        ; implicit-def: $vgpr8_vgpr9
	s_and_not1_saveexec_b32 s2, s2
	s_cbranch_execz .LBB11_316
.LBB11_330:
	v_mov_b32_e32 v0, 1
	s_or_b32 s3, s3, exec_lo
	flat_atomic_add_u32 v0, v[8:9], v0 offset:384 glc
	s_or_b32 exec_lo, exec_lo, s2
	s_delay_alu instid0(SALU_CYCLE_1)
	s_and_b32 exec_lo, exec_lo, s3
	s_cbranch_execnz .LBB11_317
	s_branch .LBB11_318
.Lfunc_end11:
	.size	_ZN5aiter2ob11last_filterIfiLi11ELb0ELb0EEEvPKT_PKT0_PS2_PS5_S5_S5_PNS0_7CounterIS2_S5_EEbib, .Lfunc_end11-_ZN5aiter2ob11last_filterIfiLi11ELb0ELb0EEEvPKT_PKT0_PS2_PS5_S5_S5_PNS0_7CounterIS2_S5_EEbib
                                        ; -- End function
	.section	.AMDGPU.csdata,"",@progbits
; Function info:
; codeLenInByte = 9288
; NumSgprs: 34
; NumVgprs: 81
; ScratchSize: 0
; MemoryBound: 0
	.section	.text._ZN5aiter2ob27radix_topk_one_block_kernelIfiLi11ELi1024ELb0ELb0ELNS0_5PhaseE0EEEvPKT_PKT0_lS8_S8_S6_PS3_PS6_bPci,"axG",@progbits,_ZN5aiter2ob27radix_topk_one_block_kernelIfiLi11ELi1024ELb0ELb0ELNS0_5PhaseE0EEEvPKT_PKT0_lS8_S8_S6_PS3_PS6_bPci,comdat
	.protected	_ZN5aiter2ob27radix_topk_one_block_kernelIfiLi11ELi1024ELb0ELb0ELNS0_5PhaseE0EEEvPKT_PKT0_lS8_S8_S6_PS3_PS6_bPci ; -- Begin function _ZN5aiter2ob27radix_topk_one_block_kernelIfiLi11ELi1024ELb0ELb0ELNS0_5PhaseE0EEEvPKT_PKT0_lS8_S8_S6_PS3_PS6_bPci
	.globl	_ZN5aiter2ob27radix_topk_one_block_kernelIfiLi11ELi1024ELb0ELb0ELNS0_5PhaseE0EEEvPKT_PKT0_lS8_S8_S6_PS3_PS6_bPci
	.p2align	8
	.type	_ZN5aiter2ob27radix_topk_one_block_kernelIfiLi11ELi1024ELb0ELb0ELNS0_5PhaseE0EEEvPKT_PKT0_lS8_S8_S6_PS3_PS6_bPci,@function
_ZN5aiter2ob27radix_topk_one_block_kernelIfiLi11ELi1024ELb0ELb0ELNS0_5PhaseE0EEEvPKT_PKT0_lS8_S8_S6_PS3_PS6_bPci: ; @_ZN5aiter2ob27radix_topk_one_block_kernelIfiLi11ELi1024ELb0ELb0ELNS0_5PhaseE0EEEvPKT_PKT0_lS8_S8_S6_PS3_PS6_bPci
; %bb.0:
	s_mov_b32 s18, s15
	s_clause 0x1
	s_load_b256 s[8:15], s[0:1], 0x0
	s_load_b64 s[2:3], s[0:1], 0x20
	v_mov_b32_e32 v40, v0
	s_mov_b32 s19, 0
	s_mov_b32 s32, 0
	s_waitcnt lgkmcnt(0)
	s_cmp_eq_u64 s[14:15], 0
	s_cselect_b32 s4, -1, 0
	s_cmp_eq_u64 s[2:3], 0
	s_cselect_b32 s5, -1, 0
	s_delay_alu instid0(SALU_CYCLE_1) | instskip(NEXT) | instid1(SALU_CYCLE_1)
	s_or_b32 s4, s4, s5
	s_and_b32 vcc_lo, exec_lo, s4
	s_mov_b32 s4, s12
	s_cbranch_vccnz .LBB12_2
; %bb.1:
	s_lshl_b64 s[4:5], s[18:19], 2
	s_delay_alu instid0(SALU_CYCLE_1)
	s_add_u32 s2, s2, s4
	s_addc_u32 s3, s3, s5
	s_add_u32 s4, s14, s4
	s_addc_u32 s5, s15, s5
	s_load_b32 s19, s[4:5], 0x0
	s_load_b32 s4, s[2:3], 0x0
.LBB12_2:
	s_load_b32 s24, s[0:1], 0x28
	v_cmp_ne_u32_e64 s3, 0, v40
	v_cmp_eq_u32_e64 s2, 0, v40
	s_waitcnt lgkmcnt(0)
	s_sub_i32 s25, s4, s19
	s_delay_alu instid0(VALU_DEP_1)
	s_and_saveexec_b32 s4, s2
	s_cbranch_execz .LBB12_4
; %bb.3:
	v_dual_mov_b32 v1, s25 :: v_dual_mov_b32 v0, s24
	v_dual_mov_b32 v3, 0 :: v_dual_mov_b32 v2, s25
	ds_store_b128 v3, v[0:3]
	ds_store_2addr_b32 v3, v3, v3 offset0:96 offset1:128
.LBB12_4:
	s_or_b32 exec_lo, exec_lo, s4
	s_load_b64 s[20:21], s[0:1], 0x38
	s_ashr_i32 s4, s24, 31
	s_mul_hi_u32 s5, s24, s18
	s_mul_i32 s4, s4, s18
	s_mul_i32 s14, s24, s18
	s_add_i32 s15, s5, s4
	s_cmp_gt_i32 s25, s24
	s_mov_b32 s4, -1
	s_waitcnt lgkmcnt(0)
	s_barrier
	buffer_gl0_inv
	s_cbranch_scc1 .LBB12_9
; %bb.5:
	s_mov_b32 s5, exec_lo
	v_cmpx_gt_i32_e64 s24, v40
	s_cbranch_execz .LBB12_8
; %bb.6:
	v_lshlrev_b32_e32 v0, 2, v40
	s_lshl_b64 s[6:7], s[14:15], 2
	v_mov_b32_e32 v2, v40
	s_add_u32 s4, s20, s6
	s_addc_u32 s6, s21, s7
	v_add_co_u32 v0, s4, s4, v0
	s_delay_alu instid0(VALU_DEP_1)
	v_add_co_ci_u32_e64 v1, null, s6, 0, s4
	s_mov_b32 s6, 0
.LBB12_7:                               ; =>This Inner Loop Header: Depth=1
	v_add_nc_u32_e32 v3, s19, v2
	v_cmp_gt_i32_e32 vcc_lo, s25, v2
	s_delay_alu instid0(VALU_DEP_2) | instskip(NEXT) | instid1(VALU_DEP_1)
	v_dual_cndmask_b32 v3, -1, v3 :: v_dual_add_nc_u32 v2, 0x400, v2
	v_cmp_le_i32_e32 vcc_lo, s24, v2
	global_store_b32 v[0:1], v3, off
	v_add_co_u32 v0, s4, 0x1000, v0
	s_delay_alu instid0(VALU_DEP_1) | instskip(SKIP_1) | instid1(SALU_CYCLE_1)
	v_add_co_ci_u32_e64 v1, s4, 0, v1, s4
	s_or_b32 s6, vcc_lo, s6
	s_and_not1_b32 exec_lo, exec_lo, s6
	s_cbranch_execnz .LBB12_7
.LBB12_8:
	s_or_b32 exec_lo, exec_lo, s5
	s_mov_b32 s4, 0
.LBB12_9:
	s_delay_alu instid0(SALU_CYCLE_1)
	s_and_not1_b32 vcc_lo, exec_lo, s4
	s_cbranch_vccnz .LBB12_182
; %bb.10:
	s_load_b32 s4, s[0:1], 0x64
	v_dual_mov_b32 v1, v40 :: v_dual_lshlrev_b32 v4, 2, v40
	s_delay_alu instid0(VALU_DEP_1) | instskip(NEXT) | instid1(VALU_DEP_1)
	v_dual_mov_b32 v0, 0 :: v_dual_add_nc_u32 v27, 0x2380, v4
	v_mov_b32_e32 v2, v27
	s_waitcnt lgkmcnt(0)
	s_and_b32 s22, s4, 0xffff
	s_mov_b32 s4, 0
	s_lshl_b32 s23, s22, 2
.LBB12_11:                              ; =>This Inner Loop Header: Depth=1
	v_add_nc_u32_e32 v1, s22, v1
	ds_store_b32 v2, v0
	v_add_nc_u32_e32 v2, s23, v2
	v_cmp_lt_u32_e32 vcc_lo, 0x7ff, v1
	s_or_b32 s4, vcc_lo, s4
	s_delay_alu instid0(SALU_CYCLE_1)
	s_and_not1_b32 exec_lo, exec_lo, s4
	s_cbranch_execnz .LBB12_11
; %bb.12:
	s_or_b32 exec_lo, exec_lo, s4
	s_and_saveexec_b32 s4, s2
	s_cbranch_execz .LBB12_14
; %bb.13:
	v_mov_b32_e32 v0, 0
	ds_store_b32 v0, v0 offset:128
.LBB12_14:
	s_or_b32 exec_lo, exec_lo, s4
	s_mul_i32 s4, s18, s13
	s_mul_hi_u32 s5, s18, s12
	s_ashr_i32 s6, s19, 31
	s_add_i32 s5, s5, s4
	s_mul_i32 s4, s18, s12
	s_mul_i32 s29, s22, 3
	s_add_u32 s4, s4, s19
	s_addc_u32 s5, s5, s6
	v_dual_mov_b32 v41, 0 :: v_dual_mov_b32 v0, v40
	s_lshl_b64 s[12:13], s[4:5], 2
	s_mov_b32 s5, 0
	s_add_u32 s27, s8, s12
	s_addc_u32 s26, s9, s13
	s_and_b32 s4, s27, 15
	s_waitcnt lgkmcnt(0)
	s_waitcnt_vscnt null, 0x0
	s_sub_i32 s6, 16, s4
	s_barrier
	s_lshr_b32 s6, s6, 2
	s_cmp_lg_u64 s[4:5], 0
	buffer_gl0_inv
	s_cselect_b32 s4, s6, 0
	s_delay_alu instid0(SALU_CYCLE_1) | instskip(NEXT) | instid1(SALU_CYCLE_1)
	s_min_i32 s6, s4, s25
	s_ashr_i32 s7, s6, 31
	s_delay_alu instid0(SALU_CYCLE_1) | instskip(NEXT) | instid1(SALU_CYCLE_1)
	s_lshl_b64 s[16:17], s[6:7], 2
	s_add_u32 s9, s27, s16
	s_addc_u32 s28, s26, s17
	s_sub_i32 s4, s25, s6
	s_delay_alu instid0(SALU_CYCLE_1) | instskip(NEXT) | instid1(SALU_CYCLE_1)
	s_ashr_i32 s7, s4, 31
	s_lshr_b32 s7, s7, 30
	s_delay_alu instid0(SALU_CYCLE_1) | instskip(SKIP_1) | instid1(VALU_DEP_1)
	s_add_i32 s4, s4, s7
	v_add_co_u32 v16, s7, s29, v40
	v_add_co_ci_u32_e64 v17, null, 0, 0, s7
	s_ashr_i32 s16, s4, 2
	s_lshl_b32 s4, s22, 4
	s_ashr_i32 s17, s16, 31
	s_add_u32 s30, s9, s4
	v_cmp_gt_u64_e64 s7, s[16:17], v[16:17]
	s_addc_u32 s31, s28, 0
	s_add_u32 s33, s30, s4
	s_addc_u32 s34, s31, 0
	s_delay_alu instid0(VALU_DEP_1)
	s_and_saveexec_b32 s4, s7
	s_cbranch_execz .LBB12_18
; %bb.15:
	v_dual_mov_b32 v5, 1 :: v_dual_mov_b32 v2, v16
	v_dual_mov_b32 v3, v17 :: v_dual_mov_b32 v0, v40
	v_mov_b32_e32 v1, v41
.LBB12_16:                              ; =>This Inner Loop Header: Depth=1
	s_delay_alu instid0(VALU_DEP_1) | instskip(NEXT) | instid1(VALU_DEP_3)
	v_lshlrev_b64 v[10:11], 4, v[0:1]
	v_lshlrev_b64 v[1:2], 4, v[2:3]
	v_add_nc_u32_e32 v0, s23, v0
	s_delay_alu instid0(VALU_DEP_3) | instskip(NEXT) | instid1(VALU_DEP_4)
	v_add_co_u32 v6, vcc_lo, s9, v10
	v_add_co_ci_u32_e32 v7, vcc_lo, s28, v11, vcc_lo
	v_add_co_u32 v12, vcc_lo, s30, v10
	v_add_co_ci_u32_e32 v13, vcc_lo, s31, v11, vcc_lo
	global_load_b128 v[6:9], v[6:7], off
	v_add_co_u32 v14, vcc_lo, s33, v10
	v_add_co_ci_u32_e32 v15, vcc_lo, s34, v11, vcc_lo
	global_load_b128 v[10:13], v[12:13], off
	v_add_co_u32 v1, vcc_lo, s9, v1
	v_add_co_ci_u32_e32 v2, vcc_lo, s28, v2, vcc_lo
	s_waitcnt vmcnt(1)
	v_cmp_gt_i32_e32 vcc_lo, 0, v6
	v_cndmask_b32_e64 v3, 0x7fe00000, 0, vcc_lo
	v_cmp_gt_i32_e32 vcc_lo, 0, v7
	s_delay_alu instid0(VALU_DEP_2) | instskip(SKIP_2) | instid1(VALU_DEP_3)
	v_xor_b32_e32 v3, v3, v6
	v_cndmask_b32_e64 v18, 0x7fe00000, 0, vcc_lo
	v_cmp_gt_i32_e32 vcc_lo, 0, v8
	v_lshrrev_b32_e32 v3, 19, v3
	s_delay_alu instid0(VALU_DEP_3) | instskip(SKIP_2) | instid1(VALU_DEP_4)
	v_xor_b32_e32 v6, v18, v7
	v_cndmask_b32_e64 v19, 0x7fe00000, 0, vcc_lo
	v_cmp_gt_i32_e32 vcc_lo, 0, v9
	v_and_b32_e32 v3, 0x1ffc, v3
	s_delay_alu instid0(VALU_DEP_4) | instskip(NEXT) | instid1(VALU_DEP_4)
	v_lshrrev_b32_e32 v6, 19, v6
	v_xor_b32_e32 v7, v19, v8
	v_cndmask_b32_e64 v20, 0x7fe00000, 0, vcc_lo
	s_waitcnt vmcnt(0)
	v_cmp_gt_i32_e32 vcc_lo, 0, v10
	v_and_b32_e32 v6, 0x1ffc, v6
	v_lshrrev_b32_e32 v7, 19, v7
	v_xor_b32_e32 v8, v20, v9
	s_delay_alu instid0(VALU_DEP_2) | instskip(NEXT) | instid1(VALU_DEP_2)
	v_and_b32_e32 v7, 0x1ffc, v7
	v_lshrrev_b32_e32 v8, 19, v8
	s_delay_alu instid0(VALU_DEP_1)
	v_and_b32_e32 v8, 0x1ffc, v8
	ds_add_u32 v3, v5 offset:9088
	ds_add_u32 v6, v5 offset:9088
	;; [unrolled: 1-line block ×4, first 2 shown]
	s_clause 0x1
	global_load_b128 v[6:9], v[14:15], off
	global_load_b128 v[18:21], v[1:2], off
	v_cndmask_b32_e64 v1, 0x7fe00000, 0, vcc_lo
	v_cmp_gt_i32_e32 vcc_lo, 0, v11
	s_delay_alu instid0(VALU_DEP_2) | instskip(SKIP_2) | instid1(VALU_DEP_3)
	v_xor_b32_e32 v1, v1, v10
	v_cndmask_b32_e64 v2, 0x7fe00000, 0, vcc_lo
	v_cmp_gt_i32_e32 vcc_lo, 0, v12
	v_lshrrev_b32_e32 v1, 19, v1
	s_delay_alu instid0(VALU_DEP_3) | instskip(SKIP_2) | instid1(VALU_DEP_4)
	v_xor_b32_e32 v2, v2, v11
	v_cndmask_b32_e64 v3, 0x7fe00000, 0, vcc_lo
	v_cmp_gt_i32_e32 vcc_lo, 0, v13
	v_and_b32_e32 v1, 0x1ffc, v1
	s_delay_alu instid0(VALU_DEP_4) | instskip(NEXT) | instid1(VALU_DEP_4)
	v_lshrrev_b32_e32 v2, 19, v2
	v_xor_b32_e32 v3, v3, v12
	v_cndmask_b32_e64 v14, 0x7fe00000, 0, vcc_lo
	s_delay_alu instid0(VALU_DEP_3) | instskip(NEXT) | instid1(VALU_DEP_3)
	v_and_b32_e32 v2, 0x1ffc, v2
	v_lshrrev_b32_e32 v3, 19, v3
	s_delay_alu instid0(VALU_DEP_3) | instskip(NEXT) | instid1(VALU_DEP_2)
	v_xor_b32_e32 v10, v14, v13
	v_and_b32_e32 v3, 0x1ffc, v3
	s_delay_alu instid0(VALU_DEP_2) | instskip(NEXT) | instid1(VALU_DEP_1)
	v_lshrrev_b32_e32 v10, 19, v10
	v_and_b32_e32 v10, 0x1ffc, v10
	ds_add_u32 v1, v5 offset:9088
	ds_add_u32 v2, v5 offset:9088
	;; [unrolled: 1-line block ×4, first 2 shown]
	s_waitcnt vmcnt(1)
	v_cmp_gt_i32_e32 vcc_lo, 0, v6
	v_cndmask_b32_e64 v1, 0x7fe00000, 0, vcc_lo
	v_cmp_gt_i32_e32 vcc_lo, 0, v7
	s_delay_alu instid0(VALU_DEP_2) | instskip(SKIP_2) | instid1(VALU_DEP_3)
	v_xor_b32_e32 v1, v1, v6
	v_cndmask_b32_e64 v2, 0x7fe00000, 0, vcc_lo
	v_cmp_gt_i32_e32 vcc_lo, 0, v8
	v_lshrrev_b32_e32 v1, 19, v1
	s_delay_alu instid0(VALU_DEP_3) | instskip(SKIP_2) | instid1(VALU_DEP_4)
	v_xor_b32_e32 v2, v2, v7
	v_cndmask_b32_e64 v3, 0x7fe00000, 0, vcc_lo
	v_cmp_gt_i32_e32 vcc_lo, 0, v9
	v_and_b32_e32 v1, 0x1ffc, v1
	s_delay_alu instid0(VALU_DEP_4) | instskip(NEXT) | instid1(VALU_DEP_4)
	v_lshrrev_b32_e32 v2, 19, v2
	v_xor_b32_e32 v3, v3, v8
	v_cndmask_b32_e64 v10, 0x7fe00000, 0, vcc_lo
	s_waitcnt vmcnt(0)
	v_cmp_gt_i32_e32 vcc_lo, 0, v18
	v_and_b32_e32 v2, 0x1ffc, v2
	v_lshrrev_b32_e32 v3, 19, v3
	v_xor_b32_e32 v6, v10, v9
	v_cndmask_b32_e64 v11, 0x7fe00000, 0, vcc_lo
	v_cmp_gt_i32_e32 vcc_lo, 0, v19
	s_delay_alu instid0(VALU_DEP_4) | instskip(NEXT) | instid1(VALU_DEP_4)
	v_and_b32_e32 v3, 0x1ffc, v3
	v_lshrrev_b32_e32 v6, 19, v6
	s_delay_alu instid0(VALU_DEP_4) | instskip(SKIP_2) | instid1(VALU_DEP_4)
	v_xor_b32_e32 v7, v11, v18
	v_cndmask_b32_e64 v12, 0x7fe00000, 0, vcc_lo
	v_cmp_gt_i32_e32 vcc_lo, 0, v20
	v_and_b32_e32 v6, 0x1ffc, v6
	s_delay_alu instid0(VALU_DEP_4) | instskip(NEXT) | instid1(VALU_DEP_4)
	v_lshrrev_b32_e32 v7, 19, v7
	v_xor_b32_e32 v8, v12, v19
	v_cndmask_b32_e64 v13, 0x7fe00000, 0, vcc_lo
	v_cmp_gt_i32_e32 vcc_lo, 0, v21
	s_delay_alu instid0(VALU_DEP_4) | instskip(NEXT) | instid1(VALU_DEP_4)
	v_and_b32_e32 v7, 0x1ffc, v7
	v_lshrrev_b32_e32 v8, 19, v8
	s_delay_alu instid0(VALU_DEP_4) | instskip(SKIP_1) | instid1(VALU_DEP_3)
	v_xor_b32_e32 v9, v13, v20
	v_cndmask_b32_e64 v14, 0x7fe00000, 0, vcc_lo
	v_and_b32_e32 v8, 0x1ffc, v8
	s_delay_alu instid0(VALU_DEP_3) | instskip(NEXT) | instid1(VALU_DEP_3)
	v_lshrrev_b32_e32 v9, 19, v9
	v_xor_b32_e32 v10, v14, v21
	s_delay_alu instid0(VALU_DEP_2) | instskip(NEXT) | instid1(VALU_DEP_2)
	v_and_b32_e32 v9, 0x1ffc, v9
	v_lshrrev_b32_e32 v10, 19, v10
	s_delay_alu instid0(VALU_DEP_1)
	v_and_b32_e32 v10, 0x1ffc, v10
	ds_add_u32 v1, v5 offset:9088
	ds_add_u32 v2, v5 offset:9088
	;; [unrolled: 1-line block ×8, first 2 shown]
	v_ashrrev_i32_e32 v1, 31, v0
	v_add_co_u32 v2, vcc_lo, s29, v0
	s_delay_alu instid0(VALU_DEP_2) | instskip(NEXT) | instid1(VALU_DEP_1)
	v_add_co_ci_u32_e32 v3, vcc_lo, 0, v1, vcc_lo
	v_cmp_le_u64_e32 vcc_lo, s[16:17], v[2:3]
	s_or_b32 s5, vcc_lo, s5
	s_delay_alu instid0(SALU_CYCLE_1)
	s_and_not1_b32 exec_lo, exec_lo, s5
	s_cbranch_execnz .LBB12_16
; %bb.17:
	s_or_b32 exec_lo, exec_lo, s5
.LBB12_18:
	s_delay_alu instid0(SALU_CYCLE_1) | instskip(NEXT) | instid1(SALU_CYCLE_1)
	s_or_b32 exec_lo, exec_lo, s4
	s_mov_b32 s4, exec_lo
	v_cmpx_gt_i32_e64 s16, v0
	s_cbranch_execz .LBB12_21
; %bb.19:
	v_mov_b32_e32 v2, 1
	s_mov_b32 s5, 0
.LBB12_20:                              ; =>This Inner Loop Header: Depth=1
	v_ashrrev_i32_e32 v1, 31, v0
	s_delay_alu instid0(VALU_DEP_1) | instskip(SKIP_1) | instid1(VALU_DEP_2)
	v_lshlrev_b64 v[5:6], 4, v[0:1]
	v_add_nc_u32_e32 v0, s22, v0
	v_add_co_u32 v5, vcc_lo, s9, v5
	s_delay_alu instid0(VALU_DEP_3)
	v_add_co_ci_u32_e32 v6, vcc_lo, s28, v6, vcc_lo
	global_load_b128 v[5:8], v[5:6], off
	s_waitcnt vmcnt(0)
	v_cmp_gt_i32_e32 vcc_lo, 0, v5
	v_cndmask_b32_e64 v1, 0x7fe00000, 0, vcc_lo
	v_cmp_gt_i32_e32 vcc_lo, 0, v6
	s_delay_alu instid0(VALU_DEP_2) | instskip(SKIP_2) | instid1(VALU_DEP_3)
	v_xor_b32_e32 v1, v1, v5
	v_cndmask_b32_e64 v3, 0x7fe00000, 0, vcc_lo
	v_cmp_gt_i32_e32 vcc_lo, 0, v7
	v_lshrrev_b32_e32 v1, 19, v1
	s_delay_alu instid0(VALU_DEP_3) | instskip(SKIP_2) | instid1(VALU_DEP_4)
	v_xor_b32_e32 v3, v3, v6
	v_cndmask_b32_e64 v9, 0x7fe00000, 0, vcc_lo
	v_cmp_gt_i32_e32 vcc_lo, 0, v8
	v_and_b32_e32 v1, 0x1ffc, v1
	s_delay_alu instid0(VALU_DEP_4) | instskip(NEXT) | instid1(VALU_DEP_4)
	v_lshrrev_b32_e32 v3, 19, v3
	v_xor_b32_e32 v5, v9, v7
	v_cndmask_b32_e64 v10, 0x7fe00000, 0, vcc_lo
	v_cmp_le_i32_e32 vcc_lo, s16, v0
	s_delay_alu instid0(VALU_DEP_4) | instskip(NEXT) | instid1(VALU_DEP_4)
	v_and_b32_e32 v3, 0x1ffc, v3
	v_lshrrev_b32_e32 v5, 19, v5
	s_delay_alu instid0(VALU_DEP_4) | instskip(SKIP_1) | instid1(VALU_DEP_2)
	v_xor_b32_e32 v6, v10, v8
	s_or_b32 s5, vcc_lo, s5
	v_and_b32_e32 v5, 0x1ffc, v5
	s_delay_alu instid0(VALU_DEP_2) | instskip(NEXT) | instid1(VALU_DEP_1)
	v_lshrrev_b32_e32 v6, 19, v6
	v_and_b32_e32 v6, 0x1ffc, v6
	ds_add_u32 v1, v2 offset:9088
	ds_add_u32 v3, v2 offset:9088
	;; [unrolled: 1-line block ×4, first 2 shown]
	s_and_not1_b32 exec_lo, exec_lo, s5
	s_cbranch_execnz .LBB12_20
.LBB12_21:
	s_or_b32 exec_lo, exec_lo, s4
	v_lshlrev_b32_e32 v42, 2, v40
	v_cmp_gt_u32_e64 s4, s6, v40
	s_delay_alu instid0(VALU_DEP_2) | instskip(NEXT) | instid1(VALU_DEP_1)
	v_add_co_u32 v18, s5, s27, v42
	v_add_co_ci_u32_e64 v19, null, s26, 0, s5
	s_delay_alu instid0(VALU_DEP_3)
	s_and_saveexec_b32 s5, s4
	s_cbranch_execz .LBB12_23
; %bb.22:
	global_load_b32 v0, v[18:19], off
	s_waitcnt vmcnt(0)
	v_cmp_gt_i32_e32 vcc_lo, 0, v0
	v_cndmask_b32_e64 v1, 0x7fe00000, 0, vcc_lo
	s_delay_alu instid0(VALU_DEP_1) | instskip(SKIP_1) | instid1(VALU_DEP_2)
	v_xor_b32_e32 v0, v1, v0
	v_mov_b32_e32 v1, 1
	v_lshrrev_b32_e32 v0, 19, v0
	s_delay_alu instid0(VALU_DEP_1)
	v_and_b32_e32 v0, 0x1ffc, v0
	ds_add_u32 v0, v1 offset:9088
.LBB12_23:
	s_or_b32 exec_lo, exec_lo, s5
	s_lshl_b32 s5, s16, 2
	s_delay_alu instid0(SALU_CYCLE_1) | instskip(NEXT) | instid1(VALU_DEP_1)
	v_add3_u32 v0, s5, s6, v40
	v_ashrrev_i32_e32 v1, 31, v0
	v_cmp_gt_i32_e64 s5, s25, v0
	s_delay_alu instid0(VALU_DEP_2) | instskip(NEXT) | instid1(VALU_DEP_1)
	v_lshlrev_b64 v[1:2], 2, v[0:1]
	v_add_co_u32 v20, vcc_lo, s27, v1
	s_delay_alu instid0(VALU_DEP_2) | instskip(NEXT) | instid1(VALU_DEP_4)
	v_add_co_ci_u32_e32 v21, vcc_lo, s26, v2, vcc_lo
	s_and_saveexec_b32 s6, s5
	s_cbranch_execz .LBB12_25
; %bb.24:
	global_load_b32 v0, v[20:21], off
	s_waitcnt vmcnt(0)
	v_cmp_gt_i32_e32 vcc_lo, 0, v0
	v_cndmask_b32_e64 v1, 0x7fe00000, 0, vcc_lo
	s_delay_alu instid0(VALU_DEP_1) | instskip(SKIP_1) | instid1(VALU_DEP_2)
	v_xor_b32_e32 v0, v1, v0
	v_mov_b32_e32 v1, 1
	v_lshrrev_b32_e32 v0, 19, v0
	s_delay_alu instid0(VALU_DEP_1)
	v_and_b32_e32 v0, 0x1ffc, v0
	ds_add_u32 v0, v1 offset:9088
.LBB12_25:
	s_or_b32 exec_lo, exec_lo, s6
	s_mov_b64 s[36:37], src_shared_base
	s_delay_alu instid0(SALU_CYCLE_1)
	v_dual_mov_b32 v15, s37 :: v_dual_add_nc_u32 v14, 0x3380, v4
	v_dual_mov_b32 v13, s37 :: v_dual_add_nc_u32 v12, 0x2380, v4
	s_waitcnt lgkmcnt(0)
	s_barrier
	buffer_gl0_inv
	flat_load_b32 v0, v[12:13] glc dlc
	s_waitcnt vmcnt(0)
	flat_load_b32 v1, v[14:15] glc dlc
	s_waitcnt vmcnt(0)
	v_or_b32_e32 v2, 0x400, v40
	v_lshrrev_b32_e32 v3, 3, v40
	v_lshlrev_b32_e32 v6, 1, v40
	v_lshrrev_b32_e32 v7, 4, v40
	v_cmp_gt_u32_e64 s6, 32, v40
	v_lshrrev_b32_e32 v2, 3, v2
	v_and_b32_e32 v3, 0x7c, v3
	s_delay_alu instid0(VALU_DEP_2) | instskip(NEXT) | instid1(VALU_DEP_2)
	v_and_b32_e32 v5, 0xfc, v2
	v_add_nc_u32_e32 v2, v4, v3
	s_delay_alu instid0(VALU_DEP_2)
	v_add_nc_u32_e32 v3, v5, v4
	v_add_lshl_u32 v5, v7, v6, 2
	v_mul_u32_u24_e32 v7, 33, v40
	s_waitcnt lgkmcnt(1)
	ds_store_b32 v2, v0 offset:640
	s_waitcnt lgkmcnt(1)
	ds_store_b32 v3, v1 offset:4736
	s_waitcnt lgkmcnt(0)
	s_barrier
	buffer_gl0_inv
	ds_load_2addr_b32 v[0:1], v5 offset0:160 offset1:161
	v_lshl_add_u32 v25, v7, 2, 0x280
	s_waitcnt lgkmcnt(0)
	s_barrier
	buffer_gl0_inv
	v_add_nc_u32_e32 v6, v1, v0
	ds_store_b32 v2, v6 offset:640
	s_waitcnt lgkmcnt(0)
	s_barrier
	buffer_gl0_inv
	s_and_saveexec_b32 s8, s6
	s_cbranch_execz .LBB12_27
; %bb.26:
	ds_load_2addr_b32 v[7:8], v25 offset1:1
	ds_load_2addr_b32 v[9:10], v25 offset0:2 offset1:3
	ds_load_2addr_b32 v[22:23], v25 offset0:4 offset1:5
	;; [unrolled: 1-line block ×15, first 2 shown]
	v_mbcnt_lo_u32_b32 v24, -1, 0
	s_delay_alu instid0(VALU_DEP_1) | instskip(SKIP_3) | instid1(VALU_DEP_1)
	v_bfe_i32 v58, v24, 4, 1
	s_waitcnt lgkmcnt(15)
	v_add_nc_u32_e32 v11, v8, v7
	s_waitcnt lgkmcnt(14)
	v_add3_u32 v11, v11, v9, v10
	s_waitcnt lgkmcnt(13)
	s_delay_alu instid0(VALU_DEP_1) | instskip(SKIP_1) | instid1(VALU_DEP_1)
	v_add3_u32 v11, v11, v22, v23
	s_waitcnt lgkmcnt(12)
	v_add3_u32 v11, v11, v28, v29
	s_waitcnt lgkmcnt(11)
	s_delay_alu instid0(VALU_DEP_1) | instskip(SKIP_1) | instid1(VALU_DEP_1)
	v_add3_u32 v11, v11, v30, v31
	s_waitcnt lgkmcnt(10)
	v_add3_u32 v11, v11, v32, v33
	s_waitcnt lgkmcnt(9)
	s_delay_alu instid0(VALU_DEP_1) | instskip(SKIP_1) | instid1(VALU_DEP_1)
	v_add3_u32 v11, v11, v34, v35
	s_waitcnt lgkmcnt(8)
	v_add3_u32 v11, v11, v36, v37
	s_waitcnt lgkmcnt(7)
	s_delay_alu instid0(VALU_DEP_1) | instskip(SKIP_1) | instid1(VALU_DEP_1)
	v_add3_u32 v11, v11, v38, v39
	s_waitcnt lgkmcnt(6)
	v_add3_u32 v11, v11, v43, v44
	s_waitcnt lgkmcnt(5)
	s_delay_alu instid0(VALU_DEP_1) | instskip(SKIP_1) | instid1(VALU_DEP_1)
	v_add3_u32 v11, v11, v45, v46
	s_waitcnt lgkmcnt(4)
	v_add3_u32 v11, v11, v47, v48
	s_waitcnt lgkmcnt(3)
	s_delay_alu instid0(VALU_DEP_1) | instskip(SKIP_1) | instid1(VALU_DEP_1)
	v_add3_u32 v11, v11, v49, v50
	s_waitcnt lgkmcnt(2)
	v_add3_u32 v11, v11, v51, v52
	s_waitcnt lgkmcnt(1)
	s_delay_alu instid0(VALU_DEP_1) | instskip(SKIP_1) | instid1(VALU_DEP_1)
	v_add3_u32 v11, v11, v53, v54
	s_waitcnt lgkmcnt(0)
	v_add3_u32 v11, v11, v55, v56
	s_delay_alu instid0(VALU_DEP_1) | instskip(SKIP_1) | instid1(VALU_DEP_1)
	v_mov_b32_dpp v57, v11 row_shr:1 row_mask:0xf bank_mask:0xf
	v_and_b32_e32 v26, 15, v24
	v_cmp_ne_u32_e32 vcc_lo, 0, v26
	s_delay_alu instid0(VALU_DEP_3) | instskip(SKIP_1) | instid1(VALU_DEP_2)
	v_cndmask_b32_e32 v57, 0, v57, vcc_lo
	v_cmp_lt_u32_e32 vcc_lo, 1, v26
	v_add_nc_u32_e32 v11, v57, v11
	s_delay_alu instid0(VALU_DEP_1) | instskip(NEXT) | instid1(VALU_DEP_1)
	v_mov_b32_dpp v57, v11 row_shr:2 row_mask:0xf bank_mask:0xf
	v_cndmask_b32_e32 v57, 0, v57, vcc_lo
	v_cmp_lt_u32_e32 vcc_lo, 3, v26
	s_delay_alu instid0(VALU_DEP_2) | instskip(NEXT) | instid1(VALU_DEP_1)
	v_add_nc_u32_e32 v11, v11, v57
	v_mov_b32_dpp v57, v11 row_shr:4 row_mask:0xf bank_mask:0xf
	s_delay_alu instid0(VALU_DEP_1) | instskip(SKIP_1) | instid1(VALU_DEP_2)
	v_cndmask_b32_e32 v57, 0, v57, vcc_lo
	v_cmp_lt_u32_e32 vcc_lo, 7, v26
	v_add_nc_u32_e32 v11, v11, v57
	s_delay_alu instid0(VALU_DEP_1) | instskip(NEXT) | instid1(VALU_DEP_1)
	v_mov_b32_dpp v57, v11 row_shr:8 row_mask:0xf bank_mask:0xf
	v_dual_cndmask_b32 v26, 0, v57 :: v_dual_add_nc_u32 v57, -1, v24
	s_delay_alu instid0(VALU_DEP_1) | instskip(NEXT) | instid1(VALU_DEP_2)
	v_add_nc_u32_e32 v11, v11, v26
	v_cmp_gt_i32_e32 vcc_lo, 0, v57
	ds_swizzle_b32 v26, v11 offset:swizzle(BROADCAST,32,15)
	v_cndmask_b32_e32 v24, v57, v24, vcc_lo
	s_delay_alu instid0(VALU_DEP_1) | instskip(SKIP_2) | instid1(VALU_DEP_1)
	v_lshlrev_b32_e32 v24, 2, v24
	s_waitcnt lgkmcnt(0)
	v_and_b32_e32 v26, v58, v26
	v_add_nc_u32_e32 v11, v11, v26
	ds_bpermute_b32 v11, v24, v11
	s_waitcnt lgkmcnt(0)
	v_add_nc_u32_e32 v7, v11, v7
	s_delay_alu instid0(VALU_DEP_1) | instskip(NEXT) | instid1(VALU_DEP_1)
	v_cndmask_b32_e64 v6, v7, v6, s2
	v_add_nc_u32_e32 v7, v6, v8
	s_delay_alu instid0(VALU_DEP_1) | instskip(NEXT) | instid1(VALU_DEP_1)
	v_add_nc_u32_e32 v8, v7, v9
	v_add_nc_u32_e32 v9, v8, v10
	s_delay_alu instid0(VALU_DEP_1) | instskip(NEXT) | instid1(VALU_DEP_1)
	v_add_nc_u32_e32 v10, v9, v22
	;; [unrolled: 3-line block ×3, first 2 shown]
	v_add_nc_u32_e32 v23, v22, v29
	ds_store_2addr_b32 v25, v6, v7 offset1:1
	ds_store_2addr_b32 v25, v8, v9 offset0:2 offset1:3
	ds_store_2addr_b32 v25, v10, v11 offset0:4 offset1:5
	;; [unrolled: 1-line block ×3, first 2 shown]
	v_add_nc_u32_e32 v24, v23, v30
	s_delay_alu instid0(VALU_DEP_1) | instskip(NEXT) | instid1(VALU_DEP_1)
	v_add_nc_u32_e32 v26, v24, v31
	v_add_nc_u32_e32 v28, v26, v32
	s_delay_alu instid0(VALU_DEP_1) | instskip(NEXT) | instid1(VALU_DEP_1)
	v_add_nc_u32_e32 v29, v28, v33
	;; [unrolled: 3-line block ×3, first 2 shown]
	v_add_nc_u32_e32 v32, v31, v36
	s_delay_alu instid0(VALU_DEP_1)
	v_add_nc_u32_e32 v33, v32, v37
	ds_store_2addr_b32 v25, v24, v26 offset0:8 offset1:9
	ds_store_2addr_b32 v25, v28, v29 offset0:10 offset1:11
	ds_store_2addr_b32 v25, v30, v31 offset0:12 offset1:13
	ds_store_2addr_b32 v25, v32, v33 offset0:14 offset1:15
	v_add_nc_u32_e32 v34, v33, v38
	s_delay_alu instid0(VALU_DEP_1) | instskip(NEXT) | instid1(VALU_DEP_1)
	v_add_nc_u32_e32 v35, v34, v39
	v_add_nc_u32_e32 v36, v35, v43
	s_delay_alu instid0(VALU_DEP_1) | instskip(NEXT) | instid1(VALU_DEP_1)
	v_add_nc_u32_e32 v37, v36, v44
	;; [unrolled: 3-line block ×7, first 2 shown]
	v_add_nc_u32_e32 v6, v50, v55
	s_delay_alu instid0(VALU_DEP_1)
	v_add_nc_u32_e32 v7, v6, v56
	ds_store_2addr_b32 v25, v34, v35 offset0:16 offset1:17
	ds_store_2addr_b32 v25, v36, v37 offset0:18 offset1:19
	;; [unrolled: 1-line block ×8, first 2 shown]
.LBB12_27:
	s_or_b32 exec_lo, exec_lo, s8
	v_add_nc_u32_e32 v6, -1, v40
	v_add_nc_u32_e32 v29, 0x280, v3
	v_dual_mov_b32 v3, 0 :: v_dual_add_nc_u32 v28, 0x280, v2
	v_mov_b32_e32 v2, 0
	s_delay_alu instid0(VALU_DEP_4)
	v_lshrrev_b32_e32 v7, 5, v6
	v_add_nc_u32_e32 v30, 0x280, v5
	s_waitcnt lgkmcnt(0)
	s_barrier
	buffer_gl0_inv
	v_add_nc_u32_e32 v6, v7, v6
	s_delay_alu instid0(VALU_DEP_1)
	v_lshl_add_u32 v31, v6, 2, 0x280
	s_and_saveexec_b32 s8, s3
	s_cbranch_execz .LBB12_29
; %bb.28:
	ds_load_b32 v3, v31
.LBB12_29:
	s_or_b32 exec_lo, exec_lo, s8
	v_add_nc_u32_e32 v26, 0x237c, v4
	s_waitcnt lgkmcnt(0)
	v_add_nc_u32_e32 v0, v3, v0
	s_barrier
	buffer_gl0_inv
	v_mov_b32_e32 v3, v26
	v_add_nc_u32_e32 v1, v0, v1
	s_lshl_b32 s36, s22, 21
	s_mov_b32 s35, 0
	v_mov_b32_e32 v4, v40
	ds_store_2addr_b32 v30, v0, v1 offset1:1
	s_waitcnt lgkmcnt(0)
	s_barrier
	buffer_gl0_inv
	ds_load_b32 v0, v28
	ds_load_b32 v1, v29 offset:4096
	s_waitcnt lgkmcnt(1)
	flat_store_b32 v[12:13], v0 dlc
	s_waitcnt_vscnt null, 0x0
	s_waitcnt lgkmcnt(1)
	flat_store_b32 v[14:15], v1 dlc
	s_waitcnt_vscnt null, 0x0
	s_waitcnt lgkmcnt(0)
	s_barrier
	buffer_gl0_inv
	ds_load_b32 v0, v2 offset:12
	v_lshlrev_b32_e32 v1, 21, v40
	s_set_inst_prefetch_distance 0x1
	s_branch .LBB12_31
	.p2align	6
.LBB12_30:                              ;   in Loop: Header=BB12_31 Depth=1
	s_or_b32 exec_lo, exec_lo, s8
	v_add_nc_u32_e32 v4, s22, v4
	v_add_nc_u32_e32 v3, s23, v3
	;; [unrolled: 1-line block ×3, first 2 shown]
	s_delay_alu instid0(VALU_DEP_3) | instskip(SKIP_1) | instid1(SALU_CYCLE_1)
	v_cmp_lt_u32_e32 vcc_lo, 0x7ff, v4
	s_or_b32 s35, vcc_lo, s35
	s_and_not1_b32 exec_lo, exec_lo, s35
	s_cbranch_execz .LBB12_35
.LBB12_31:                              ; =>This Inner Loop Header: Depth=1
	v_mov_b32_e32 v5, 0
	s_mov_b32 s8, exec_lo
	v_cmpx_ne_u32_e32 0, v4
	s_cbranch_execz .LBB12_33
; %bb.32:                               ;   in Loop: Header=BB12_31 Depth=1
	ds_load_b32 v5, v3
.LBB12_33:                              ;   in Loop: Header=BB12_31 Depth=1
	s_or_b32 exec_lo, exec_lo, s8
	ds_load_b32 v6, v3 offset:4
	s_waitcnt lgkmcnt(1)
	v_cmp_gt_i32_e32 vcc_lo, s24, v5
	s_waitcnt lgkmcnt(0)
	v_cmp_le_i32_e64 s8, s24, v6
	s_delay_alu instid0(VALU_DEP_1) | instskip(NEXT) | instid1(SALU_CYCLE_1)
	s_and_b32 s37, vcc_lo, s8
	s_and_saveexec_b32 s8, s37
	s_cbranch_execz .LBB12_30
; %bb.34:                               ;   in Loop: Header=BB12_31 Depth=1
	v_sub_nc_u32_e32 v7, s24, v5
	v_sub_nc_u32_e32 v8, v6, v5
	v_or_b32_e32 v0, v0, v1
	ds_store_b64 v2, v[7:8]
	ds_store_b32 v2, v0 offset:12
	s_branch .LBB12_30
.LBB12_35:
	s_set_inst_prefetch_distance 0x2
	s_or_b32 exec_lo, exec_lo, s35
	s_and_saveexec_b32 s8, s2
	s_cbranch_execz .LBB12_37
; %bb.36:
	v_mov_b32_e32 v0, 0
	ds_load_b32 v1, v0 offset:4
	s_waitcnt lgkmcnt(0)
	ds_store_b32 v0, v1 offset:8
.LBB12_37:
	s_or_b32 exec_lo, exec_lo, s8
	v_mov_b32_e32 v0, 0
	s_waitcnt lgkmcnt(0)
	s_barrier
	buffer_gl0_inv
	s_mov_b32 s35, 0
	ds_load_b64 v[22:23], v0
	s_waitcnt lgkmcnt(0)
	v_cmp_eq_u32_e32 vcc_lo, v23, v22
	s_cbranch_vccnz .LBB12_178
; %bb.38:
	v_dual_mov_b32 v1, v27 :: v_dual_mov_b32 v2, v40
	s_mov_b32 s8, 0
.LBB12_39:                              ; =>This Inner Loop Header: Depth=1
	s_delay_alu instid0(VALU_DEP_1) | instskip(SKIP_4) | instid1(SALU_CYCLE_1)
	v_add_nc_u32_e32 v2, s22, v2
	ds_store_b32 v1, v0
	v_add_nc_u32_e32 v1, s23, v1
	v_cmp_lt_u32_e32 vcc_lo, 0x7ff, v2
	s_or_b32 s8, vcc_lo, s8
	s_and_not1_b32 exec_lo, exec_lo, s8
	s_cbranch_execnz .LBB12_39
; %bb.40:
	s_or_b32 exec_lo, exec_lo, s8
	s_and_saveexec_b32 s8, s2
	s_cbranch_execz .LBB12_42
; %bb.41:
	v_mov_b32_e32 v0, 0
	ds_store_b32 v0, v0 offset:128
.LBB12_42:
	s_or_b32 exec_lo, exec_lo, s8
	v_dual_mov_b32 v0, 0 :: v_dual_mov_b32 v23, v40
	s_waitcnt lgkmcnt(0)
	s_barrier
	buffer_gl0_inv
	ds_load_b32 v32, v0 offset:12
	s_and_saveexec_b32 s8, s7
	s_cbranch_execz .LBB12_78
; %bb.43:
	v_dual_mov_b32 v33, 1 :: v_dual_mov_b32 v8, v16
	v_mov_b32_e32 v9, v17
	v_dual_mov_b32 v23, v40 :: v_dual_mov_b32 v24, v41
	s_mov_b32 s35, 0
	s_branch .LBB12_45
.LBB12_44:                              ;   in Loop: Header=BB12_45 Depth=1
	s_or_b32 exec_lo, exec_lo, s36
	v_add_nc_u32_e32 v23, s23, v23
	s_delay_alu instid0(VALU_DEP_1) | instskip(SKIP_1) | instid1(VALU_DEP_2)
	v_ashrrev_i32_e32 v24, 31, v23
	v_add_co_u32 v8, vcc_lo, s29, v23
	v_add_co_ci_u32_e32 v9, vcc_lo, 0, v24, vcc_lo
	s_delay_alu instid0(VALU_DEP_1) | instskip(SKIP_1) | instid1(SALU_CYCLE_1)
	v_cmp_le_u64_e32 vcc_lo, s[16:17], v[8:9]
	s_or_b32 s35, vcc_lo, s35
	s_and_not1_b32 exec_lo, exec_lo, s35
	s_cbranch_execz .LBB12_77
.LBB12_45:                              ; =>This Inner Loop Header: Depth=1
	s_delay_alu instid0(VALU_DEP_1) | instskip(SKIP_1) | instid1(VALU_DEP_1)
	v_lshlrev_b64 v[10:11], 4, v[23:24]
	s_mov_b32 s36, exec_lo
	v_add_co_u32 v0, vcc_lo, s9, v10
	s_delay_alu instid0(VALU_DEP_2)
	v_add_co_ci_u32_e32 v1, vcc_lo, s28, v11, vcc_lo
	v_add_co_u32 v4, vcc_lo, s30, v10
	v_add_co_ci_u32_e32 v5, vcc_lo, s31, v11, vcc_lo
	s_clause 0x1
	global_load_b128 v[0:3], v[0:1], off
	global_load_b128 v[4:7], v[4:5], off
	s_waitcnt vmcnt(1)
	v_cmp_gt_i32_e32 vcc_lo, 0, v0
	v_cndmask_b32_e64 v24, 0x7fffffff, 0, vcc_lo
	s_delay_alu instid0(VALU_DEP_1) | instskip(NEXT) | instid1(VALU_DEP_1)
	v_xor_b32_e32 v0, v24, v0
	v_and_b32_e32 v24, 0xffe00000, v0
	s_waitcnt lgkmcnt(0)
	s_delay_alu instid0(VALU_DEP_1)
	v_cmpx_eq_u32_e64 v24, v32
	s_cbranch_execz .LBB12_47
; %bb.46:                               ;   in Loop: Header=BB12_45 Depth=1
	v_lshrrev_b32_e32 v0, 8, v0
	s_delay_alu instid0(VALU_DEP_1)
	v_and_b32_e32 v0, 0x1ffc, v0
	ds_add_u32 v0, v33 offset:9088
.LBB12_47:                              ;   in Loop: Header=BB12_45 Depth=1
	s_or_b32 exec_lo, exec_lo, s36
	v_cmp_gt_i32_e32 vcc_lo, 0, v1
	s_mov_b32 s36, exec_lo
	v_cndmask_b32_e64 v0, 0x7fffffff, 0, vcc_lo
	s_delay_alu instid0(VALU_DEP_1) | instskip(NEXT) | instid1(VALU_DEP_1)
	v_xor_b32_e32 v0, v0, v1
	v_and_b32_e32 v1, 0xffe00000, v0
	s_delay_alu instid0(VALU_DEP_1)
	v_cmpx_eq_u32_e64 v1, v32
	s_cbranch_execz .LBB12_49
; %bb.48:                               ;   in Loop: Header=BB12_45 Depth=1
	v_lshrrev_b32_e32 v0, 8, v0
	s_delay_alu instid0(VALU_DEP_1)
	v_and_b32_e32 v0, 0x1ffc, v0
	ds_add_u32 v0, v33 offset:9088
.LBB12_49:                              ;   in Loop: Header=BB12_45 Depth=1
	s_or_b32 exec_lo, exec_lo, s36
	v_cmp_gt_i32_e32 vcc_lo, 0, v2
	s_mov_b32 s36, exec_lo
	v_cndmask_b32_e64 v0, 0x7fffffff, 0, vcc_lo
	s_delay_alu instid0(VALU_DEP_1) | instskip(NEXT) | instid1(VALU_DEP_1)
	v_xor_b32_e32 v0, v0, v2
	v_and_b32_e32 v1, 0xffe00000, v0
	;; [unrolled: 16-line block ×3, first 2 shown]
	s_delay_alu instid0(VALU_DEP_1)
	v_cmpx_eq_u32_e64 v1, v32
	s_cbranch_execz .LBB12_53
; %bb.52:                               ;   in Loop: Header=BB12_45 Depth=1
	v_lshrrev_b32_e32 v0, 8, v0
	s_delay_alu instid0(VALU_DEP_1)
	v_and_b32_e32 v0, 0x1ffc, v0
	ds_add_u32 v0, v33 offset:9088
.LBB12_53:                              ;   in Loop: Header=BB12_45 Depth=1
	s_or_b32 exec_lo, exec_lo, s36
	v_lshlrev_b64 v[0:1], 4, v[8:9]
	v_add_co_u32 v2, vcc_lo, s33, v10
	v_add_co_ci_u32_e32 v3, vcc_lo, s34, v11, vcc_lo
	s_mov_b32 s36, exec_lo
	s_delay_alu instid0(VALU_DEP_3) | instskip(NEXT) | instid1(VALU_DEP_4)
	v_add_co_u32 v0, vcc_lo, s9, v0
	v_add_co_ci_u32_e32 v1, vcc_lo, s28, v1, vcc_lo
	s_waitcnt vmcnt(0)
	v_cmp_gt_i32_e32 vcc_lo, 0, v4
	s_clause 0x1
	global_load_b128 v[8:11], v[2:3], off
	global_load_b128 v[0:3], v[0:1], off
	v_cndmask_b32_e64 v24, 0x7fffffff, 0, vcc_lo
	s_delay_alu instid0(VALU_DEP_1) | instskip(NEXT) | instid1(VALU_DEP_1)
	v_xor_b32_e32 v4, v24, v4
	v_and_b32_e32 v24, 0xffe00000, v4
	s_delay_alu instid0(VALU_DEP_1)
	v_cmpx_eq_u32_e64 v24, v32
	s_cbranch_execz .LBB12_55
; %bb.54:                               ;   in Loop: Header=BB12_45 Depth=1
	v_lshrrev_b32_e32 v4, 8, v4
	s_delay_alu instid0(VALU_DEP_1)
	v_and_b32_e32 v4, 0x1ffc, v4
	ds_add_u32 v4, v33 offset:9088
.LBB12_55:                              ;   in Loop: Header=BB12_45 Depth=1
	s_or_b32 exec_lo, exec_lo, s36
	v_cmp_gt_i32_e32 vcc_lo, 0, v5
	s_mov_b32 s36, exec_lo
	v_cndmask_b32_e64 v4, 0x7fffffff, 0, vcc_lo
	s_delay_alu instid0(VALU_DEP_1) | instskip(NEXT) | instid1(VALU_DEP_1)
	v_xor_b32_e32 v4, v4, v5
	v_and_b32_e32 v5, 0xffe00000, v4
	s_delay_alu instid0(VALU_DEP_1)
	v_cmpx_eq_u32_e64 v5, v32
	s_cbranch_execz .LBB12_57
; %bb.56:                               ;   in Loop: Header=BB12_45 Depth=1
	v_lshrrev_b32_e32 v4, 8, v4
	s_delay_alu instid0(VALU_DEP_1)
	v_and_b32_e32 v4, 0x1ffc, v4
	ds_add_u32 v4, v33 offset:9088
.LBB12_57:                              ;   in Loop: Header=BB12_45 Depth=1
	s_or_b32 exec_lo, exec_lo, s36
	v_cmp_gt_i32_e32 vcc_lo, 0, v6
	s_mov_b32 s36, exec_lo
	;; [unrolled: 16-line block ×3, first 2 shown]
	v_cndmask_b32_e64 v4, 0x7fffffff, 0, vcc_lo
	s_delay_alu instid0(VALU_DEP_1) | instskip(NEXT) | instid1(VALU_DEP_1)
	v_xor_b32_e32 v4, v4, v7
	v_and_b32_e32 v5, 0xffe00000, v4
	s_delay_alu instid0(VALU_DEP_1)
	v_cmpx_eq_u32_e64 v5, v32
	s_cbranch_execz .LBB12_61
; %bb.60:                               ;   in Loop: Header=BB12_45 Depth=1
	v_lshrrev_b32_e32 v4, 8, v4
	s_delay_alu instid0(VALU_DEP_1)
	v_and_b32_e32 v4, 0x1ffc, v4
	ds_add_u32 v4, v33 offset:9088
.LBB12_61:                              ;   in Loop: Header=BB12_45 Depth=1
	s_or_b32 exec_lo, exec_lo, s36
	s_waitcnt vmcnt(1)
	v_cmp_gt_i32_e32 vcc_lo, 0, v8
	s_mov_b32 s36, exec_lo
	v_cndmask_b32_e64 v4, 0x7fffffff, 0, vcc_lo
	s_delay_alu instid0(VALU_DEP_1) | instskip(NEXT) | instid1(VALU_DEP_1)
	v_xor_b32_e32 v4, v4, v8
	v_and_b32_e32 v5, 0xffe00000, v4
	s_delay_alu instid0(VALU_DEP_1)
	v_cmpx_eq_u32_e64 v5, v32
	s_cbranch_execz .LBB12_63
; %bb.62:                               ;   in Loop: Header=BB12_45 Depth=1
	v_lshrrev_b32_e32 v4, 8, v4
	s_delay_alu instid0(VALU_DEP_1)
	v_and_b32_e32 v4, 0x1ffc, v4
	ds_add_u32 v4, v33 offset:9088
.LBB12_63:                              ;   in Loop: Header=BB12_45 Depth=1
	s_or_b32 exec_lo, exec_lo, s36
	v_cmp_gt_i32_e32 vcc_lo, 0, v9
	s_mov_b32 s36, exec_lo
	v_cndmask_b32_e64 v4, 0x7fffffff, 0, vcc_lo
	s_delay_alu instid0(VALU_DEP_1) | instskip(NEXT) | instid1(VALU_DEP_1)
	v_xor_b32_e32 v4, v4, v9
	v_and_b32_e32 v5, 0xffe00000, v4
	s_delay_alu instid0(VALU_DEP_1)
	v_cmpx_eq_u32_e64 v5, v32
	s_cbranch_execz .LBB12_65
; %bb.64:                               ;   in Loop: Header=BB12_45 Depth=1
	v_lshrrev_b32_e32 v4, 8, v4
	s_delay_alu instid0(VALU_DEP_1)
	v_and_b32_e32 v4, 0x1ffc, v4
	ds_add_u32 v4, v33 offset:9088
.LBB12_65:                              ;   in Loop: Header=BB12_45 Depth=1
	s_or_b32 exec_lo, exec_lo, s36
	;; [unrolled: 16-line block ×4, first 2 shown]
	s_waitcnt vmcnt(0)
	v_cmp_gt_i32_e32 vcc_lo, 0, v0
	s_mov_b32 s36, exec_lo
	v_cndmask_b32_e64 v4, 0x7fffffff, 0, vcc_lo
	s_delay_alu instid0(VALU_DEP_1) | instskip(NEXT) | instid1(VALU_DEP_1)
	v_xor_b32_e32 v0, v4, v0
	v_and_b32_e32 v4, 0xffe00000, v0
	s_delay_alu instid0(VALU_DEP_1)
	v_cmpx_eq_u32_e64 v4, v32
	s_cbranch_execz .LBB12_71
; %bb.70:                               ;   in Loop: Header=BB12_45 Depth=1
	v_lshrrev_b32_e32 v0, 8, v0
	s_delay_alu instid0(VALU_DEP_1)
	v_and_b32_e32 v0, 0x1ffc, v0
	ds_add_u32 v0, v33 offset:9088
.LBB12_71:                              ;   in Loop: Header=BB12_45 Depth=1
	s_or_b32 exec_lo, exec_lo, s36
	v_cmp_gt_i32_e32 vcc_lo, 0, v1
	s_mov_b32 s36, exec_lo
	v_cndmask_b32_e64 v0, 0x7fffffff, 0, vcc_lo
	s_delay_alu instid0(VALU_DEP_1) | instskip(NEXT) | instid1(VALU_DEP_1)
	v_xor_b32_e32 v0, v0, v1
	v_and_b32_e32 v1, 0xffe00000, v0
	s_delay_alu instid0(VALU_DEP_1)
	v_cmpx_eq_u32_e64 v1, v32
	s_cbranch_execz .LBB12_73
; %bb.72:                               ;   in Loop: Header=BB12_45 Depth=1
	v_lshrrev_b32_e32 v0, 8, v0
	s_delay_alu instid0(VALU_DEP_1)
	v_and_b32_e32 v0, 0x1ffc, v0
	ds_add_u32 v0, v33 offset:9088
.LBB12_73:                              ;   in Loop: Header=BB12_45 Depth=1
	s_or_b32 exec_lo, exec_lo, s36
	v_cmp_gt_i32_e32 vcc_lo, 0, v2
	s_mov_b32 s36, exec_lo
	v_cndmask_b32_e64 v0, 0x7fffffff, 0, vcc_lo
	s_delay_alu instid0(VALU_DEP_1) | instskip(NEXT) | instid1(VALU_DEP_1)
	v_xor_b32_e32 v0, v0, v2
	v_and_b32_e32 v1, 0xffe00000, v0
	s_delay_alu instid0(VALU_DEP_1)
	v_cmpx_eq_u32_e64 v1, v32
	s_cbranch_execz .LBB12_75
; %bb.74:                               ;   in Loop: Header=BB12_45 Depth=1
	v_lshrrev_b32_e32 v0, 8, v0
	s_delay_alu instid0(VALU_DEP_1)
	v_and_b32_e32 v0, 0x1ffc, v0
	ds_add_u32 v0, v33 offset:9088
.LBB12_75:                              ;   in Loop: Header=BB12_45 Depth=1
	s_or_b32 exec_lo, exec_lo, s36
	v_cmp_gt_i32_e32 vcc_lo, 0, v3
	s_mov_b32 s36, exec_lo
	v_cndmask_b32_e64 v0, 0x7fffffff, 0, vcc_lo
	s_delay_alu instid0(VALU_DEP_1) | instskip(NEXT) | instid1(VALU_DEP_1)
	v_xor_b32_e32 v0, v0, v3
	v_and_b32_e32 v1, 0xffe00000, v0
	s_delay_alu instid0(VALU_DEP_1)
	v_cmpx_eq_u32_e64 v1, v32
	s_cbranch_execz .LBB12_44
; %bb.76:                               ;   in Loop: Header=BB12_45 Depth=1
	v_lshrrev_b32_e32 v0, 8, v0
	s_delay_alu instid0(VALU_DEP_1)
	v_and_b32_e32 v0, 0x1ffc, v0
	ds_add_u32 v0, v33 offset:9088
	s_branch .LBB12_44
.LBB12_77:
	s_or_b32 exec_lo, exec_lo, s35
.LBB12_78:
	s_delay_alu instid0(SALU_CYCLE_1) | instskip(NEXT) | instid1(SALU_CYCLE_1)
	s_or_b32 exec_lo, exec_lo, s8
	s_mov_b32 s8, exec_lo
	v_cmpx_gt_i32_e64 s16, v23
	s_cbranch_execz .LBB12_89
; %bb.79:
	v_mov_b32_e32 v4, 1
	s_mov_b32 s35, 0
	s_branch .LBB12_81
.LBB12_80:                              ;   in Loop: Header=BB12_81 Depth=1
	s_or_b32 exec_lo, exec_lo, s36
	v_add_nc_u32_e32 v23, s22, v23
	s_delay_alu instid0(VALU_DEP_1) | instskip(SKIP_1) | instid1(SALU_CYCLE_1)
	v_cmp_le_i32_e32 vcc_lo, s16, v23
	s_or_b32 s35, vcc_lo, s35
	s_and_not1_b32 exec_lo, exec_lo, s35
	s_cbranch_execz .LBB12_89
.LBB12_81:                              ; =>This Inner Loop Header: Depth=1
	v_ashrrev_i32_e32 v24, 31, v23
	s_mov_b32 s36, exec_lo
	s_delay_alu instid0(VALU_DEP_1) | instskip(NEXT) | instid1(VALU_DEP_1)
	v_lshlrev_b64 v[0:1], 4, v[23:24]
	v_add_co_u32 v0, vcc_lo, s9, v0
	s_delay_alu instid0(VALU_DEP_2) | instskip(SKIP_4) | instid1(VALU_DEP_1)
	v_add_co_ci_u32_e32 v1, vcc_lo, s28, v1, vcc_lo
	global_load_b128 v[0:3], v[0:1], off
	s_waitcnt vmcnt(0)
	v_cmp_gt_i32_e32 vcc_lo, 0, v0
	v_cndmask_b32_e64 v5, 0x7fffffff, 0, vcc_lo
	v_xor_b32_e32 v0, v5, v0
	s_delay_alu instid0(VALU_DEP_1) | instskip(SKIP_1) | instid1(VALU_DEP_1)
	v_and_b32_e32 v5, 0xffe00000, v0
	s_waitcnt lgkmcnt(0)
	v_cmpx_eq_u32_e64 v5, v32
	s_cbranch_execz .LBB12_83
; %bb.82:                               ;   in Loop: Header=BB12_81 Depth=1
	v_lshrrev_b32_e32 v0, 8, v0
	s_delay_alu instid0(VALU_DEP_1)
	v_and_b32_e32 v0, 0x1ffc, v0
	ds_add_u32 v0, v4 offset:9088
.LBB12_83:                              ;   in Loop: Header=BB12_81 Depth=1
	s_or_b32 exec_lo, exec_lo, s36
	v_cmp_gt_i32_e32 vcc_lo, 0, v1
	s_mov_b32 s36, exec_lo
	v_cndmask_b32_e64 v0, 0x7fffffff, 0, vcc_lo
	s_delay_alu instid0(VALU_DEP_1) | instskip(NEXT) | instid1(VALU_DEP_1)
	v_xor_b32_e32 v0, v0, v1
	v_and_b32_e32 v1, 0xffe00000, v0
	s_delay_alu instid0(VALU_DEP_1)
	v_cmpx_eq_u32_e64 v1, v32
	s_cbranch_execz .LBB12_85
; %bb.84:                               ;   in Loop: Header=BB12_81 Depth=1
	v_lshrrev_b32_e32 v0, 8, v0
	s_delay_alu instid0(VALU_DEP_1)
	v_and_b32_e32 v0, 0x1ffc, v0
	ds_add_u32 v0, v4 offset:9088
.LBB12_85:                              ;   in Loop: Header=BB12_81 Depth=1
	s_or_b32 exec_lo, exec_lo, s36
	v_cmp_gt_i32_e32 vcc_lo, 0, v2
	s_mov_b32 s36, exec_lo
	v_cndmask_b32_e64 v0, 0x7fffffff, 0, vcc_lo
	s_delay_alu instid0(VALU_DEP_1) | instskip(NEXT) | instid1(VALU_DEP_1)
	v_xor_b32_e32 v0, v0, v2
	v_and_b32_e32 v1, 0xffe00000, v0
	s_delay_alu instid0(VALU_DEP_1)
	v_cmpx_eq_u32_e64 v1, v32
	s_cbranch_execz .LBB12_87
; %bb.86:                               ;   in Loop: Header=BB12_81 Depth=1
	v_lshrrev_b32_e32 v0, 8, v0
	s_delay_alu instid0(VALU_DEP_1)
	v_and_b32_e32 v0, 0x1ffc, v0
	ds_add_u32 v0, v4 offset:9088
.LBB12_87:                              ;   in Loop: Header=BB12_81 Depth=1
	s_or_b32 exec_lo, exec_lo, s36
	v_cmp_gt_i32_e32 vcc_lo, 0, v3
	s_mov_b32 s36, exec_lo
	v_cndmask_b32_e64 v0, 0x7fffffff, 0, vcc_lo
	s_delay_alu instid0(VALU_DEP_1) | instskip(NEXT) | instid1(VALU_DEP_1)
	v_xor_b32_e32 v0, v0, v3
	v_and_b32_e32 v1, 0xffe00000, v0
	s_delay_alu instid0(VALU_DEP_1)
	v_cmpx_eq_u32_e64 v1, v32
	s_cbranch_execz .LBB12_80
; %bb.88:                               ;   in Loop: Header=BB12_81 Depth=1
	v_lshrrev_b32_e32 v0, 8, v0
	s_delay_alu instid0(VALU_DEP_1)
	v_and_b32_e32 v0, 0x1ffc, v0
	ds_add_u32 v0, v4 offset:9088
	s_branch .LBB12_80
.LBB12_89:
	s_or_b32 exec_lo, exec_lo, s8
	s_and_saveexec_b32 s8, s4
	s_cbranch_execz .LBB12_92
; %bb.90:
	global_load_b32 v0, v[18:19], off
	s_waitcnt vmcnt(0)
	v_cmp_gt_i32_e32 vcc_lo, 0, v0
	v_cndmask_b32_e64 v1, 0x7fffffff, 0, vcc_lo
	s_delay_alu instid0(VALU_DEP_1) | instskip(NEXT) | instid1(VALU_DEP_1)
	v_xor_b32_e32 v0, v1, v0
	v_and_b32_e32 v1, 0xffe00000, v0
	s_waitcnt lgkmcnt(0)
	s_delay_alu instid0(VALU_DEP_1)
	v_cmp_eq_u32_e32 vcc_lo, v1, v32
	s_and_b32 exec_lo, exec_lo, vcc_lo
	s_cbranch_execz .LBB12_92
; %bb.91:
	v_lshrrev_b32_e32 v0, 8, v0
	s_delay_alu instid0(VALU_DEP_1)
	v_dual_mov_b32 v1, 1 :: v_dual_and_b32 v0, 0x1ffc, v0
	ds_add_u32 v0, v1 offset:9088
.LBB12_92:
	s_or_b32 exec_lo, exec_lo, s8
	s_and_saveexec_b32 s8, s5
	s_cbranch_execz .LBB12_95
; %bb.93:
	global_load_b32 v0, v[20:21], off
	s_waitcnt vmcnt(0)
	v_cmp_gt_i32_e32 vcc_lo, 0, v0
	v_cndmask_b32_e64 v1, 0x7fffffff, 0, vcc_lo
	s_delay_alu instid0(VALU_DEP_1) | instskip(NEXT) | instid1(VALU_DEP_1)
	v_xor_b32_e32 v0, v1, v0
	v_and_b32_e32 v1, 0xffe00000, v0
	s_waitcnt lgkmcnt(0)
	s_delay_alu instid0(VALU_DEP_1)
	v_cmp_eq_u32_e32 vcc_lo, v1, v32
	s_and_b32 exec_lo, exec_lo, vcc_lo
	s_cbranch_execz .LBB12_95
; %bb.94:
	v_lshrrev_b32_e32 v0, 8, v0
	s_delay_alu instid0(VALU_DEP_1)
	v_dual_mov_b32 v1, 1 :: v_dual_and_b32 v0, 0x1ffc, v0
	ds_add_u32 v0, v1 offset:9088
.LBB12_95:
	s_or_b32 exec_lo, exec_lo, s8
	s_waitcnt lgkmcnt(0)
	s_barrier
	buffer_gl0_inv
	flat_load_b32 v0, v[12:13] glc dlc
	s_waitcnt vmcnt(0)
	flat_load_b32 v1, v[14:15] glc dlc
	s_waitcnt vmcnt(0) lgkmcnt(1)
	ds_store_b32 v28, v0
	s_waitcnt lgkmcnt(1)
	ds_store_b32 v29, v1 offset:4096
	s_waitcnt lgkmcnt(0)
	s_barrier
	buffer_gl0_inv
	ds_load_2addr_b32 v[0:1], v30 offset1:1
	s_waitcnt lgkmcnt(0)
	s_barrier
	buffer_gl0_inv
	v_add_nc_u32_e32 v2, v1, v0
	ds_store_b32 v28, v2
	s_waitcnt lgkmcnt(0)
	s_barrier
	buffer_gl0_inv
	s_and_saveexec_b32 s8, s6
	s_cbranch_execz .LBB12_97
; %bb.96:
	ds_load_2addr_b32 v[3:4], v25 offset1:1
	ds_load_2addr_b32 v[5:6], v25 offset0:2 offset1:3
	ds_load_2addr_b32 v[7:8], v25 offset0:4 offset1:5
	;; [unrolled: 1-line block ×15, first 2 shown]
	v_mbcnt_lo_u32_b32 v57, -1, 0
	s_delay_alu instid0(VALU_DEP_1) | instskip(SKIP_3) | instid1(VALU_DEP_1)
	v_bfe_i32 v60, v57, 4, 1
	s_waitcnt lgkmcnt(15)
	v_add_nc_u32_e32 v11, v4, v3
	s_waitcnt lgkmcnt(14)
	v_add3_u32 v11, v11, v5, v6
	s_waitcnt lgkmcnt(13)
	s_delay_alu instid0(VALU_DEP_1) | instskip(SKIP_1) | instid1(VALU_DEP_1)
	v_add3_u32 v11, v11, v7, v8
	s_waitcnt lgkmcnt(12)
	v_add3_u32 v11, v11, v9, v10
	s_waitcnt lgkmcnt(11)
	s_delay_alu instid0(VALU_DEP_1) | instskip(SKIP_1) | instid1(VALU_DEP_1)
	v_add3_u32 v11, v11, v23, v24
	;; [unrolled: 5-line block ×7, first 2 shown]
	s_waitcnt lgkmcnt(0)
	v_add3_u32 v11, v11, v55, v56
	s_delay_alu instid0(VALU_DEP_1) | instskip(SKIP_1) | instid1(VALU_DEP_1)
	v_mov_b32_dpp v59, v11 row_shr:1 row_mask:0xf bank_mask:0xf
	v_and_b32_e32 v58, 15, v57
	v_cmp_ne_u32_e32 vcc_lo, 0, v58
	s_delay_alu instid0(VALU_DEP_3) | instskip(SKIP_1) | instid1(VALU_DEP_2)
	v_cndmask_b32_e32 v59, 0, v59, vcc_lo
	v_cmp_lt_u32_e32 vcc_lo, 1, v58
	v_add_nc_u32_e32 v11, v59, v11
	s_delay_alu instid0(VALU_DEP_1) | instskip(NEXT) | instid1(VALU_DEP_1)
	v_mov_b32_dpp v59, v11 row_shr:2 row_mask:0xf bank_mask:0xf
	v_cndmask_b32_e32 v59, 0, v59, vcc_lo
	v_cmp_lt_u32_e32 vcc_lo, 3, v58
	s_delay_alu instid0(VALU_DEP_2) | instskip(NEXT) | instid1(VALU_DEP_1)
	v_add_nc_u32_e32 v11, v11, v59
	v_mov_b32_dpp v59, v11 row_shr:4 row_mask:0xf bank_mask:0xf
	s_delay_alu instid0(VALU_DEP_1) | instskip(SKIP_1) | instid1(VALU_DEP_2)
	v_cndmask_b32_e32 v59, 0, v59, vcc_lo
	v_cmp_lt_u32_e32 vcc_lo, 7, v58
	v_add_nc_u32_e32 v11, v11, v59
	s_delay_alu instid0(VALU_DEP_1) | instskip(NEXT) | instid1(VALU_DEP_1)
	v_mov_b32_dpp v59, v11 row_shr:8 row_mask:0xf bank_mask:0xf
	v_dual_cndmask_b32 v58, 0, v59 :: v_dual_add_nc_u32 v59, -1, v57
	s_delay_alu instid0(VALU_DEP_1) | instskip(NEXT) | instid1(VALU_DEP_2)
	v_add_nc_u32_e32 v11, v11, v58
	v_cmp_gt_i32_e32 vcc_lo, 0, v59
	ds_swizzle_b32 v58, v11 offset:swizzle(BROADCAST,32,15)
	v_cndmask_b32_e32 v57, v59, v57, vcc_lo
	s_delay_alu instid0(VALU_DEP_1) | instskip(SKIP_2) | instid1(VALU_DEP_1)
	v_lshlrev_b32_e32 v57, 2, v57
	s_waitcnt lgkmcnt(0)
	v_and_b32_e32 v58, v60, v58
	v_add_nc_u32_e32 v11, v11, v58
	ds_bpermute_b32 v11, v57, v11
	s_waitcnt lgkmcnt(0)
	v_add_nc_u32_e32 v3, v11, v3
	s_delay_alu instid0(VALU_DEP_1) | instskip(NEXT) | instid1(VALU_DEP_1)
	v_cndmask_b32_e64 v2, v3, v2, s2
	v_add_nc_u32_e32 v3, v2, v4
	s_delay_alu instid0(VALU_DEP_1) | instskip(NEXT) | instid1(VALU_DEP_1)
	v_add_nc_u32_e32 v4, v3, v5
	v_add_nc_u32_e32 v5, v4, v6
	s_delay_alu instid0(VALU_DEP_1) | instskip(NEXT) | instid1(VALU_DEP_1)
	v_add_nc_u32_e32 v6, v5, v7
	;; [unrolled: 3-line block ×3, first 2 shown]
	v_add_nc_u32_e32 v9, v8, v10
	ds_store_2addr_b32 v25, v2, v3 offset1:1
	ds_store_2addr_b32 v25, v4, v5 offset0:2 offset1:3
	ds_store_2addr_b32 v25, v6, v7 offset0:4 offset1:5
	;; [unrolled: 1-line block ×3, first 2 shown]
	v_add_nc_u32_e32 v10, v9, v23
	s_delay_alu instid0(VALU_DEP_1) | instskip(NEXT) | instid1(VALU_DEP_1)
	v_add_nc_u32_e32 v11, v10, v24
	v_add_nc_u32_e32 v23, v11, v32
	s_delay_alu instid0(VALU_DEP_1) | instskip(NEXT) | instid1(VALU_DEP_1)
	v_add_nc_u32_e32 v24, v23, v33
	;; [unrolled: 3-line block ×3, first 2 shown]
	v_add_nc_u32_e32 v34, v33, v36
	s_delay_alu instid0(VALU_DEP_1)
	v_add_nc_u32_e32 v35, v34, v37
	ds_store_2addr_b32 v25, v10, v11 offset0:8 offset1:9
	ds_store_2addr_b32 v25, v23, v24 offset0:10 offset1:11
	;; [unrolled: 1-line block ×4, first 2 shown]
	v_add_nc_u32_e32 v36, v35, v38
	s_delay_alu instid0(VALU_DEP_1) | instskip(NEXT) | instid1(VALU_DEP_1)
	v_add_nc_u32_e32 v37, v36, v39
	v_add_nc_u32_e32 v38, v37, v43
	s_delay_alu instid0(VALU_DEP_1) | instskip(NEXT) | instid1(VALU_DEP_1)
	v_add_nc_u32_e32 v39, v38, v44
	;; [unrolled: 3-line block ×7, first 2 shown]
	v_add_nc_u32_e32 v2, v52, v55
	s_delay_alu instid0(VALU_DEP_1)
	v_add_nc_u32_e32 v3, v2, v56
	ds_store_2addr_b32 v25, v36, v37 offset0:16 offset1:17
	ds_store_2addr_b32 v25, v38, v39 offset0:18 offset1:19
	;; [unrolled: 1-line block ×8, first 2 shown]
.LBB12_97:
	s_or_b32 exec_lo, exec_lo, s8
	v_dual_mov_b32 v2, 0 :: v_dual_mov_b32 v3, 0
	s_waitcnt lgkmcnt(0)
	s_barrier
	buffer_gl0_inv
	s_and_saveexec_b32 s8, s3
	s_cbranch_execz .LBB12_99
; %bb.98:
	ds_load_b32 v3, v31
.LBB12_99:
	s_or_b32 exec_lo, exec_lo, s8
	s_waitcnt lgkmcnt(0)
	v_dual_mov_b32 v3, v26 :: v_dual_add_nc_u32 v0, v3, v0
	s_barrier
	buffer_gl0_inv
	v_add_nc_u32_e32 v1, v0, v1
	s_lshl_b32 s36, s22, 10
	s_mov_b32 s35, 0
	v_mov_b32_e32 v4, v40
	ds_store_2addr_b32 v30, v0, v1 offset1:1
	s_waitcnt lgkmcnt(0)
	s_barrier
	buffer_gl0_inv
	ds_load_b32 v0, v28
	ds_load_b32 v1, v29 offset:4096
	s_waitcnt lgkmcnt(1)
	flat_store_b32 v[12:13], v0 dlc
	s_waitcnt_vscnt null, 0x0
	s_waitcnt lgkmcnt(1)
	flat_store_b32 v[14:15], v1 dlc
	s_waitcnt_vscnt null, 0x0
	s_waitcnt lgkmcnt(0)
	s_barrier
	buffer_gl0_inv
	ds_load_b32 v0, v2 offset:12
	v_lshlrev_b32_e32 v1, 10, v40
	s_set_inst_prefetch_distance 0x1
	s_branch .LBB12_101
	.p2align	6
.LBB12_100:                             ;   in Loop: Header=BB12_101 Depth=1
	s_or_b32 exec_lo, exec_lo, s8
	v_add_nc_u32_e32 v4, s22, v4
	v_add_nc_u32_e32 v1, s36, v1
	v_add_nc_u32_e32 v3, s23, v3
	s_delay_alu instid0(VALU_DEP_3) | instskip(SKIP_1) | instid1(SALU_CYCLE_1)
	v_cmp_lt_u32_e32 vcc_lo, 0x7ff, v4
	s_or_b32 s35, vcc_lo, s35
	s_and_not1_b32 exec_lo, exec_lo, s35
	s_cbranch_execz .LBB12_105
.LBB12_101:                             ; =>This Inner Loop Header: Depth=1
	v_mov_b32_e32 v5, 0
	s_mov_b32 s8, exec_lo
	v_cmpx_ne_u32_e32 0, v4
	s_cbranch_execz .LBB12_103
; %bb.102:                              ;   in Loop: Header=BB12_101 Depth=1
	ds_load_b32 v5, v3
.LBB12_103:                             ;   in Loop: Header=BB12_101 Depth=1
	s_or_b32 exec_lo, exec_lo, s8
	ds_load_b32 v6, v3 offset:4
	s_waitcnt lgkmcnt(1)
	v_cmp_gt_i32_e32 vcc_lo, v22, v5
	s_waitcnt lgkmcnt(0)
	v_cmp_ge_i32_e64 s8, v6, v22
	s_delay_alu instid0(VALU_DEP_1) | instskip(NEXT) | instid1(SALU_CYCLE_1)
	s_and_b32 s37, vcc_lo, s8
	s_and_saveexec_b32 s8, s37
	s_cbranch_execz .LBB12_100
; %bb.104:                              ;   in Loop: Header=BB12_101 Depth=1
	v_sub_nc_u32_e32 v7, v22, v5
	v_sub_nc_u32_e32 v8, v6, v5
	v_or_b32_e32 v0, v0, v1
	ds_store_b64 v2, v[7:8]
	ds_store_b32 v2, v0 offset:12
	s_branch .LBB12_100
.LBB12_105:
	s_set_inst_prefetch_distance 0x2
	s_or_b32 exec_lo, exec_lo, s35
	s_and_saveexec_b32 s8, s2
	s_cbranch_execz .LBB12_107
; %bb.106:
	v_mov_b32_e32 v0, 0
	ds_load_b32 v1, v0 offset:4
	s_waitcnt lgkmcnt(0)
	ds_store_b32 v0, v1 offset:8
.LBB12_107:
	s_or_b32 exec_lo, exec_lo, s8
	v_mov_b32_e32 v0, 0
	s_waitcnt lgkmcnt(0)
	s_barrier
	buffer_gl0_inv
	s_mov_b32 s35, 1
	ds_load_b64 v[22:23], v0
	s_waitcnt lgkmcnt(0)
	v_cmp_eq_u32_e32 vcc_lo, v23, v22
	s_cbranch_vccnz .LBB12_178
; %bb.108:
	v_mov_b32_e32 v1, v40
	s_mov_b32 s8, 0
.LBB12_109:                             ; =>This Inner Loop Header: Depth=1
	s_delay_alu instid0(VALU_DEP_1) | instskip(SKIP_4) | instid1(SALU_CYCLE_1)
	v_add_nc_u32_e32 v1, s22, v1
	ds_store_b32 v27, v0
	v_add_nc_u32_e32 v27, s23, v27
	v_cmp_lt_u32_e32 vcc_lo, 0x7ff, v1
	s_or_b32 s8, vcc_lo, s8
	s_and_not1_b32 exec_lo, exec_lo, s8
	s_cbranch_execnz .LBB12_109
; %bb.110:
	s_or_b32 exec_lo, exec_lo, s8
	s_and_saveexec_b32 s8, s2
	s_cbranch_execz .LBB12_112
; %bb.111:
	v_mov_b32_e32 v0, 0
	ds_store_b32 v0, v0 offset:128
.LBB12_112:
	s_or_b32 exec_lo, exec_lo, s8
	v_dual_mov_b32 v0, 0 :: v_dual_mov_b32 v23, v40
	s_waitcnt lgkmcnt(0)
	s_barrier
	buffer_gl0_inv
	ds_load_b32 v27, v0 offset:12
	s_and_saveexec_b32 s8, s7
	s_cbranch_execz .LBB12_148
; %bb.113:
	v_dual_mov_b32 v32, 1 :: v_dual_mov_b32 v23, v40
	v_mov_b32_e32 v24, v41
	s_mov_b32 s7, 0
	s_branch .LBB12_115
.LBB12_114:                             ;   in Loop: Header=BB12_115 Depth=1
	s_or_b32 exec_lo, exec_lo, s35
	v_add_nc_u32_e32 v23, s23, v23
	s_delay_alu instid0(VALU_DEP_1) | instskip(SKIP_1) | instid1(VALU_DEP_2)
	v_ashrrev_i32_e32 v24, 31, v23
	v_add_co_u32 v16, vcc_lo, s29, v23
	v_add_co_ci_u32_e32 v17, vcc_lo, 0, v24, vcc_lo
	s_delay_alu instid0(VALU_DEP_1) | instskip(SKIP_1) | instid1(SALU_CYCLE_1)
	v_cmp_le_u64_e32 vcc_lo, s[16:17], v[16:17]
	s_or_b32 s7, vcc_lo, s7
	s_and_not1_b32 exec_lo, exec_lo, s7
	s_cbranch_execz .LBB12_147
.LBB12_115:                             ; =>This Inner Loop Header: Depth=1
	s_delay_alu instid0(VALU_DEP_1) | instskip(SKIP_1) | instid1(VALU_DEP_1)
	v_lshlrev_b64 v[8:9], 4, v[23:24]
	s_mov_b32 s35, exec_lo
	v_add_co_u32 v0, vcc_lo, s9, v8
	s_delay_alu instid0(VALU_DEP_2)
	v_add_co_ci_u32_e32 v1, vcc_lo, s28, v9, vcc_lo
	v_add_co_u32 v4, vcc_lo, s30, v8
	v_add_co_ci_u32_e32 v5, vcc_lo, s31, v9, vcc_lo
	s_clause 0x1
	global_load_b128 v[0:3], v[0:1], off
	global_load_b128 v[4:7], v[4:5], off
	s_waitcnt vmcnt(1)
	v_cmp_gt_i32_e32 vcc_lo, 0, v0
	v_cndmask_b32_e64 v10, 0x7fffffff, 0, vcc_lo
	s_delay_alu instid0(VALU_DEP_1) | instskip(NEXT) | instid1(VALU_DEP_1)
	v_xor_b32_e32 v0, v10, v0
	v_and_b32_e32 v10, 0xfffffc00, v0
	s_waitcnt lgkmcnt(0)
	s_delay_alu instid0(VALU_DEP_1)
	v_cmpx_eq_u32_e64 v10, v27
	s_cbranch_execz .LBB12_117
; %bb.116:                              ;   in Loop: Header=BB12_115 Depth=1
	v_and_b32_e32 v0, 0x7ff, v0
	s_delay_alu instid0(VALU_DEP_1)
	v_lshlrev_b32_e32 v0, 2, v0
	ds_add_u32 v0, v32 offset:9088
.LBB12_117:                             ;   in Loop: Header=BB12_115 Depth=1
	s_or_b32 exec_lo, exec_lo, s35
	v_cmp_gt_i32_e32 vcc_lo, 0, v1
	s_mov_b32 s35, exec_lo
	v_cndmask_b32_e64 v0, 0x7fffffff, 0, vcc_lo
	s_delay_alu instid0(VALU_DEP_1) | instskip(NEXT) | instid1(VALU_DEP_1)
	v_xor_b32_e32 v0, v0, v1
	v_and_b32_e32 v1, 0xfffffc00, v0
	s_delay_alu instid0(VALU_DEP_1)
	v_cmpx_eq_u32_e64 v1, v27
	s_cbranch_execz .LBB12_119
; %bb.118:                              ;   in Loop: Header=BB12_115 Depth=1
	v_and_b32_e32 v0, 0x7ff, v0
	s_delay_alu instid0(VALU_DEP_1)
	v_lshlrev_b32_e32 v0, 2, v0
	ds_add_u32 v0, v32 offset:9088
.LBB12_119:                             ;   in Loop: Header=BB12_115 Depth=1
	s_or_b32 exec_lo, exec_lo, s35
	v_cmp_gt_i32_e32 vcc_lo, 0, v2
	s_mov_b32 s35, exec_lo
	v_cndmask_b32_e64 v0, 0x7fffffff, 0, vcc_lo
	s_delay_alu instid0(VALU_DEP_1) | instskip(NEXT) | instid1(VALU_DEP_1)
	v_xor_b32_e32 v0, v0, v2
	v_and_b32_e32 v1, 0xfffffc00, v0
	;; [unrolled: 16-line block ×3, first 2 shown]
	s_delay_alu instid0(VALU_DEP_1)
	v_cmpx_eq_u32_e64 v1, v27
	s_cbranch_execz .LBB12_123
; %bb.122:                              ;   in Loop: Header=BB12_115 Depth=1
	v_and_b32_e32 v0, 0x7ff, v0
	s_delay_alu instid0(VALU_DEP_1)
	v_lshlrev_b32_e32 v0, 2, v0
	ds_add_u32 v0, v32 offset:9088
.LBB12_123:                             ;   in Loop: Header=BB12_115 Depth=1
	s_or_b32 exec_lo, exec_lo, s35
	v_lshlrev_b64 v[0:1], 4, v[16:17]
	v_add_co_u32 v2, vcc_lo, s33, v8
	v_add_co_ci_u32_e32 v3, vcc_lo, s34, v9, vcc_lo
	s_mov_b32 s35, exec_lo
	s_delay_alu instid0(VALU_DEP_3) | instskip(NEXT) | instid1(VALU_DEP_4)
	v_add_co_u32 v0, vcc_lo, s9, v0
	v_add_co_ci_u32_e32 v1, vcc_lo, s28, v1, vcc_lo
	s_waitcnt vmcnt(0)
	v_cmp_gt_i32_e32 vcc_lo, 0, v4
	s_clause 0x1
	global_load_b128 v[8:11], v[2:3], off
	global_load_b128 v[0:3], v[0:1], off
	v_cndmask_b32_e64 v16, 0x7fffffff, 0, vcc_lo
	s_delay_alu instid0(VALU_DEP_1) | instskip(NEXT) | instid1(VALU_DEP_1)
	v_xor_b32_e32 v4, v16, v4
	v_and_b32_e32 v16, 0xfffffc00, v4
	s_delay_alu instid0(VALU_DEP_1)
	v_cmpx_eq_u32_e64 v16, v27
	s_cbranch_execz .LBB12_125
; %bb.124:                              ;   in Loop: Header=BB12_115 Depth=1
	v_and_b32_e32 v4, 0x7ff, v4
	s_delay_alu instid0(VALU_DEP_1)
	v_lshlrev_b32_e32 v4, 2, v4
	ds_add_u32 v4, v32 offset:9088
.LBB12_125:                             ;   in Loop: Header=BB12_115 Depth=1
	s_or_b32 exec_lo, exec_lo, s35
	v_cmp_gt_i32_e32 vcc_lo, 0, v5
	s_mov_b32 s35, exec_lo
	v_cndmask_b32_e64 v4, 0x7fffffff, 0, vcc_lo
	s_delay_alu instid0(VALU_DEP_1) | instskip(NEXT) | instid1(VALU_DEP_1)
	v_xor_b32_e32 v4, v4, v5
	v_and_b32_e32 v5, 0xfffffc00, v4
	s_delay_alu instid0(VALU_DEP_1)
	v_cmpx_eq_u32_e64 v5, v27
	s_cbranch_execz .LBB12_127
; %bb.126:                              ;   in Loop: Header=BB12_115 Depth=1
	v_and_b32_e32 v4, 0x7ff, v4
	s_delay_alu instid0(VALU_DEP_1)
	v_lshlrev_b32_e32 v4, 2, v4
	ds_add_u32 v4, v32 offset:9088
.LBB12_127:                             ;   in Loop: Header=BB12_115 Depth=1
	s_or_b32 exec_lo, exec_lo, s35
	v_cmp_gt_i32_e32 vcc_lo, 0, v6
	s_mov_b32 s35, exec_lo
	;; [unrolled: 16-line block ×3, first 2 shown]
	v_cndmask_b32_e64 v4, 0x7fffffff, 0, vcc_lo
	s_delay_alu instid0(VALU_DEP_1) | instskip(NEXT) | instid1(VALU_DEP_1)
	v_xor_b32_e32 v4, v4, v7
	v_and_b32_e32 v5, 0xfffffc00, v4
	s_delay_alu instid0(VALU_DEP_1)
	v_cmpx_eq_u32_e64 v5, v27
	s_cbranch_execz .LBB12_131
; %bb.130:                              ;   in Loop: Header=BB12_115 Depth=1
	v_and_b32_e32 v4, 0x7ff, v4
	s_delay_alu instid0(VALU_DEP_1)
	v_lshlrev_b32_e32 v4, 2, v4
	ds_add_u32 v4, v32 offset:9088
.LBB12_131:                             ;   in Loop: Header=BB12_115 Depth=1
	s_or_b32 exec_lo, exec_lo, s35
	s_waitcnt vmcnt(1)
	v_cmp_gt_i32_e32 vcc_lo, 0, v8
	s_mov_b32 s35, exec_lo
	v_cndmask_b32_e64 v4, 0x7fffffff, 0, vcc_lo
	s_delay_alu instid0(VALU_DEP_1) | instskip(NEXT) | instid1(VALU_DEP_1)
	v_xor_b32_e32 v4, v4, v8
	v_and_b32_e32 v5, 0xfffffc00, v4
	s_delay_alu instid0(VALU_DEP_1)
	v_cmpx_eq_u32_e64 v5, v27
	s_cbranch_execz .LBB12_133
; %bb.132:                              ;   in Loop: Header=BB12_115 Depth=1
	v_and_b32_e32 v4, 0x7ff, v4
	s_delay_alu instid0(VALU_DEP_1)
	v_lshlrev_b32_e32 v4, 2, v4
	ds_add_u32 v4, v32 offset:9088
.LBB12_133:                             ;   in Loop: Header=BB12_115 Depth=1
	s_or_b32 exec_lo, exec_lo, s35
	v_cmp_gt_i32_e32 vcc_lo, 0, v9
	s_mov_b32 s35, exec_lo
	v_cndmask_b32_e64 v4, 0x7fffffff, 0, vcc_lo
	s_delay_alu instid0(VALU_DEP_1) | instskip(NEXT) | instid1(VALU_DEP_1)
	v_xor_b32_e32 v4, v4, v9
	v_and_b32_e32 v5, 0xfffffc00, v4
	s_delay_alu instid0(VALU_DEP_1)
	v_cmpx_eq_u32_e64 v5, v27
	s_cbranch_execz .LBB12_135
; %bb.134:                              ;   in Loop: Header=BB12_115 Depth=1
	v_and_b32_e32 v4, 0x7ff, v4
	s_delay_alu instid0(VALU_DEP_1)
	v_lshlrev_b32_e32 v4, 2, v4
	ds_add_u32 v4, v32 offset:9088
.LBB12_135:                             ;   in Loop: Header=BB12_115 Depth=1
	s_or_b32 exec_lo, exec_lo, s35
	;; [unrolled: 16-line block ×4, first 2 shown]
	s_waitcnt vmcnt(0)
	v_cmp_gt_i32_e32 vcc_lo, 0, v0
	s_mov_b32 s35, exec_lo
	v_cndmask_b32_e64 v4, 0x7fffffff, 0, vcc_lo
	s_delay_alu instid0(VALU_DEP_1) | instskip(NEXT) | instid1(VALU_DEP_1)
	v_xor_b32_e32 v0, v4, v0
	v_and_b32_e32 v4, 0xfffffc00, v0
	s_delay_alu instid0(VALU_DEP_1)
	v_cmpx_eq_u32_e64 v4, v27
	s_cbranch_execz .LBB12_141
; %bb.140:                              ;   in Loop: Header=BB12_115 Depth=1
	v_and_b32_e32 v0, 0x7ff, v0
	s_delay_alu instid0(VALU_DEP_1)
	v_lshlrev_b32_e32 v0, 2, v0
	ds_add_u32 v0, v32 offset:9088
.LBB12_141:                             ;   in Loop: Header=BB12_115 Depth=1
	s_or_b32 exec_lo, exec_lo, s35
	v_cmp_gt_i32_e32 vcc_lo, 0, v1
	s_mov_b32 s35, exec_lo
	v_cndmask_b32_e64 v0, 0x7fffffff, 0, vcc_lo
	s_delay_alu instid0(VALU_DEP_1) | instskip(NEXT) | instid1(VALU_DEP_1)
	v_xor_b32_e32 v0, v0, v1
	v_and_b32_e32 v1, 0xfffffc00, v0
	s_delay_alu instid0(VALU_DEP_1)
	v_cmpx_eq_u32_e64 v1, v27
	s_cbranch_execz .LBB12_143
; %bb.142:                              ;   in Loop: Header=BB12_115 Depth=1
	v_and_b32_e32 v0, 0x7ff, v0
	s_delay_alu instid0(VALU_DEP_1)
	v_lshlrev_b32_e32 v0, 2, v0
	ds_add_u32 v0, v32 offset:9088
.LBB12_143:                             ;   in Loop: Header=BB12_115 Depth=1
	s_or_b32 exec_lo, exec_lo, s35
	v_cmp_gt_i32_e32 vcc_lo, 0, v2
	s_mov_b32 s35, exec_lo
	v_cndmask_b32_e64 v0, 0x7fffffff, 0, vcc_lo
	s_delay_alu instid0(VALU_DEP_1) | instskip(NEXT) | instid1(VALU_DEP_1)
	v_xor_b32_e32 v0, v0, v2
	v_and_b32_e32 v1, 0xfffffc00, v0
	s_delay_alu instid0(VALU_DEP_1)
	v_cmpx_eq_u32_e64 v1, v27
	s_cbranch_execz .LBB12_145
; %bb.144:                              ;   in Loop: Header=BB12_115 Depth=1
	v_and_b32_e32 v0, 0x7ff, v0
	s_delay_alu instid0(VALU_DEP_1)
	v_lshlrev_b32_e32 v0, 2, v0
	ds_add_u32 v0, v32 offset:9088
.LBB12_145:                             ;   in Loop: Header=BB12_115 Depth=1
	s_or_b32 exec_lo, exec_lo, s35
	v_cmp_gt_i32_e32 vcc_lo, 0, v3
	s_mov_b32 s35, exec_lo
	v_cndmask_b32_e64 v0, 0x7fffffff, 0, vcc_lo
	s_delay_alu instid0(VALU_DEP_1) | instskip(NEXT) | instid1(VALU_DEP_1)
	v_xor_b32_e32 v0, v0, v3
	v_and_b32_e32 v1, 0xfffffc00, v0
	s_delay_alu instid0(VALU_DEP_1)
	v_cmpx_eq_u32_e64 v1, v27
	s_cbranch_execz .LBB12_114
; %bb.146:                              ;   in Loop: Header=BB12_115 Depth=1
	v_and_b32_e32 v0, 0x7ff, v0
	s_delay_alu instid0(VALU_DEP_1)
	v_lshlrev_b32_e32 v0, 2, v0
	ds_add_u32 v0, v32 offset:9088
	s_branch .LBB12_114
.LBB12_147:
	s_or_b32 exec_lo, exec_lo, s7
.LBB12_148:
	s_delay_alu instid0(SALU_CYCLE_1) | instskip(NEXT) | instid1(SALU_CYCLE_1)
	s_or_b32 exec_lo, exec_lo, s8
	s_mov_b32 s7, exec_lo
	v_cmpx_gt_i32_e64 s16, v23
	s_cbranch_execz .LBB12_159
; %bb.149:
	v_mov_b32_e32 v4, 1
	s_mov_b32 s8, 0
	s_branch .LBB12_151
.LBB12_150:                             ;   in Loop: Header=BB12_151 Depth=1
	s_or_b32 exec_lo, exec_lo, s17
	v_add_nc_u32_e32 v23, s22, v23
	s_delay_alu instid0(VALU_DEP_1) | instskip(SKIP_1) | instid1(SALU_CYCLE_1)
	v_cmp_le_i32_e32 vcc_lo, s16, v23
	s_or_b32 s8, vcc_lo, s8
	s_and_not1_b32 exec_lo, exec_lo, s8
	s_cbranch_execz .LBB12_159
.LBB12_151:                             ; =>This Inner Loop Header: Depth=1
	v_ashrrev_i32_e32 v24, 31, v23
	s_mov_b32 s17, exec_lo
	s_delay_alu instid0(VALU_DEP_1) | instskip(NEXT) | instid1(VALU_DEP_1)
	v_lshlrev_b64 v[0:1], 4, v[23:24]
	v_add_co_u32 v0, vcc_lo, s9, v0
	s_delay_alu instid0(VALU_DEP_2) | instskip(SKIP_4) | instid1(VALU_DEP_1)
	v_add_co_ci_u32_e32 v1, vcc_lo, s28, v1, vcc_lo
	global_load_b128 v[0:3], v[0:1], off
	s_waitcnt vmcnt(0)
	v_cmp_gt_i32_e32 vcc_lo, 0, v0
	v_cndmask_b32_e64 v5, 0x7fffffff, 0, vcc_lo
	v_xor_b32_e32 v0, v5, v0
	s_delay_alu instid0(VALU_DEP_1) | instskip(SKIP_1) | instid1(VALU_DEP_1)
	v_and_b32_e32 v5, 0xfffffc00, v0
	s_waitcnt lgkmcnt(0)
	v_cmpx_eq_u32_e64 v5, v27
	s_cbranch_execz .LBB12_153
; %bb.152:                              ;   in Loop: Header=BB12_151 Depth=1
	v_and_b32_e32 v0, 0x7ff, v0
	s_delay_alu instid0(VALU_DEP_1)
	v_lshlrev_b32_e32 v0, 2, v0
	ds_add_u32 v0, v4 offset:9088
.LBB12_153:                             ;   in Loop: Header=BB12_151 Depth=1
	s_or_b32 exec_lo, exec_lo, s17
	v_cmp_gt_i32_e32 vcc_lo, 0, v1
	s_mov_b32 s17, exec_lo
	v_cndmask_b32_e64 v0, 0x7fffffff, 0, vcc_lo
	s_delay_alu instid0(VALU_DEP_1) | instskip(NEXT) | instid1(VALU_DEP_1)
	v_xor_b32_e32 v0, v0, v1
	v_and_b32_e32 v1, 0xfffffc00, v0
	s_delay_alu instid0(VALU_DEP_1)
	v_cmpx_eq_u32_e64 v1, v27
	s_cbranch_execz .LBB12_155
; %bb.154:                              ;   in Loop: Header=BB12_151 Depth=1
	v_and_b32_e32 v0, 0x7ff, v0
	s_delay_alu instid0(VALU_DEP_1)
	v_lshlrev_b32_e32 v0, 2, v0
	ds_add_u32 v0, v4 offset:9088
.LBB12_155:                             ;   in Loop: Header=BB12_151 Depth=1
	s_or_b32 exec_lo, exec_lo, s17
	v_cmp_gt_i32_e32 vcc_lo, 0, v2
	s_mov_b32 s17, exec_lo
	v_cndmask_b32_e64 v0, 0x7fffffff, 0, vcc_lo
	s_delay_alu instid0(VALU_DEP_1) | instskip(NEXT) | instid1(VALU_DEP_1)
	v_xor_b32_e32 v0, v0, v2
	v_and_b32_e32 v1, 0xfffffc00, v0
	s_delay_alu instid0(VALU_DEP_1)
	;; [unrolled: 16-line block ×3, first 2 shown]
	v_cmpx_eq_u32_e64 v1, v27
	s_cbranch_execz .LBB12_150
; %bb.158:                              ;   in Loop: Header=BB12_151 Depth=1
	v_and_b32_e32 v0, 0x7ff, v0
	s_delay_alu instid0(VALU_DEP_1)
	v_lshlrev_b32_e32 v0, 2, v0
	ds_add_u32 v0, v4 offset:9088
	s_branch .LBB12_150
.LBB12_159:
	s_or_b32 exec_lo, exec_lo, s7
	s_and_saveexec_b32 s7, s4
	s_cbranch_execz .LBB12_162
; %bb.160:
	global_load_b32 v0, v[18:19], off
	s_waitcnt vmcnt(0)
	v_cmp_gt_i32_e32 vcc_lo, 0, v0
	v_cndmask_b32_e64 v1, 0x7fffffff, 0, vcc_lo
	s_delay_alu instid0(VALU_DEP_1) | instskip(NEXT) | instid1(VALU_DEP_1)
	v_xor_b32_e32 v0, v1, v0
	v_and_b32_e32 v1, 0xfffffc00, v0
	s_waitcnt lgkmcnt(0)
	s_delay_alu instid0(VALU_DEP_1)
	v_cmp_eq_u32_e32 vcc_lo, v1, v27
	s_and_b32 exec_lo, exec_lo, vcc_lo
	s_cbranch_execz .LBB12_162
; %bb.161:
	v_dual_mov_b32 v1, 1 :: v_dual_and_b32 v0, 0x7ff, v0
	s_delay_alu instid0(VALU_DEP_1)
	v_lshlrev_b32_e32 v0, 2, v0
	ds_add_u32 v0, v1 offset:9088
.LBB12_162:
	s_or_b32 exec_lo, exec_lo, s7
	s_and_saveexec_b32 s4, s5
	s_cbranch_execz .LBB12_165
; %bb.163:
	global_load_b32 v0, v[20:21], off
	s_waitcnt vmcnt(0)
	v_cmp_gt_i32_e32 vcc_lo, 0, v0
	v_cndmask_b32_e64 v1, 0x7fffffff, 0, vcc_lo
	s_delay_alu instid0(VALU_DEP_1) | instskip(NEXT) | instid1(VALU_DEP_1)
	v_xor_b32_e32 v0, v1, v0
	v_and_b32_e32 v1, 0xfffffc00, v0
	s_waitcnt lgkmcnt(0)
	s_delay_alu instid0(VALU_DEP_1)
	v_cmp_eq_u32_e32 vcc_lo, v1, v27
	s_and_b32 exec_lo, exec_lo, vcc_lo
	s_cbranch_execz .LBB12_165
; %bb.164:
	v_dual_mov_b32 v1, 1 :: v_dual_and_b32 v0, 0x7ff, v0
	s_delay_alu instid0(VALU_DEP_1)
	v_lshlrev_b32_e32 v0, 2, v0
	ds_add_u32 v0, v1 offset:9088
.LBB12_165:
	s_or_b32 exec_lo, exec_lo, s4
	s_waitcnt lgkmcnt(0)
	s_barrier
	buffer_gl0_inv
	flat_load_b32 v0, v[12:13] glc dlc
	s_waitcnt vmcnt(0)
	flat_load_b32 v1, v[14:15] glc dlc
	s_waitcnt vmcnt(0) lgkmcnt(1)
	ds_store_b32 v28, v0
	s_waitcnt lgkmcnt(1)
	ds_store_b32 v29, v1 offset:4096
	s_waitcnt lgkmcnt(0)
	s_barrier
	buffer_gl0_inv
	ds_load_2addr_b32 v[0:1], v30 offset1:1
	s_waitcnt lgkmcnt(0)
	s_barrier
	buffer_gl0_inv
	v_add_nc_u32_e32 v2, v1, v0
	ds_store_b32 v28, v2
	s_waitcnt lgkmcnt(0)
	s_barrier
	buffer_gl0_inv
	s_and_saveexec_b32 s4, s6
	s_cbranch_execz .LBB12_167
; %bb.166:
	ds_load_2addr_b32 v[3:4], v25 offset1:1
	ds_load_2addr_b32 v[5:6], v25 offset0:2 offset1:3
	ds_load_2addr_b32 v[7:8], v25 offset0:4 offset1:5
	;; [unrolled: 1-line block ×15, first 2 shown]
	v_mbcnt_lo_u32_b32 v27, -1, 0
	s_delay_alu instid0(VALU_DEP_1) | instskip(SKIP_3) | instid1(VALU_DEP_3)
	v_and_b32_e32 v41, 15, v27
	s_waitcnt lgkmcnt(15)
	v_add_nc_u32_e32 v11, v4, v3
	v_bfe_i32 v52, v27, 4, 1
	v_cmp_ne_u32_e32 vcc_lo, 0, v41
	s_waitcnt lgkmcnt(14)
	s_delay_alu instid0(VALU_DEP_3) | instskip(SKIP_1) | instid1(VALU_DEP_1)
	v_add3_u32 v11, v11, v5, v6
	s_waitcnt lgkmcnt(13)
	v_add3_u32 v11, v11, v7, v8
	s_waitcnt lgkmcnt(12)
	s_delay_alu instid0(VALU_DEP_1) | instskip(SKIP_1) | instid1(VALU_DEP_1)
	v_add3_u32 v11, v11, v9, v10
	s_waitcnt lgkmcnt(11)
	v_add3_u32 v11, v11, v16, v17
	s_waitcnt lgkmcnt(10)
	s_delay_alu instid0(VALU_DEP_1) | instskip(SKIP_1) | instid1(VALU_DEP_1)
	;; [unrolled: 5-line block ×6, first 2 shown]
	v_add3_u32 v11, v11, v45, v46
	s_waitcnt lgkmcnt(1)
	v_add3_u32 v11, v11, v47, v48
	s_waitcnt lgkmcnt(0)
	s_delay_alu instid0(VALU_DEP_1) | instskip(NEXT) | instid1(VALU_DEP_1)
	v_add3_u32 v11, v11, v49, v50
	v_mov_b32_dpp v51, v11 row_shr:1 row_mask:0xf bank_mask:0xf
	s_delay_alu instid0(VALU_DEP_1) | instskip(SKIP_1) | instid1(VALU_DEP_2)
	v_cndmask_b32_e32 v51, 0, v51, vcc_lo
	v_cmp_lt_u32_e32 vcc_lo, 1, v41
	v_add_nc_u32_e32 v11, v51, v11
	s_delay_alu instid0(VALU_DEP_1) | instskip(NEXT) | instid1(VALU_DEP_1)
	v_mov_b32_dpp v51, v11 row_shr:2 row_mask:0xf bank_mask:0xf
	v_cndmask_b32_e32 v51, 0, v51, vcc_lo
	v_cmp_lt_u32_e32 vcc_lo, 3, v41
	s_delay_alu instid0(VALU_DEP_2) | instskip(NEXT) | instid1(VALU_DEP_1)
	v_add_nc_u32_e32 v11, v11, v51
	v_mov_b32_dpp v51, v11 row_shr:4 row_mask:0xf bank_mask:0xf
	s_delay_alu instid0(VALU_DEP_1) | instskip(SKIP_1) | instid1(VALU_DEP_2)
	v_cndmask_b32_e32 v51, 0, v51, vcc_lo
	v_cmp_lt_u32_e32 vcc_lo, 7, v41
	v_add_nc_u32_e32 v11, v11, v51
	s_delay_alu instid0(VALU_DEP_1) | instskip(NEXT) | instid1(VALU_DEP_1)
	v_mov_b32_dpp v51, v11 row_shr:8 row_mask:0xf bank_mask:0xf
	v_cndmask_b32_e32 v41, 0, v51, vcc_lo
	v_add_nc_u32_e32 v51, -1, v27
	s_delay_alu instid0(VALU_DEP_2) | instskip(NEXT) | instid1(VALU_DEP_2)
	v_add_nc_u32_e32 v11, v11, v41
	v_cmp_gt_i32_e32 vcc_lo, 0, v51
	ds_swizzle_b32 v41, v11 offset:swizzle(BROADCAST,32,15)
	v_cndmask_b32_e32 v27, v51, v27, vcc_lo
	s_delay_alu instid0(VALU_DEP_1) | instskip(SKIP_2) | instid1(VALU_DEP_1)
	v_lshlrev_b32_e32 v27, 2, v27
	s_waitcnt lgkmcnt(0)
	v_and_b32_e32 v41, v52, v41
	v_add_nc_u32_e32 v11, v11, v41
	ds_bpermute_b32 v11, v27, v11
	s_waitcnt lgkmcnt(0)
	v_add_nc_u32_e32 v3, v11, v3
	s_delay_alu instid0(VALU_DEP_1) | instskip(NEXT) | instid1(VALU_DEP_1)
	v_cndmask_b32_e64 v2, v3, v2, s2
	v_add_nc_u32_e32 v3, v2, v4
	s_delay_alu instid0(VALU_DEP_1) | instskip(NEXT) | instid1(VALU_DEP_1)
	v_add_nc_u32_e32 v4, v3, v5
	v_add_nc_u32_e32 v5, v4, v6
	s_delay_alu instid0(VALU_DEP_1) | instskip(NEXT) | instid1(VALU_DEP_1)
	v_add_nc_u32_e32 v6, v5, v7
	;; [unrolled: 3-line block ×3, first 2 shown]
	v_add_nc_u32_e32 v9, v8, v10
	ds_store_2addr_b32 v25, v2, v3 offset1:1
	ds_store_2addr_b32 v25, v4, v5 offset0:2 offset1:3
	ds_store_2addr_b32 v25, v6, v7 offset0:4 offset1:5
	ds_store_2addr_b32 v25, v8, v9 offset0:6 offset1:7
	v_add_nc_u32_e32 v10, v9, v16
	s_delay_alu instid0(VALU_DEP_1) | instskip(NEXT) | instid1(VALU_DEP_1)
	v_add_nc_u32_e32 v11, v10, v17
	v_add_nc_u32_e32 v16, v11, v18
	s_delay_alu instid0(VALU_DEP_1) | instskip(NEXT) | instid1(VALU_DEP_1)
	v_add_nc_u32_e32 v17, v16, v19
	;; [unrolled: 3-line block ×3, first 2 shown]
	v_add_nc_u32_e32 v20, v19, v23
	s_delay_alu instid0(VALU_DEP_1)
	v_add_nc_u32_e32 v21, v20, v24
	ds_store_2addr_b32 v25, v10, v11 offset0:8 offset1:9
	ds_store_2addr_b32 v25, v16, v17 offset0:10 offset1:11
	;; [unrolled: 1-line block ×4, first 2 shown]
	v_add_nc_u32_e32 v23, v21, v32
	s_delay_alu instid0(VALU_DEP_1) | instskip(NEXT) | instid1(VALU_DEP_1)
	v_add_nc_u32_e32 v24, v23, v33
	v_add_nc_u32_e32 v27, v24, v34
	s_delay_alu instid0(VALU_DEP_1) | instskip(NEXT) | instid1(VALU_DEP_1)
	v_add_nc_u32_e32 v32, v27, v35
	;; [unrolled: 3-line block ×7, first 2 shown]
	v_add_nc_u32_e32 v2, v44, v49
	s_delay_alu instid0(VALU_DEP_1)
	v_add_nc_u32_e32 v3, v2, v50
	ds_store_2addr_b32 v25, v23, v24 offset0:16 offset1:17
	ds_store_2addr_b32 v25, v27, v32 offset0:18 offset1:19
	;; [unrolled: 1-line block ×8, first 2 shown]
.LBB12_167:
	s_or_b32 exec_lo, exec_lo, s4
	v_dual_mov_b32 v2, 0 :: v_dual_mov_b32 v3, 0
	s_waitcnt lgkmcnt(0)
	s_barrier
	buffer_gl0_inv
	s_and_saveexec_b32 s4, s3
	s_cbranch_execz .LBB12_169
; %bb.168:
	ds_load_b32 v3, v31
.LBB12_169:
	s_or_b32 exec_lo, exec_lo, s4
	s_waitcnt lgkmcnt(0)
	v_add_nc_u32_e32 v0, v3, v0
	s_barrier
	buffer_gl0_inv
	s_mov_b32 s4, 0
	v_add_nc_u32_e32 v1, v0, v1
	ds_store_2addr_b32 v30, v0, v1 offset1:1
	s_waitcnt lgkmcnt(0)
	s_barrier
	buffer_gl0_inv
	ds_load_b32 v0, v28
	ds_load_b32 v1, v29 offset:4096
	s_waitcnt lgkmcnt(1)
	flat_store_b32 v[12:13], v0 dlc
	s_waitcnt_vscnt null, 0x0
	s_waitcnt lgkmcnt(1)
	flat_store_b32 v[14:15], v1 dlc
	s_waitcnt_vscnt null, 0x0
	v_mov_b32_e32 v1, v40
	s_waitcnt lgkmcnt(0)
	s_barrier
	buffer_gl0_inv
	ds_load_b32 v0, v2 offset:12
	s_set_inst_prefetch_distance 0x1
	s_branch .LBB12_171
	.p2align	6
.LBB12_170:                             ;   in Loop: Header=BB12_171 Depth=1
	s_or_b32 exec_lo, exec_lo, s3
	v_add_nc_u32_e32 v1, s22, v1
	v_add_nc_u32_e32 v26, s23, v26
	s_delay_alu instid0(VALU_DEP_2) | instskip(SKIP_1) | instid1(SALU_CYCLE_1)
	v_cmp_lt_u32_e32 vcc_lo, 0x7ff, v1
	s_or_b32 s4, vcc_lo, s4
	s_and_not1_b32 exec_lo, exec_lo, s4
	s_cbranch_execz .LBB12_175
.LBB12_171:                             ; =>This Inner Loop Header: Depth=1
	v_mov_b32_e32 v3, 0
	s_mov_b32 s3, exec_lo
	v_cmpx_ne_u32_e32 0, v1
	s_cbranch_execz .LBB12_173
; %bb.172:                              ;   in Loop: Header=BB12_171 Depth=1
	ds_load_b32 v3, v26
.LBB12_173:                             ;   in Loop: Header=BB12_171 Depth=1
	s_or_b32 exec_lo, exec_lo, s3
	ds_load_b32 v4, v26 offset:4
	s_waitcnt lgkmcnt(1)
	v_cmp_gt_i32_e32 vcc_lo, v22, v3
	s_waitcnt lgkmcnt(0)
	v_cmp_ge_i32_e64 s3, v4, v22
	s_delay_alu instid0(VALU_DEP_1) | instskip(NEXT) | instid1(SALU_CYCLE_1)
	s_and_b32 s5, vcc_lo, s3
	s_and_saveexec_b32 s3, s5
	s_cbranch_execz .LBB12_170
; %bb.174:                              ;   in Loop: Header=BB12_171 Depth=1
	v_sub_nc_u32_e32 v5, v22, v3
	v_sub_nc_u32_e32 v6, v4, v3
	v_or_b32_e32 v0, v0, v1
	ds_store_b64 v2, v[5:6]
	ds_store_b32 v2, v0 offset:12
	s_branch .LBB12_170
.LBB12_175:
	s_set_inst_prefetch_distance 0x2
	s_or_b32 exec_lo, exec_lo, s4
	s_and_saveexec_b32 s3, s2
	s_cbranch_execz .LBB12_177
; %bb.176:
	v_mov_b32_e32 v0, 0
	ds_load_b32 v1, v0 offset:4
	s_waitcnt lgkmcnt(0)
	ds_store_b32 v0, v1 offset:8
.LBB12_177:
	s_or_b32 exec_lo, exec_lo, s3
	s_mov_b32 s35, 2
	s_waitcnt lgkmcnt(0)
	s_barrier
	buffer_gl0_inv
.LBB12_178:
	s_lshl_b64 s[22:23], s[14:15], 2
	v_dual_mov_b32 v31, v40 :: v_dual_mov_b32 v0, s27
	s_add_u32 s4, s20, s22
	s_addc_u32 s5, s21, s23
	s_add_u32 s2, s10, s12
	s_addc_u32 s3, s11, s13
	s_cmp_lg_u64 s[10:11], 0
	v_dual_mov_b32 v5, s5 :: v_dual_mov_b32 v6, s25
	s_cselect_b32 s6, s2, 0
	s_cselect_b32 s7, s3, 0
	s_add_u32 s8, s0, 0x58
	s_addc_u32 s9, s1, 0
	s_mov_b64 s[0:1], src_shared_base
	v_dual_mov_b32 v1, s26 :: v_dual_mov_b32 v2, s6
	v_dual_mov_b32 v3, s7 :: v_dual_mov_b32 v4, s4
	;; [unrolled: 1-line block ×4, first 2 shown]
	s_mov_b32 s12, s18
	s_getpc_b64 s[2:3]
	s_add_u32 s2, s2, _ZN5aiter2ob11last_filterIfiLi11ELb0ELb0EEEvPKT_PKT0_PS2_PS5_S5_S5_PNS0_7CounterIS2_S5_EEbib@rel32@lo+4
	s_addc_u32 s3, s3, _ZN5aiter2ob11last_filterIfiLi11ELb0ELb0EEEvPKT_PKT0_PS2_PS5_S5_S5_PNS0_7CounterIS2_S5_EEbib@rel32@hi+12
	s_delay_alu instid0(SALU_CYCLE_1)
	s_swappc_b64 s[30:31], s[2:3]
	s_cmp_eq_u32 s19, 0
	s_cbranch_scc1 .LBB12_182
; %bb.179:
	s_waitcnt_vscnt null, 0x0
	s_barrier
	buffer_gl0_inv
	s_mov_b32 s0, exec_lo
	v_cmpx_gt_i32_e64 s24, v40
	s_cbranch_execz .LBB12_182
; %bb.180:
	s_add_u32 s0, s20, s22
	s_addc_u32 s1, s21, s23
	v_add_co_u32 v0, s0, s0, v42
	s_delay_alu instid0(VALU_DEP_1)
	v_add_co_ci_u32_e64 v1, null, s1, 0, s0
	s_mov_b32 s1, 0
.LBB12_181:                             ; =>This Inner Loop Header: Depth=1
	global_load_b32 v2, v[0:1], off
	v_add_nc_u32_e32 v40, 0x400, v40
	s_delay_alu instid0(VALU_DEP_1)
	v_cmp_le_i32_e32 vcc_lo, s24, v40
	s_or_b32 s1, vcc_lo, s1
	s_waitcnt vmcnt(0)
	v_add_nc_u32_e32 v2, s19, v2
	global_store_b32 v[0:1], v2, off
	v_add_co_u32 v0, s0, 0x1000, v0
	s_delay_alu instid0(VALU_DEP_1)
	v_add_co_ci_u32_e64 v1, s0, 0, v1, s0
	s_and_not1_b32 exec_lo, exec_lo, s1
	s_cbranch_execnz .LBB12_181
.LBB12_182:
	s_endpgm
	.section	.rodata,"a",@progbits
	.p2align	6, 0x0
	.amdhsa_kernel _ZN5aiter2ob27radix_topk_one_block_kernelIfiLi11ELi1024ELb0ELb0ELNS0_5PhaseE0EEEvPKT_PKT0_lS8_S8_S6_PS3_PS6_bPci
		.amdhsa_group_segment_fixed_size 17280
		.amdhsa_private_segment_fixed_size 0
		.amdhsa_kernarg_size 344
		.amdhsa_user_sgpr_count 15
		.amdhsa_user_sgpr_dispatch_ptr 0
		.amdhsa_user_sgpr_queue_ptr 0
		.amdhsa_user_sgpr_kernarg_segment_ptr 1
		.amdhsa_user_sgpr_dispatch_id 0
		.amdhsa_user_sgpr_private_segment_size 0
		.amdhsa_wavefront_size32 1
		.amdhsa_uses_dynamic_stack 0
		.amdhsa_enable_private_segment 0
		.amdhsa_system_sgpr_workgroup_id_x 1
		.amdhsa_system_sgpr_workgroup_id_y 0
		.amdhsa_system_sgpr_workgroup_id_z 0
		.amdhsa_system_sgpr_workgroup_info 0
		.amdhsa_system_vgpr_workitem_id 0
		.amdhsa_next_free_vgpr 81
		.amdhsa_next_free_sgpr 38
		.amdhsa_reserve_vcc 1
		.amdhsa_float_round_mode_32 0
		.amdhsa_float_round_mode_16_64 0
		.amdhsa_float_denorm_mode_32 3
		.amdhsa_float_denorm_mode_16_64 3
		.amdhsa_dx10_clamp 1
		.amdhsa_ieee_mode 1
		.amdhsa_fp16_overflow 0
		.amdhsa_workgroup_processor_mode 1
		.amdhsa_memory_ordered 1
		.amdhsa_forward_progress 0
		.amdhsa_shared_vgpr_count 0
		.amdhsa_exception_fp_ieee_invalid_op 0
		.amdhsa_exception_fp_denorm_src 0
		.amdhsa_exception_fp_ieee_div_zero 0
		.amdhsa_exception_fp_ieee_overflow 0
		.amdhsa_exception_fp_ieee_underflow 0
		.amdhsa_exception_fp_ieee_inexact 0
		.amdhsa_exception_int_div_zero 0
	.end_amdhsa_kernel
	.section	.text._ZN5aiter2ob27radix_topk_one_block_kernelIfiLi11ELi1024ELb0ELb0ELNS0_5PhaseE0EEEvPKT_PKT0_lS8_S8_S6_PS3_PS6_bPci,"axG",@progbits,_ZN5aiter2ob27radix_topk_one_block_kernelIfiLi11ELi1024ELb0ELb0ELNS0_5PhaseE0EEEvPKT_PKT0_lS8_S8_S6_PS3_PS6_bPci,comdat
.Lfunc_end12:
	.size	_ZN5aiter2ob27radix_topk_one_block_kernelIfiLi11ELi1024ELb0ELb0ELNS0_5PhaseE0EEEvPKT_PKT0_lS8_S8_S6_PS3_PS6_bPci, .Lfunc_end12-_ZN5aiter2ob27radix_topk_one_block_kernelIfiLi11ELi1024ELb0ELb0ELNS0_5PhaseE0EEEvPKT_PKT0_lS8_S8_S6_PS3_PS6_bPci
                                        ; -- End function
	.section	.AMDGPU.csdata,"",@progbits
; Kernel info:
; codeLenInByte = 11376
; NumSgprs: 40
; NumVgprs: 81
; ScratchSize: 0
; MemoryBound: 0
; FloatMode: 240
; IeeeMode: 1
; LDSByteSize: 17280 bytes/workgroup (compile time only)
; SGPRBlocks: 4
; VGPRBlocks: 10
; NumSGPRsForWavesPerEU: 40
; NumVGPRsForWavesPerEU: 81
; Occupancy: 16
; WaveLimiterHint : 0
; COMPUTE_PGM_RSRC2:SCRATCH_EN: 0
; COMPUTE_PGM_RSRC2:USER_SGPR: 15
; COMPUTE_PGM_RSRC2:TRAP_HANDLER: 0
; COMPUTE_PGM_RSRC2:TGID_X_EN: 1
; COMPUTE_PGM_RSRC2:TGID_Y_EN: 0
; COMPUTE_PGM_RSRC2:TGID_Z_EN: 0
; COMPUTE_PGM_RSRC2:TIDIG_COMP_CNT: 0
	.section	.text._ZN5aiter2mb23radix_kernel_persistentIfiLi11ELi1024ELb0ELb0ELNS0_5PhaseE1EEEvPKT_PKT0_PS3_PS6_PNS0_7CounterIS3_S6_EESA_S6_S8_S8_S6_S6_b,"axG",@progbits,_ZN5aiter2mb23radix_kernel_persistentIfiLi11ELi1024ELb0ELb0ELNS0_5PhaseE1EEEvPKT_PKT0_PS3_PS6_PNS0_7CounterIS3_S6_EESA_S6_S8_S8_S6_S6_b,comdat
	.protected	_ZN5aiter2mb23radix_kernel_persistentIfiLi11ELi1024ELb0ELb0ELNS0_5PhaseE1EEEvPKT_PKT0_PS3_PS6_PNS0_7CounterIS3_S6_EESA_S6_S8_S8_S6_S6_b ; -- Begin function _ZN5aiter2mb23radix_kernel_persistentIfiLi11ELi1024ELb0ELb0ELNS0_5PhaseE1EEEvPKT_PKT0_PS3_PS6_PNS0_7CounterIS3_S6_EESA_S6_S8_S8_S6_S6_b
	.globl	_ZN5aiter2mb23radix_kernel_persistentIfiLi11ELi1024ELb0ELb0ELNS0_5PhaseE1EEEvPKT_PKT0_PS3_PS6_PNS0_7CounterIS3_S6_EESA_S6_S8_S8_S6_S6_b
	.p2align	8
	.type	_ZN5aiter2mb23radix_kernel_persistentIfiLi11ELi1024ELb0ELb0ELNS0_5PhaseE1EEEvPKT_PKT0_PS3_PS6_PNS0_7CounterIS3_S6_EESA_S6_S8_S8_S6_S6_b,@function
_ZN5aiter2mb23radix_kernel_persistentIfiLi11ELi1024ELb0ELb0ELNS0_5PhaseE1EEEvPKT_PKT0_PS3_PS6_PNS0_7CounterIS3_S6_EESA_S6_S8_S8_S6_S6_b: ; @_ZN5aiter2mb23radix_kernel_persistentIfiLi11ELi1024ELb0ELb0ELNS0_5PhaseE1EEEvPKT_PKT0_PS3_PS6_PNS0_7CounterIS3_S6_EESA_S6_S8_S8_S6_S6_b
; %bb.0:
	s_load_b64 s[22:23], s[0:1], 0x48
	s_mov_b32 s2, 0
	s_waitcnt lgkmcnt(0)
	s_ashr_i32 s6, s23, 31
	s_delay_alu instid0(SALU_CYCLE_1) | instskip(NEXT) | instid1(SALU_CYCLE_1)
	s_mov_b32 s3, s6
	s_cmp_lg_u64 s[2:3], 0
	s_mov_b32 s3, s23
	s_cbranch_scc0 .LBB13_609
; %bb.1:
	s_add_u32 s8, s3, s6
	s_mov_b32 s4, s6
	s_mov_b32 s5, s6
	s_addc_u32 s9, s6, s6
	s_delay_alu instid0(SALU_CYCLE_1) | instskip(NEXT) | instid1(SALU_CYCLE_1)
	s_xor_b64 s[6:7], s[8:9], s[4:5]
	v_cvt_f32_u32_e32 v1, s6
	v_cvt_f32_u32_e32 v2, s7
	s_sub_u32 s10, 0, s6
	s_subb_u32 s11, 0, s7
	s_delay_alu instid0(VALU_DEP_1) | instskip(NEXT) | instid1(VALU_DEP_1)
	v_fmamk_f32 v1, v2, 0x4f800000, v1
	v_rcp_f32_e32 v1, v1
	s_waitcnt_depctr 0xfff
	v_mul_f32_e32 v1, 0x5f7ffffc, v1
	s_delay_alu instid0(VALU_DEP_1) | instskip(NEXT) | instid1(VALU_DEP_1)
	v_mul_f32_e32 v2, 0x2f800000, v1
	v_trunc_f32_e32 v2, v2
	s_delay_alu instid0(VALU_DEP_1) | instskip(SKIP_1) | instid1(VALU_DEP_2)
	v_fmamk_f32 v1, v2, 0xcf800000, v1
	v_cvt_u32_f32_e32 v2, v2
	v_cvt_u32_f32_e32 v1, v1
	s_delay_alu instid0(VALU_DEP_2) | instskip(NEXT) | instid1(VALU_DEP_2)
	v_readfirstlane_b32 s8, v2
	v_readfirstlane_b32 s9, v1
	s_delay_alu instid0(VALU_DEP_2) | instskip(NEXT) | instid1(VALU_DEP_1)
	s_mul_i32 s12, s10, s8
	s_mul_hi_u32 s16, s10, s9
	s_mul_i32 s13, s11, s9
	s_add_i32 s12, s16, s12
	s_mul_i32 s17, s10, s9
	s_add_i32 s12, s12, s13
	s_mul_hi_u32 s16, s9, s17
	s_mul_hi_u32 s18, s8, s17
	s_mul_i32 s13, s8, s17
	s_mul_hi_u32 s17, s9, s12
	s_mul_i32 s9, s9, s12
	s_mul_hi_u32 s19, s8, s12
	s_add_u32 s9, s16, s9
	s_addc_u32 s16, 0, s17
	s_add_u32 s9, s9, s13
	s_mul_i32 s12, s8, s12
	s_addc_u32 s9, s16, s18
	s_addc_u32 s13, s19, 0
	s_add_u32 s9, s9, s12
	s_addc_u32 s12, 0, s13
	v_add_co_u32 v1, s9, v1, s9
	s_delay_alu instid0(VALU_DEP_1) | instskip(SKIP_1) | instid1(VALU_DEP_1)
	s_cmp_lg_u32 s9, 0
	s_addc_u32 s8, s8, s12
	v_readfirstlane_b32 s9, v1
	s_mul_i32 s12, s10, s8
	s_delay_alu instid0(VALU_DEP_1)
	s_mul_hi_u32 s13, s10, s9
	s_mul_i32 s11, s11, s9
	s_add_i32 s12, s13, s12
	s_mul_i32 s10, s10, s9
	s_add_i32 s12, s12, s11
	s_mul_hi_u32 s13, s8, s10
	s_mul_i32 s16, s8, s10
	s_mul_hi_u32 s10, s9, s10
	s_mul_hi_u32 s17, s9, s12
	s_mul_i32 s9, s9, s12
	s_mul_hi_u32 s11, s8, s12
	s_add_u32 s9, s10, s9
	s_addc_u32 s10, 0, s17
	s_add_u32 s9, s9, s16
	s_mul_i32 s12, s8, s12
	s_addc_u32 s9, s10, s13
	s_addc_u32 s10, s11, 0
	s_add_u32 s9, s9, s12
	s_addc_u32 s10, 0, s10
	v_add_co_u32 v1, s9, v1, s9
	s_delay_alu instid0(VALU_DEP_1) | instskip(SKIP_1) | instid1(VALU_DEP_1)
	s_cmp_lg_u32 s9, 0
	s_addc_u32 s8, s8, s10
	v_readfirstlane_b32 s9, v1
	s_mul_i32 s10, s15, s8
	s_mul_hi_u32 s8, s15, s8
	s_delay_alu instid0(VALU_DEP_1) | instskip(NEXT) | instid1(SALU_CYCLE_1)
	s_mul_hi_u32 s9, s15, s9
	s_add_u32 s9, s9, s10
	s_addc_u32 s8, 0, s8
	s_add_u32 s9, s9, 0
	s_addc_u32 s8, s8, 0
	s_addc_u32 s9, 0, 0
	s_add_u32 s8, s8, 0
	s_addc_u32 s9, 0, s9
	s_mul_hi_u32 s10, s6, s8
	s_mul_i32 s12, s6, s9
	s_mul_i32 s13, s6, s8
	s_add_i32 s10, s10, s12
	v_sub_co_u32 v1, s12, s15, s13
	s_mul_i32 s11, s7, s8
	s_delay_alu instid0(SALU_CYCLE_1) | instskip(NEXT) | instid1(VALU_DEP_1)
	s_add_i32 s10, s10, s11
	v_sub_co_u32 v2, s13, v1, s6
	s_sub_i32 s11, 0, s10
	s_cmp_lg_u32 s12, 0
	s_subb_u32 s11, s11, s7
	s_cmp_lg_u32 s13, 0
	v_readfirstlane_b32 s13, v2
	s_subb_u32 s11, s11, 0
	s_delay_alu instid0(SALU_CYCLE_1) | instskip(SKIP_1) | instid1(VALU_DEP_1)
	s_cmp_ge_u32 s11, s7
	s_cselect_b32 s16, -1, 0
	s_cmp_ge_u32 s13, s6
	s_cselect_b32 s13, -1, 0
	s_cmp_eq_u32 s11, s7
	s_cselect_b32 s11, s13, s16
	s_add_u32 s13, s8, 1
	s_addc_u32 s16, s9, 0
	s_add_u32 s17, s8, 2
	s_addc_u32 s18, s9, 0
	s_cmp_lg_u32 s11, 0
	s_cselect_b32 s11, s17, s13
	s_cselect_b32 s13, s18, s16
	s_cmp_lg_u32 s12, 0
	v_readfirstlane_b32 s12, v1
	s_subb_u32 s10, 0, s10
	s_delay_alu instid0(SALU_CYCLE_1) | instskip(SKIP_1) | instid1(VALU_DEP_1)
	s_cmp_ge_u32 s10, s7
	s_cselect_b32 s16, -1, 0
	s_cmp_ge_u32 s12, s6
	s_cselect_b32 s6, -1, 0
	s_cmp_eq_u32 s10, s7
	s_cselect_b32 s6, s6, s16
	s_delay_alu instid0(SALU_CYCLE_1) | instskip(SKIP_2) | instid1(SALU_CYCLE_1)
	s_cmp_lg_u32 s6, 0
	s_cselect_b32 s7, s13, s9
	s_cselect_b32 s6, s11, s8
	s_xor_b64 s[6:7], s[6:7], s[4:5]
	s_delay_alu instid0(SALU_CYCLE_1)
	s_sub_u32 s4, s6, s4
	s_subb_u32 s5, s7, s5
	s_and_not1_b32 vcc_lo, exec_lo, s2
	s_cbranch_vccnz .LBB13_3
.LBB13_2:
	v_cvt_f32_u32_e32 v1, s3
	s_sub_i32 s4, 0, s3
	s_delay_alu instid0(VALU_DEP_1) | instskip(SKIP_2) | instid1(VALU_DEP_1)
	v_rcp_iflag_f32_e32 v1, v1
	s_waitcnt_depctr 0xfff
	v_mul_f32_e32 v1, 0x4f7ffffe, v1
	v_cvt_u32_f32_e32 v1, v1
	s_delay_alu instid0(VALU_DEP_1) | instskip(NEXT) | instid1(VALU_DEP_1)
	v_readfirstlane_b32 s2, v1
	s_mul_i32 s4, s4, s2
	s_delay_alu instid0(SALU_CYCLE_1) | instskip(NEXT) | instid1(SALU_CYCLE_1)
	s_mul_hi_u32 s4, s2, s4
	s_add_i32 s2, s2, s4
	s_delay_alu instid0(SALU_CYCLE_1) | instskip(NEXT) | instid1(SALU_CYCLE_1)
	s_mul_hi_u32 s2, s15, s2
	s_mul_i32 s4, s2, s3
	s_add_i32 s5, s2, 1
	s_sub_i32 s4, s15, s4
	s_delay_alu instid0(SALU_CYCLE_1)
	s_sub_i32 s6, s4, s3
	s_cmp_ge_u32 s4, s3
	s_cselect_b32 s2, s5, s2
	s_cselect_b32 s4, s6, s4
	s_add_i32 s6, s2, 1
	s_cmp_ge_u32 s4, s3
	s_mov_b32 s5, 0
	s_cselect_b32 s4, s6, s2
.LBB13_3:
	s_clause 0x1
	s_load_b64 s[6:7], s[0:1], 0x40
	s_load_b32 s12, s[0:1], 0x64
	s_lshl_b64 s[8:9], s[4:5], 2
	s_mul_i32 s4, s4, s3
	v_and_b32_e32 v27, 0x3ff, v0
	s_waitcnt lgkmcnt(0)
	s_add_u32 s6, s6, s8
	s_addc_u32 s7, s7, s9
	s_sub_i32 s4, s15, s4
	s_load_b32 s2, s[6:7], 0x0
	s_waitcnt lgkmcnt(0)
	s_sub_i32 s2, s2, s3
	v_cmp_eq_u32_e64 s3, 0, v27
	s_add_i32 s33, s2, s4
	v_cmp_ne_u32_e64 s2, 0, v27
	s_add_i32 s33, s33, 1
	s_add_u32 s24, s0, 0x58
	s_addc_u32 s25, s1, 0
	s_and_saveexec_b32 s4, s3
	s_cbranch_execz .LBB13_5
; %bb.4:
	v_dual_mov_b32 v1, 0 :: v_dual_mov_b32 v2, s22
	v_mov_b32_e32 v3, s33
	ds_store_b96 v1, v[1:3] offset:16896
.LBB13_5:
	s_or_b32 exec_lo, exec_lo, s4
	s_clause 0x3
	s_load_b32 s13, s[0:1], 0x30
	s_load_b128 s[8:11], s[0:1], 0x0
	s_load_b128 s[4:7], s[0:1], 0x18
	s_load_b32 s44, s[0:1], 0x58
	s_mul_hi_u32 s19, s22, s15
	s_waitcnt lgkmcnt(0)
	s_barrier
	buffer_gl0_inv
	s_ashr_i32 s16, s13, 31
	s_mul_hi_u32 s17, s13, s15
	s_mul_i32 s18, s16, s15
	s_mul_i32 s16, s13, s15
	s_add_i32 s17, s17, s18
	s_delay_alu instid0(SALU_CYCLE_1) | instskip(NEXT) | instid1(SALU_CYCLE_1)
	s_lshl_b64 s[16:17], s[16:17], 2
	s_add_u32 s13, s10, s16
	s_addc_u32 s18, s11, s17
	s_cmp_lg_u64 s[10:11], 0
	s_cselect_b32 s11, s18, 0
	s_cselect_b32 s10, s13, 0
	s_ashr_i32 s13, s22, 31
	s_mul_i32 s18, s22, s15
	s_mul_i32 s13, s13, s15
	s_delay_alu instid0(SALU_CYCLE_1) | instskip(NEXT) | instid1(SALU_CYCLE_1)
	s_add_i32 s19, s19, s13
	s_lshl_b64 s[18:19], s[18:19], 2
	s_delay_alu instid0(SALU_CYCLE_1)
	s_add_u32 s23, s4, s18
	s_addc_u32 s30, s5, s19
	s_and_b32 s39, 0xffff, s12
	s_cmp_le_i32 s33, s22
	s_mov_b32 s5, -1
	s_cbranch_scc0 .LBB13_14
; %bb.6:
	v_cmp_gt_i32_e32 vcc_lo, s22, v27
	s_cmp_eq_u32 s14, 0
	s_mov_b32 s5, 0
	s_cselect_b32 s4, -1, 0
	s_delay_alu instid0(SALU_CYCLE_1) | instskip(NEXT) | instid1(SALU_CYCLE_1)
	s_and_b32 s4, s4, vcc_lo
	s_and_saveexec_b32 s12, s4
	s_cbranch_execz .LBB13_13
; %bb.7:
	v_mov_b32_e32 v1, v27
	s_cmp_eq_u64 s[10:11], 0
	s_mov_b32 s13, 0
	s_cselect_b32 s18, -1, 0
	s_set_inst_prefetch_distance 0x1
	s_branch .LBB13_9
	.p2align	6
.LBB13_8:                               ;   in Loop: Header=BB13_9 Depth=1
	s_or_b32 exec_lo, exec_lo, s4
	s_delay_alu instid0(VALU_DEP_1) | instskip(SKIP_1) | instid1(VALU_DEP_1)
	v_lshlrev_b64 v[4:5], 2, v[1:2]
	v_add_nc_u32_e32 v1, s39, v1
	v_cmp_le_i32_e32 vcc_lo, s22, v1
	s_delay_alu instid0(VALU_DEP_3) | instskip(NEXT) | instid1(VALU_DEP_1)
	v_add_co_u32 v4, s4, s23, v4
	v_add_co_ci_u32_e64 v5, s4, s30, v5, s4
	s_or_b32 s13, vcc_lo, s13
	s_waitcnt vmcnt(0)
	global_store_b32 v[4:5], v3, off
	s_and_not1_b32 exec_lo, exec_lo, s13
	s_cbranch_execz .LBB13_13
.LBB13_9:                               ; =>This Inner Loop Header: Depth=1
	v_cmp_le_i32_e32 vcc_lo, s33, v1
                                        ; implicit-def: $vgpr3
	s_or_b32 s4, vcc_lo, s18
	s_delay_alu instid0(SALU_CYCLE_1) | instskip(NEXT) | instid1(SALU_CYCLE_1)
	s_xor_b32 s4, s4, -1
	s_and_saveexec_b32 s19, s4
	s_delay_alu instid0(SALU_CYCLE_1)
	s_xor_b32 s19, exec_lo, s19
	s_cbranch_execz .LBB13_11
; %bb.10:                               ;   in Loop: Header=BB13_9 Depth=1
	v_ashrrev_i32_e32 v2, 31, v1
	s_delay_alu instid0(VALU_DEP_1) | instskip(NEXT) | instid1(VALU_DEP_1)
	v_lshlrev_b64 v[3:4], 2, v[1:2]
	v_add_co_u32 v3, s4, s10, v3
	s_delay_alu instid0(VALU_DEP_1)
	v_add_co_ci_u32_e64 v4, s4, s11, v4, s4
	global_load_b32 v3, v[3:4], off
.LBB13_11:                              ;   in Loop: Header=BB13_9 Depth=1
	s_and_not1_saveexec_b32 s4, s19
	s_cbranch_execz .LBB13_8
; %bb.12:                               ;   in Loop: Header=BB13_9 Depth=1
	s_waitcnt vmcnt(0)
	v_cndmask_b32_e64 v3, v1, -1, vcc_lo
	v_ashrrev_i32_e32 v2, 31, v1
	s_branch .LBB13_8
.LBB13_13:
	s_set_inst_prefetch_distance 0x2
	s_or_b32 exec_lo, exec_lo, s12
.LBB13_14:
	s_delay_alu instid0(SALU_CYCLE_1)
	s_and_not1_b32 vcc_lo, exec_lo, s5
	s_cbranch_vccnz .LBB13_655
; %bb.15:
	s_mul_i32 s4, s15, 0x300
	s_mul_hi_u32 s5, s15, 0x300
	s_add_u32 s12, s6, s4
	s_addc_u32 s13, s7, s5
	s_add_u32 s5, s8, s16
	s_addc_u32 s6, s9, s17
	s_and_b32 s26, s5, 15
	s_mov_b32 s27, 0
	s_sub_i32 s4, 16, s26
	s_load_b64 s[28:29], s[0:1], 0x28
	s_lshr_b32 s4, s4, 2
	s_cmp_lg_u64 s[26:27], 0
	s_mul_hi_u32 s48, s15, 0x6000
	s_cselect_b32 s4, s4, 0
	s_mul_i32 s49, s15, 0x6000
	s_min_i32 s18, s4, s33
	v_dual_mov_b32 v28, 0 :: v_dual_lshlrev_b32 v7, 2, v27
	s_ashr_i32 s19, s18, 31
	s_mul_hi_u32 s9, s39, s44
	s_lshl_b64 s[0:1], s[18:19], 2
	s_mul_i32 s8, s39, s44
	s_add_u32 s15, s5, s0
	s_addc_u32 s26, s6, s1
	s_sub_i32 s0, s33, s18
	v_mad_u64_u32 v[14:15], null, s39, s14, v[27:28]
	s_ashr_i32 s1, s0, 31
	s_mul_hi_u32 s4, s8, 3
	s_lshr_b32 s1, s1, 30
	s_lshl_b64 s[20:21], s[8:9], 4
	s_add_i32 s0, s0, s1
	s_mul_i32 s1, s9, 3
	s_ashr_i32 s16, s0, 2
	s_lshl_b32 s31, s8, 2
	s_add_i32 s37, s4, s1
	s_ashr_i32 s17, s16, 31
	s_add_u32 s40, s15, s20
	s_addc_u32 s41, s26, s21
	s_add_u32 s42, s40, s20
	s_addc_u32 s43, s41, s21
	s_and_b32 s0, s0, -4
	v_mov_b32_e32 v23, v14
	v_add3_u32 v12, s0, s18, v14
	v_ashrrev_i32_e32 v24, 31, v14
	v_lshlrev_b64 v[3:4], 2, v[14:15]
	s_mul_i32 s38, s8, 3
	v_bfe_u32 v44, v0, 10, 10
	v_ashrrev_i32_e32 v13, 31, v12
	v_add_co_u32 v25, vcc_lo, v23, s38
	v_add_co_ci_u32_e32 v26, vcc_lo, s37, v24, vcc_lo
	s_delay_alu instid0(VALU_DEP_3) | instskip(SKIP_4) | instid1(VALU_DEP_3)
	v_lshlrev_b64 v[5:6], 2, v[12:13]
	v_bfe_u32 v13, v0, 20, 10
	v_lshrrev_b32_e32 v0, 3, v27
	v_add_co_u32 v19, vcc_lo, s5, v3
	v_add_co_ci_u32_e32 v20, vcc_lo, s6, v4, vcc_lo
	v_dual_mov_b32 v51, 1 :: v_dual_and_b32 v0, 0x7c, v0
	v_add_nc_u32_e32 v4, -1, v27
	v_or_b32_e32 v3, 0x400, v27
	v_dual_mov_b32 v1, v28 :: v_dual_mov_b32 v2, v14
	s_delay_alu instid0(VALU_DEP_4) | instskip(NEXT) | instid1(VALU_DEP_4)
	v_dual_mov_b32 v50, 0x4204 :: v_dual_add_nc_u32 v45, v7, v0
	v_lshrrev_b32_e32 v0, 5, v4
	s_add_i32 s44, s44, -1
	s_lshl_b32 s45, s39, 8
	v_lshrrev_b32_e32 v3, 3, v3
	s_cmp_eq_u64 s[10:11], 0
	v_add_lshl_u32 v48, v0, v4, 2
	s_cselect_b32 s46, -1, 0
	s_cmp_lg_u64 s[10:11], 0
	v_ashrrev_i64 v[0:1], 30, v[1:2]
	v_and_b32_e32 v3, 0xfc, v3
	v_or_b32_e32 v4, s14, v27
	s_cselect_b32 s9, -1, 0
	s_add_u32 s14, s10, 4
	v_cmp_gt_u64_e64 s1, s[18:19], v[14:15]
	s_addc_u32 s19, s11, 0
	v_cmp_gt_i32_e64 s0, s33, v12
	v_add_co_u32 v15, vcc_lo, s5, v5
	s_add_u32 s33, s10, 8
	s_addc_u32 s34, s11, 0
	v_add_co_ci_u32_e32 v16, vcc_lo, s6, v6, vcc_lo
	s_mov_b64 s[6:7], src_shared_base
	s_add_u32 s35, s10, 12
	v_lshlrev_b32_e32 v8, 1, v27
	v_lshrrev_b32_e32 v9, 4, v27
	v_add_nc_u32_e32 v46, v7, v3
	v_lshlrev_b32_e32 v3, 7, v27
	v_add_co_u32 v21, vcc_lo, s10, v0
	s_addc_u32 s36, s11, 0
	s_lshl_b32 s47, s39, 2
	v_dual_mov_b32 v32, s7 :: v_dual_add_nc_u32 v29, 0x2100, v7
	v_mov_b32_e32 v30, s7
	s_waitcnt lgkmcnt(0)
	s_add_u32 s7, s28, s49
	v_add_co_ci_u32_e32 v22, vcc_lo, s11, v1, vcc_lo
	v_add_co_u32 v17, vcc_lo, s10, v5
	s_addc_u32 s28, s29, s48
	v_add_co_u32 v33, s7, s7, v7
	v_cmp_gt_u64_e64 s4, s[16:17], v[25:26]
	v_add_nc_u32_e32 v31, 0x3100, v7
	v_add_lshl_u32 v47, v9, v8, 2
	v_cmp_gt_u32_e64 s5, 32, v27
	v_cmp_eq_u32_e64 s6, 0, v4
	v_add_co_ci_u32_e32 v18, vcc_lo, s11, v6, vcc_lo
	v_add_co_ci_u32_e64 v34, null, s28, 0, s7
	v_add_nc_u32_e32 v49, 0x20fc, v7
	v_add_nc_u32_e32 v52, v7, v3
	v_mbcnt_lo_u32_b32 v53, -1, 0
	s_branch .LBB13_18
.LBB13_16:                              ;   in Loop: Header=BB13_18 Depth=1
	s_mov_b32 s7, -1
	s_mov_b32 s29, -1
                                        ; implicit-def: $sgpr27
                                        ; implicit-def: $vgpr33_vgpr34
                                        ; implicit-def: $sgpr28
.LBB13_17:                              ;   in Loop: Header=BB13_18 Depth=1
	s_delay_alu instid0(SALU_CYCLE_1)
	s_and_b32 vcc_lo, exec_lo, s29
	s_cbranch_vccnz .LBB13_497
.LBB13_18:                              ; =>This Loop Header: Depth=1
                                        ;     Child Loop BB13_20 Depth 2
                                        ;     Child Loop BB13_26 Depth 2
	;; [unrolled: 1-line block ×12, first 2 shown]
	s_waitcnt lgkmcnt(0)
	ds_load_2addr_b32 v[35:36], v50 offset1:1
	s_waitcnt lgkmcnt(0)
	v_cmp_eq_u32_e32 vcc_lo, 0, v36
	s_cbranch_vccnz .LBB13_16
; %bb.19:                               ;   in Loop: Header=BB13_18 Depth=1
	v_dual_mov_b32 v0, v29 :: v_dual_mov_b32 v1, v27
	s_mov_b32 s7, 0
.LBB13_20:                              ;   Parent Loop BB13_18 Depth=1
                                        ; =>  This Inner Loop Header: Depth=2
	s_delay_alu instid0(VALU_DEP_1) | instskip(SKIP_4) | instid1(SALU_CYCLE_1)
	v_add_nc_u32_e32 v1, s39, v1
	ds_store_b32 v0, v28
	v_add_nc_u32_e32 v0, s47, v0
	v_cmp_lt_u32_e32 vcc_lo, 0x7ff, v1
	s_or_b32 s7, vcc_lo, s7
	s_and_not1_b32 exec_lo, exec_lo, s7
	s_cbranch_execnz .LBB13_20
; %bb.21:                               ;   in Loop: Header=BB13_18 Depth=1
	s_or_b32 exec_lo, exec_lo, s7
	v_cmp_ne_u32_e32 vcc_lo, v36, v35
	s_mul_i32 s28, s27, -11
	s_waitcnt vmcnt(0) lgkmcnt(0)
	s_waitcnt_vscnt null, 0x0
	s_barrier
	buffer_gl0_inv
	s_cbranch_vccz .LBB13_58
; %bb.22:                               ;   in Loop: Header=BB13_18 Depth=1
	s_max_i32 s29, s28, 0xffffffeb
	s_delay_alu instid0(SALU_CYCLE_1)
	s_add_i32 s29, s29, 21
	s_cmp_lg_u32 s27, 0
	s_cbranch_scc0 .LBB13_59
; %bb.23:                               ;   in Loop: Header=BB13_18 Depth=1
	ds_load_b32 v38, v28 offset:16896
	v_mov_b32_e32 v36, v14
	s_add_i32 s7, s28, 32
	s_and_saveexec_b32 s48, s4
	s_cbranch_execz .LBB13_61
; %bb.24:                               ;   in Loop: Header=BB13_18 Depth=1
	v_dual_mov_b32 v8, v25 :: v_dual_mov_b32 v9, v26
	v_dual_mov_b32 v37, v24 :: v_dual_mov_b32 v36, v23
	s_lshl_b32 s50, -1, s7
	s_mov_b32 s49, 0
	s_branch .LBB13_26
.LBB13_25:                              ;   in Loop: Header=BB13_26 Depth=2
	s_or_b32 exec_lo, exec_lo, s51
	v_add_nc_u32_e32 v36, s31, v36
	s_delay_alu instid0(VALU_DEP_1) | instskip(SKIP_1) | instid1(VALU_DEP_2)
	v_ashrrev_i32_e32 v37, 31, v36
	v_add_co_u32 v8, vcc_lo, s38, v36
	v_add_co_ci_u32_e32 v9, vcc_lo, s37, v37, vcc_lo
	s_delay_alu instid0(VALU_DEP_1) | instskip(SKIP_1) | instid1(SALU_CYCLE_1)
	v_cmp_le_u64_e32 vcc_lo, s[16:17], v[8:9]
	s_or_b32 s49, vcc_lo, s49
	s_and_not1_b32 exec_lo, exec_lo, s49
	s_cbranch_execz .LBB13_60
.LBB13_26:                              ;   Parent Loop BB13_18 Depth=1
                                        ; =>  This Inner Loop Header: Depth=2
	s_delay_alu instid0(VALU_DEP_1) | instskip(SKIP_1) | instid1(VALU_DEP_1)
	v_lshlrev_b64 v[10:11], 4, v[36:37]
	s_mov_b32 s51, exec_lo
	v_add_co_u32 v0, vcc_lo, s15, v10
	s_delay_alu instid0(VALU_DEP_2)
	v_add_co_ci_u32_e32 v1, vcc_lo, s26, v11, vcc_lo
	v_add_co_u32 v4, vcc_lo, s40, v10
	v_add_co_ci_u32_e32 v5, vcc_lo, s41, v11, vcc_lo
	s_clause 0x1
	global_load_b128 v[0:3], v[0:1], off
	global_load_b128 v[4:7], v[4:5], off
	s_waitcnt vmcnt(1)
	v_cmp_gt_i32_e32 vcc_lo, 0, v0
	v_cndmask_b32_e64 v37, 0x7fffffff, 0, vcc_lo
	s_delay_alu instid0(VALU_DEP_1) | instskip(NEXT) | instid1(VALU_DEP_1)
	v_xor_b32_e32 v0, v37, v0
	v_and_b32_e32 v37, s50, v0
	s_waitcnt lgkmcnt(0)
	s_delay_alu instid0(VALU_DEP_1)
	v_cmpx_eq_u32_e64 v37, v38
	s_cbranch_execz .LBB13_28
; %bb.27:                               ;   in Loop: Header=BB13_26 Depth=2
	v_bfe_u32 v0, v0, s29, 11
	s_delay_alu instid0(VALU_DEP_1)
	v_lshlrev_b32_e32 v0, 2, v0
	ds_add_u32 v0, v51 offset:8448
.LBB13_28:                              ;   in Loop: Header=BB13_26 Depth=2
	s_or_b32 exec_lo, exec_lo, s51
	v_cmp_gt_i32_e32 vcc_lo, 0, v1
	s_mov_b32 s51, exec_lo
	v_cndmask_b32_e64 v0, 0x7fffffff, 0, vcc_lo
	s_delay_alu instid0(VALU_DEP_1) | instskip(NEXT) | instid1(VALU_DEP_1)
	v_xor_b32_e32 v0, v0, v1
	v_and_b32_e32 v1, s50, v0
	s_delay_alu instid0(VALU_DEP_1)
	v_cmpx_eq_u32_e64 v1, v38
	s_cbranch_execz .LBB13_30
; %bb.29:                               ;   in Loop: Header=BB13_26 Depth=2
	v_bfe_u32 v0, v0, s29, 11
	s_delay_alu instid0(VALU_DEP_1)
	v_lshlrev_b32_e32 v0, 2, v0
	ds_add_u32 v0, v51 offset:8448
.LBB13_30:                              ;   in Loop: Header=BB13_26 Depth=2
	s_or_b32 exec_lo, exec_lo, s51
	v_cmp_gt_i32_e32 vcc_lo, 0, v2
	s_mov_b32 s51, exec_lo
	v_cndmask_b32_e64 v0, 0x7fffffff, 0, vcc_lo
	s_delay_alu instid0(VALU_DEP_1) | instskip(NEXT) | instid1(VALU_DEP_1)
	v_xor_b32_e32 v0, v0, v2
	v_and_b32_e32 v1, s50, v0
	;; [unrolled: 16-line block ×3, first 2 shown]
	s_delay_alu instid0(VALU_DEP_1)
	v_cmpx_eq_u32_e64 v1, v38
	s_cbranch_execz .LBB13_34
; %bb.33:                               ;   in Loop: Header=BB13_26 Depth=2
	v_bfe_u32 v0, v0, s29, 11
	s_delay_alu instid0(VALU_DEP_1)
	v_lshlrev_b32_e32 v0, 2, v0
	ds_add_u32 v0, v51 offset:8448
.LBB13_34:                              ;   in Loop: Header=BB13_26 Depth=2
	s_or_b32 exec_lo, exec_lo, s51
	v_lshlrev_b64 v[0:1], 4, v[8:9]
	v_add_co_u32 v2, vcc_lo, s42, v10
	v_add_co_ci_u32_e32 v3, vcc_lo, s43, v11, vcc_lo
	s_mov_b32 s51, exec_lo
	s_delay_alu instid0(VALU_DEP_3) | instskip(NEXT) | instid1(VALU_DEP_4)
	v_add_co_u32 v0, vcc_lo, s15, v0
	v_add_co_ci_u32_e32 v1, vcc_lo, s26, v1, vcc_lo
	s_waitcnt vmcnt(0)
	v_cmp_gt_i32_e32 vcc_lo, 0, v4
	s_clause 0x1
	global_load_b128 v[8:11], v[2:3], off
	global_load_b128 v[0:3], v[0:1], off
	v_cndmask_b32_e64 v37, 0x7fffffff, 0, vcc_lo
	s_delay_alu instid0(VALU_DEP_1) | instskip(NEXT) | instid1(VALU_DEP_1)
	v_xor_b32_e32 v4, v37, v4
	v_and_b32_e32 v37, s50, v4
	s_delay_alu instid0(VALU_DEP_1)
	v_cmpx_eq_u32_e64 v37, v38
	s_cbranch_execz .LBB13_36
; %bb.35:                               ;   in Loop: Header=BB13_26 Depth=2
	v_bfe_u32 v4, v4, s29, 11
	s_delay_alu instid0(VALU_DEP_1)
	v_lshlrev_b32_e32 v4, 2, v4
	ds_add_u32 v4, v51 offset:8448
.LBB13_36:                              ;   in Loop: Header=BB13_26 Depth=2
	s_or_b32 exec_lo, exec_lo, s51
	v_cmp_gt_i32_e32 vcc_lo, 0, v5
	s_mov_b32 s51, exec_lo
	v_cndmask_b32_e64 v4, 0x7fffffff, 0, vcc_lo
	s_delay_alu instid0(VALU_DEP_1) | instskip(NEXT) | instid1(VALU_DEP_1)
	v_xor_b32_e32 v4, v4, v5
	v_and_b32_e32 v5, s50, v4
	s_delay_alu instid0(VALU_DEP_1)
	v_cmpx_eq_u32_e64 v5, v38
	s_cbranch_execz .LBB13_38
; %bb.37:                               ;   in Loop: Header=BB13_26 Depth=2
	v_bfe_u32 v4, v4, s29, 11
	s_delay_alu instid0(VALU_DEP_1)
	v_lshlrev_b32_e32 v4, 2, v4
	ds_add_u32 v4, v51 offset:8448
.LBB13_38:                              ;   in Loop: Header=BB13_26 Depth=2
	s_or_b32 exec_lo, exec_lo, s51
	v_cmp_gt_i32_e32 vcc_lo, 0, v6
	s_mov_b32 s51, exec_lo
	;; [unrolled: 16-line block ×3, first 2 shown]
	v_cndmask_b32_e64 v4, 0x7fffffff, 0, vcc_lo
	s_delay_alu instid0(VALU_DEP_1) | instskip(NEXT) | instid1(VALU_DEP_1)
	v_xor_b32_e32 v4, v4, v7
	v_and_b32_e32 v5, s50, v4
	s_delay_alu instid0(VALU_DEP_1)
	v_cmpx_eq_u32_e64 v5, v38
	s_cbranch_execz .LBB13_42
; %bb.41:                               ;   in Loop: Header=BB13_26 Depth=2
	v_bfe_u32 v4, v4, s29, 11
	s_delay_alu instid0(VALU_DEP_1)
	v_lshlrev_b32_e32 v4, 2, v4
	ds_add_u32 v4, v51 offset:8448
.LBB13_42:                              ;   in Loop: Header=BB13_26 Depth=2
	s_or_b32 exec_lo, exec_lo, s51
	s_waitcnt vmcnt(1)
	v_cmp_gt_i32_e32 vcc_lo, 0, v8
	s_mov_b32 s51, exec_lo
	v_cndmask_b32_e64 v4, 0x7fffffff, 0, vcc_lo
	s_delay_alu instid0(VALU_DEP_1) | instskip(NEXT) | instid1(VALU_DEP_1)
	v_xor_b32_e32 v4, v4, v8
	v_and_b32_e32 v5, s50, v4
	s_delay_alu instid0(VALU_DEP_1)
	v_cmpx_eq_u32_e64 v5, v38
	s_cbranch_execz .LBB13_44
; %bb.43:                               ;   in Loop: Header=BB13_26 Depth=2
	v_bfe_u32 v4, v4, s29, 11
	s_delay_alu instid0(VALU_DEP_1)
	v_lshlrev_b32_e32 v4, 2, v4
	ds_add_u32 v4, v51 offset:8448
.LBB13_44:                              ;   in Loop: Header=BB13_26 Depth=2
	s_or_b32 exec_lo, exec_lo, s51
	v_cmp_gt_i32_e32 vcc_lo, 0, v9
	s_mov_b32 s51, exec_lo
	v_cndmask_b32_e64 v4, 0x7fffffff, 0, vcc_lo
	s_delay_alu instid0(VALU_DEP_1) | instskip(NEXT) | instid1(VALU_DEP_1)
	v_xor_b32_e32 v4, v4, v9
	v_and_b32_e32 v5, s50, v4
	s_delay_alu instid0(VALU_DEP_1)
	v_cmpx_eq_u32_e64 v5, v38
	s_cbranch_execz .LBB13_46
; %bb.45:                               ;   in Loop: Header=BB13_26 Depth=2
	v_bfe_u32 v4, v4, s29, 11
	s_delay_alu instid0(VALU_DEP_1)
	v_lshlrev_b32_e32 v4, 2, v4
	ds_add_u32 v4, v51 offset:8448
.LBB13_46:                              ;   in Loop: Header=BB13_26 Depth=2
	s_or_b32 exec_lo, exec_lo, s51
	;; [unrolled: 16-line block ×4, first 2 shown]
	s_waitcnt vmcnt(0)
	v_cmp_gt_i32_e32 vcc_lo, 0, v0
	s_mov_b32 s51, exec_lo
	v_cndmask_b32_e64 v4, 0x7fffffff, 0, vcc_lo
	s_delay_alu instid0(VALU_DEP_1) | instskip(NEXT) | instid1(VALU_DEP_1)
	v_xor_b32_e32 v0, v4, v0
	v_and_b32_e32 v4, s50, v0
	s_delay_alu instid0(VALU_DEP_1)
	v_cmpx_eq_u32_e64 v4, v38
	s_cbranch_execz .LBB13_52
; %bb.51:                               ;   in Loop: Header=BB13_26 Depth=2
	v_bfe_u32 v0, v0, s29, 11
	s_delay_alu instid0(VALU_DEP_1)
	v_lshlrev_b32_e32 v0, 2, v0
	ds_add_u32 v0, v51 offset:8448
.LBB13_52:                              ;   in Loop: Header=BB13_26 Depth=2
	s_or_b32 exec_lo, exec_lo, s51
	v_cmp_gt_i32_e32 vcc_lo, 0, v1
	s_mov_b32 s51, exec_lo
	v_cndmask_b32_e64 v0, 0x7fffffff, 0, vcc_lo
	s_delay_alu instid0(VALU_DEP_1) | instskip(NEXT) | instid1(VALU_DEP_1)
	v_xor_b32_e32 v0, v0, v1
	v_and_b32_e32 v1, s50, v0
	s_delay_alu instid0(VALU_DEP_1)
	v_cmpx_eq_u32_e64 v1, v38
	s_cbranch_execz .LBB13_54
; %bb.53:                               ;   in Loop: Header=BB13_26 Depth=2
	v_bfe_u32 v0, v0, s29, 11
	s_delay_alu instid0(VALU_DEP_1)
	v_lshlrev_b32_e32 v0, 2, v0
	ds_add_u32 v0, v51 offset:8448
.LBB13_54:                              ;   in Loop: Header=BB13_26 Depth=2
	s_or_b32 exec_lo, exec_lo, s51
	;; [unrolled: 16-line block ×3, first 2 shown]
	v_cmp_gt_i32_e32 vcc_lo, 0, v3
	s_mov_b32 s51, exec_lo
	v_cndmask_b32_e64 v0, 0x7fffffff, 0, vcc_lo
	s_delay_alu instid0(VALU_DEP_1) | instskip(NEXT) | instid1(VALU_DEP_1)
	v_xor_b32_e32 v0, v0, v3
	v_and_b32_e32 v1, s50, v0
	s_delay_alu instid0(VALU_DEP_1)
	v_cmpx_eq_u32_e64 v1, v38
	s_cbranch_execz .LBB13_25
; %bb.57:                               ;   in Loop: Header=BB13_26 Depth=2
	v_bfe_u32 v0, v0, s29, 11
	s_delay_alu instid0(VALU_DEP_1)
	v_lshlrev_b32_e32 v0, 2, v0
	ds_add_u32 v0, v51 offset:8448
	s_branch .LBB13_25
.LBB13_58:                              ;   in Loop: Header=BB13_18 Depth=1
	s_mov_b32 s29, -1
	s_mov_b32 s7, 0
                                        ; implicit-def: $sgpr27
                                        ; implicit-def: $vgpr33_vgpr34
	s_branch .LBB13_17
.LBB13_59:                              ;   in Loop: Header=BB13_18 Depth=1
	s_mov_b32 s48, 0
                                        ; implicit-def: $vgpr0
	s_cbranch_execnz .LBB13_80
	s_branch .LBB13_92
.LBB13_60:                              ;   in Loop: Header=BB13_18 Depth=1
	s_or_b32 exec_lo, exec_lo, s49
.LBB13_61:                              ;   in Loop: Header=BB13_18 Depth=1
	s_delay_alu instid0(SALU_CYCLE_1) | instskip(NEXT) | instid1(SALU_CYCLE_1)
	s_or_b32 exec_lo, exec_lo, s48
	s_mov_b32 s48, exec_lo
	v_cmpx_gt_i32_e64 s16, v36
	s_cbranch_execz .LBB13_72
; %bb.62:                               ;   in Loop: Header=BB13_18 Depth=1
	s_lshl_b32 s49, -1, s7
	s_mov_b32 s50, 0
	s_branch .LBB13_64
.LBB13_63:                              ;   in Loop: Header=BB13_64 Depth=2
	s_or_b32 exec_lo, exec_lo, s51
	v_add_nc_u32_e32 v36, s8, v36
	s_delay_alu instid0(VALU_DEP_1) | instskip(SKIP_1) | instid1(SALU_CYCLE_1)
	v_cmp_le_i32_e32 vcc_lo, s16, v36
	s_or_b32 s50, vcc_lo, s50
	s_and_not1_b32 exec_lo, exec_lo, s50
	s_cbranch_execz .LBB13_72
.LBB13_64:                              ;   Parent Loop BB13_18 Depth=1
                                        ; =>  This Inner Loop Header: Depth=2
	v_ashrrev_i32_e32 v37, 31, v36
	s_mov_b32 s51, exec_lo
	s_delay_alu instid0(VALU_DEP_1) | instskip(NEXT) | instid1(VALU_DEP_1)
	v_lshlrev_b64 v[0:1], 4, v[36:37]
	v_add_co_u32 v0, vcc_lo, s15, v0
	s_delay_alu instid0(VALU_DEP_2) | instskip(SKIP_4) | instid1(VALU_DEP_1)
	v_add_co_ci_u32_e32 v1, vcc_lo, s26, v1, vcc_lo
	global_load_b128 v[0:3], v[0:1], off
	s_waitcnt vmcnt(0)
	v_cmp_gt_i32_e32 vcc_lo, 0, v0
	v_cndmask_b32_e64 v4, 0x7fffffff, 0, vcc_lo
	v_xor_b32_e32 v0, v4, v0
	s_delay_alu instid0(VALU_DEP_1) | instskip(SKIP_1) | instid1(VALU_DEP_1)
	v_and_b32_e32 v4, s49, v0
	s_waitcnt lgkmcnt(0)
	v_cmpx_eq_u32_e64 v4, v38
	s_cbranch_execz .LBB13_66
; %bb.65:                               ;   in Loop: Header=BB13_64 Depth=2
	v_bfe_u32 v0, v0, s29, 11
	s_delay_alu instid0(VALU_DEP_1)
	v_lshlrev_b32_e32 v0, 2, v0
	ds_add_u32 v0, v51 offset:8448
.LBB13_66:                              ;   in Loop: Header=BB13_64 Depth=2
	s_or_b32 exec_lo, exec_lo, s51
	v_cmp_gt_i32_e32 vcc_lo, 0, v1
	s_mov_b32 s51, exec_lo
	v_cndmask_b32_e64 v0, 0x7fffffff, 0, vcc_lo
	s_delay_alu instid0(VALU_DEP_1) | instskip(NEXT) | instid1(VALU_DEP_1)
	v_xor_b32_e32 v0, v0, v1
	v_and_b32_e32 v1, s49, v0
	s_delay_alu instid0(VALU_DEP_1)
	v_cmpx_eq_u32_e64 v1, v38
	s_cbranch_execz .LBB13_68
; %bb.67:                               ;   in Loop: Header=BB13_64 Depth=2
	v_bfe_u32 v0, v0, s29, 11
	s_delay_alu instid0(VALU_DEP_1)
	v_lshlrev_b32_e32 v0, 2, v0
	ds_add_u32 v0, v51 offset:8448
.LBB13_68:                              ;   in Loop: Header=BB13_64 Depth=2
	s_or_b32 exec_lo, exec_lo, s51
	v_cmp_gt_i32_e32 vcc_lo, 0, v2
	s_mov_b32 s51, exec_lo
	v_cndmask_b32_e64 v0, 0x7fffffff, 0, vcc_lo
	s_delay_alu instid0(VALU_DEP_1) | instskip(NEXT) | instid1(VALU_DEP_1)
	v_xor_b32_e32 v0, v0, v2
	v_and_b32_e32 v1, s49, v0
	s_delay_alu instid0(VALU_DEP_1)
	;; [unrolled: 16-line block ×3, first 2 shown]
	v_cmpx_eq_u32_e64 v1, v38
	s_cbranch_execz .LBB13_63
; %bb.71:                               ;   in Loop: Header=BB13_64 Depth=2
	v_bfe_u32 v0, v0, s29, 11
	s_delay_alu instid0(VALU_DEP_1)
	v_lshlrev_b32_e32 v0, 2, v0
	ds_add_u32 v0, v51 offset:8448
	s_branch .LBB13_63
.LBB13_72:                              ;   in Loop: Header=BB13_18 Depth=1
	s_or_b32 exec_lo, exec_lo, s48
	s_and_saveexec_b32 s48, s1
	s_cbranch_execz .LBB13_75
; %bb.73:                               ;   in Loop: Header=BB13_18 Depth=1
	global_load_b32 v0, v[19:20], off
	s_lshl_b32 s49, -1, s7
	s_waitcnt vmcnt(0)
	v_cmp_gt_i32_e32 vcc_lo, 0, v0
	v_cndmask_b32_e64 v1, 0x7fffffff, 0, vcc_lo
	s_delay_alu instid0(VALU_DEP_1) | instskip(NEXT) | instid1(VALU_DEP_1)
	v_xor_b32_e32 v0, v1, v0
	v_and_b32_e32 v1, s49, v0
	s_waitcnt lgkmcnt(0)
	s_delay_alu instid0(VALU_DEP_1)
	v_cmp_eq_u32_e32 vcc_lo, v1, v38
	s_and_b32 exec_lo, exec_lo, vcc_lo
	s_cbranch_execz .LBB13_75
; %bb.74:                               ;   in Loop: Header=BB13_18 Depth=1
	v_bfe_u32 v0, v0, s29, 11
	s_delay_alu instid0(VALU_DEP_1)
	v_lshlrev_b32_e32 v0, 2, v0
	ds_add_u32 v0, v51 offset:8448
.LBB13_75:                              ;   in Loop: Header=BB13_18 Depth=1
	s_or_b32 exec_lo, exec_lo, s48
	s_mov_b32 s49, 0
	s_mov_b32 s48, 0
                                        ; implicit-def: $vgpr0
	s_and_saveexec_b32 s50, s0
	s_cbranch_execz .LBB13_79
; %bb.76:                               ;   in Loop: Header=BB13_18 Depth=1
	global_load_b32 v0, v[15:16], off
	s_lshl_b32 s7, -1, s7
	s_waitcnt vmcnt(0)
	v_cmp_gt_i32_e32 vcc_lo, 0, v0
	v_cndmask_b32_e64 v1, 0x7fffffff, 0, vcc_lo
	s_delay_alu instid0(VALU_DEP_1) | instskip(NEXT) | instid1(VALU_DEP_1)
	v_xor_b32_e32 v1, v1, v0
	v_and_b32_e32 v0, s7, v1
	s_mov_b32 s7, 0
	s_waitcnt lgkmcnt(0)
	s_delay_alu instid0(VALU_DEP_1) | instskip(SKIP_1) | instid1(SALU_CYCLE_1)
	v_cmp_eq_u32_e32 vcc_lo, v0, v38
                                        ; implicit-def: $vgpr0
	s_and_saveexec_b32 s48, vcc_lo
	s_xor_b32 s48, exec_lo, s48
; %bb.77:                               ;   in Loop: Header=BB13_18 Depth=1
	s_mov_b32 s7, exec_lo
	v_bfe_u32 v0, v1, s29, 11
; %bb.78:                               ;   in Loop: Header=BB13_18 Depth=1
	s_or_b32 exec_lo, exec_lo, s48
	s_delay_alu instid0(SALU_CYCLE_1)
	s_and_b32 s48, s7, exec_lo
.LBB13_79:                              ;   in Loop: Header=BB13_18 Depth=1
	s_or_b32 exec_lo, exec_lo, s50
	s_delay_alu instid0(SALU_CYCLE_1)
	s_and_b32 vcc_lo, exec_lo, s49
	s_cbranch_vccz .LBB13_92
.LBB13_80:                              ;   in Loop: Header=BB13_18 Depth=1
	v_mov_b32_e32 v0, v14
	s_and_saveexec_b32 s7, s4
	s_cbranch_execz .LBB13_84
; %bb.81:                               ;   in Loop: Header=BB13_18 Depth=1
	v_dual_mov_b32 v2, v25 :: v_dual_mov_b32 v3, v26
	v_dual_mov_b32 v0, v23 :: v_dual_mov_b32 v1, v24
	s_mov_b32 s49, 0
.LBB13_82:                              ;   Parent Loop BB13_18 Depth=1
                                        ; =>  This Inner Loop Header: Depth=2
	s_delay_alu instid0(VALU_DEP_1) | instskip(NEXT) | instid1(VALU_DEP_3)
	v_lshlrev_b64 v[8:9], 4, v[0:1]
	v_lshlrev_b64 v[1:2], 4, v[2:3]
	v_add_nc_u32_e32 v0, s31, v0
	s_delay_alu instid0(VALU_DEP_3) | instskip(NEXT) | instid1(VALU_DEP_4)
	v_add_co_u32 v4, vcc_lo, s15, v8
	v_add_co_ci_u32_e32 v5, vcc_lo, s26, v9, vcc_lo
	v_add_co_u32 v10, vcc_lo, s40, v8
	v_add_co_ci_u32_e32 v11, vcc_lo, s41, v9, vcc_lo
	global_load_b128 v[4:7], v[4:5], off
	v_add_co_u32 v36, vcc_lo, s42, v8
	v_add_co_ci_u32_e32 v37, vcc_lo, s43, v9, vcc_lo
	global_load_b128 v[8:11], v[10:11], off
	s_waitcnt lgkmcnt(0)
	v_add_co_u32 v38, vcc_lo, s15, v1
	v_add_co_ci_u32_e32 v39, vcc_lo, s26, v2, vcc_lo
	s_waitcnt vmcnt(1)
	v_cmp_gt_i32_e32 vcc_lo, 0, v4
	v_cndmask_b32_e64 v1, 0x7fffffff, 0, vcc_lo
	v_cmp_gt_i32_e32 vcc_lo, 0, v5
	s_delay_alu instid0(VALU_DEP_2) | instskip(SKIP_2) | instid1(VALU_DEP_3)
	v_xor_b32_e32 v1, v1, v4
	v_cndmask_b32_e64 v2, 0x7fffffff, 0, vcc_lo
	v_cmp_gt_i32_e32 vcc_lo, 0, v6
	v_bfe_u32 v1, v1, s29, 11
	s_delay_alu instid0(VALU_DEP_3) | instskip(SKIP_2) | instid1(VALU_DEP_4)
	v_xor_b32_e32 v2, v2, v5
	v_cndmask_b32_e64 v3, 0x7fffffff, 0, vcc_lo
	v_cmp_gt_i32_e32 vcc_lo, 0, v7
	v_lshlrev_b32_e32 v1, 2, v1
	s_delay_alu instid0(VALU_DEP_4) | instskip(NEXT) | instid1(VALU_DEP_4)
	v_bfe_u32 v2, v2, s29, 11
	v_xor_b32_e32 v3, v3, v6
	v_cndmask_b32_e64 v40, 0x7fffffff, 0, vcc_lo
	s_waitcnt vmcnt(0)
	v_cmp_gt_i32_e32 vcc_lo, 0, v8
	v_lshlrev_b32_e32 v2, 2, v2
	v_bfe_u32 v3, v3, s29, 11
	v_xor_b32_e32 v4, v40, v7
	v_cndmask_b32_e64 v5, 0x7fffffff, 0, vcc_lo
	v_cmp_gt_i32_e32 vcc_lo, 0, v9
	s_delay_alu instid0(VALU_DEP_4) | instskip(NEXT) | instid1(VALU_DEP_4)
	v_lshlrev_b32_e32 v3, 2, v3
	v_bfe_u32 v4, v4, s29, 11
	s_delay_alu instid0(VALU_DEP_4) | instskip(SKIP_2) | instid1(VALU_DEP_4)
	v_xor_b32_e32 v5, v5, v8
	v_cndmask_b32_e64 v6, 0x7fffffff, 0, vcc_lo
	v_cmp_gt_i32_e32 vcc_lo, 0, v10
	v_lshlrev_b32_e32 v4, 2, v4
	ds_add_u32 v1, v51 offset:8448
	ds_add_u32 v2, v51 offset:8448
	;; [unrolled: 1-line block ×4, first 2 shown]
	s_clause 0x1
	global_load_b128 v[1:4], v[36:37], off
	global_load_b128 v[36:39], v[38:39], off
	v_cndmask_b32_e64 v7, 0x7fffffff, 0, vcc_lo
	v_cmp_gt_i32_e32 vcc_lo, 0, v11
	v_xor_b32_e32 v6, v6, v9
	v_bfe_u32 v5, v5, s29, 11
	s_delay_alu instid0(VALU_DEP_4) | instskip(SKIP_1) | instid1(VALU_DEP_4)
	v_xor_b32_e32 v7, v7, v10
	v_cndmask_b32_e64 v40, 0x7fffffff, 0, vcc_lo
	v_bfe_u32 v6, v6, s29, 11
	s_delay_alu instid0(VALU_DEP_4) | instskip(NEXT) | instid1(VALU_DEP_4)
	v_lshlrev_b32_e32 v5, 2, v5
	v_bfe_u32 v7, v7, s29, 11
	s_delay_alu instid0(VALU_DEP_4) | instskip(NEXT) | instid1(VALU_DEP_4)
	v_xor_b32_e32 v8, v40, v11
	v_lshlrev_b32_e32 v6, 2, v6
	s_delay_alu instid0(VALU_DEP_3) | instskip(NEXT) | instid1(VALU_DEP_3)
	v_lshlrev_b32_e32 v7, 2, v7
	v_bfe_u32 v8, v8, s29, 11
	s_delay_alu instid0(VALU_DEP_1)
	v_lshlrev_b32_e32 v8, 2, v8
	ds_add_u32 v5, v51 offset:8448
	ds_add_u32 v6, v51 offset:8448
	;; [unrolled: 1-line block ×4, first 2 shown]
	s_waitcnt vmcnt(1)
	v_cmp_gt_i32_e32 vcc_lo, 0, v1
	v_cndmask_b32_e64 v5, 0x7fffffff, 0, vcc_lo
	v_cmp_gt_i32_e32 vcc_lo, 0, v2
	s_delay_alu instid0(VALU_DEP_2) | instskip(SKIP_2) | instid1(VALU_DEP_3)
	v_xor_b32_e32 v1, v5, v1
	v_cndmask_b32_e64 v6, 0x7fffffff, 0, vcc_lo
	v_cmp_gt_i32_e32 vcc_lo, 0, v3
	v_bfe_u32 v1, v1, s29, 11
	s_delay_alu instid0(VALU_DEP_3) | instskip(SKIP_2) | instid1(VALU_DEP_4)
	v_xor_b32_e32 v2, v6, v2
	v_cndmask_b32_e64 v7, 0x7fffffff, 0, vcc_lo
	v_cmp_gt_i32_e32 vcc_lo, 0, v4
	v_lshlrev_b32_e32 v1, 2, v1
	s_delay_alu instid0(VALU_DEP_4) | instskip(NEXT) | instid1(VALU_DEP_4)
	v_bfe_u32 v2, v2, s29, 11
	v_xor_b32_e32 v3, v7, v3
	v_cndmask_b32_e64 v8, 0x7fffffff, 0, vcc_lo
	s_waitcnt vmcnt(0)
	v_cmp_gt_i32_e32 vcc_lo, 0, v36
	v_lshlrev_b32_e32 v2, 2, v2
	v_bfe_u32 v3, v3, s29, 11
	v_xor_b32_e32 v4, v8, v4
	v_cndmask_b32_e64 v9, 0x7fffffff, 0, vcc_lo
	v_cmp_gt_i32_e32 vcc_lo, 0, v37
	s_delay_alu instid0(VALU_DEP_4) | instskip(NEXT) | instid1(VALU_DEP_4)
	v_lshlrev_b32_e32 v3, 2, v3
	v_bfe_u32 v4, v4, s29, 11
	s_delay_alu instid0(VALU_DEP_4) | instskip(SKIP_2) | instid1(VALU_DEP_4)
	v_xor_b32_e32 v5, v9, v36
	v_cndmask_b32_e64 v10, 0x7fffffff, 0, vcc_lo
	v_cmp_gt_i32_e32 vcc_lo, 0, v38
	v_lshlrev_b32_e32 v4, 2, v4
	s_delay_alu instid0(VALU_DEP_4) | instskip(NEXT) | instid1(VALU_DEP_4)
	v_bfe_u32 v5, v5, s29, 11
	v_xor_b32_e32 v6, v10, v37
	v_cndmask_b32_e64 v11, 0x7fffffff, 0, vcc_lo
	v_cmp_gt_i32_e32 vcc_lo, 0, v39
	s_delay_alu instid0(VALU_DEP_4) | instskip(NEXT) | instid1(VALU_DEP_4)
	v_lshlrev_b32_e32 v5, 2, v5
	v_bfe_u32 v6, v6, s29, 11
	s_delay_alu instid0(VALU_DEP_4) | instskip(SKIP_1) | instid1(VALU_DEP_3)
	v_xor_b32_e32 v7, v11, v38
	v_cndmask_b32_e64 v40, 0x7fffffff, 0, vcc_lo
	v_lshlrev_b32_e32 v6, 2, v6
	s_delay_alu instid0(VALU_DEP_3) | instskip(NEXT) | instid1(VALU_DEP_3)
	v_bfe_u32 v7, v7, s29, 11
	v_xor_b32_e32 v8, v40, v39
	s_delay_alu instid0(VALU_DEP_2) | instskip(NEXT) | instid1(VALU_DEP_2)
	v_lshlrev_b32_e32 v7, 2, v7
	v_bfe_u32 v8, v8, s29, 11
	s_delay_alu instid0(VALU_DEP_1)
	v_lshlrev_b32_e32 v8, 2, v8
	ds_add_u32 v1, v51 offset:8448
	ds_add_u32 v2, v51 offset:8448
	;; [unrolled: 1-line block ×8, first 2 shown]
	v_ashrrev_i32_e32 v1, 31, v0
	v_add_co_u32 v2, vcc_lo, s38, v0
	s_delay_alu instid0(VALU_DEP_2) | instskip(NEXT) | instid1(VALU_DEP_1)
	v_add_co_ci_u32_e32 v3, vcc_lo, s37, v1, vcc_lo
	v_cmp_le_u64_e32 vcc_lo, s[16:17], v[2:3]
	s_or_b32 s49, vcc_lo, s49
	s_delay_alu instid0(SALU_CYCLE_1)
	s_and_not1_b32 exec_lo, exec_lo, s49
	s_cbranch_execnz .LBB13_82
; %bb.83:                               ;   in Loop: Header=BB13_18 Depth=1
	s_or_b32 exec_lo, exec_lo, s49
.LBB13_84:                              ;   in Loop: Header=BB13_18 Depth=1
	s_delay_alu instid0(SALU_CYCLE_1) | instskip(NEXT) | instid1(SALU_CYCLE_1)
	s_or_b32 exec_lo, exec_lo, s7
	s_mov_b32 s7, exec_lo
	v_cmpx_gt_i32_e64 s16, v0
	s_cbranch_execz .LBB13_87
; %bb.85:                               ;   in Loop: Header=BB13_18 Depth=1
	s_mov_b32 s49, 0
.LBB13_86:                              ;   Parent Loop BB13_18 Depth=1
                                        ; =>  This Inner Loop Header: Depth=2
	v_ashrrev_i32_e32 v1, 31, v0
	s_delay_alu instid0(VALU_DEP_1) | instskip(SKIP_1) | instid1(VALU_DEP_2)
	v_lshlrev_b64 v[1:2], 4, v[0:1]
	v_add_nc_u32_e32 v0, s8, v0
	v_add_co_u32 v1, vcc_lo, s15, v1
	s_delay_alu instid0(VALU_DEP_3)
	v_add_co_ci_u32_e32 v2, vcc_lo, s26, v2, vcc_lo
	global_load_b128 v[1:4], v[1:2], off
	s_waitcnt vmcnt(0)
	v_cmp_gt_i32_e32 vcc_lo, 0, v1
	v_cndmask_b32_e64 v5, 0x7fffffff, 0, vcc_lo
	v_cmp_gt_i32_e32 vcc_lo, 0, v2
	s_delay_alu instid0(VALU_DEP_2) | instskip(SKIP_2) | instid1(VALU_DEP_3)
	v_xor_b32_e32 v1, v5, v1
	v_cndmask_b32_e64 v6, 0x7fffffff, 0, vcc_lo
	v_cmp_gt_i32_e32 vcc_lo, 0, v3
	v_bfe_u32 v1, v1, s29, 11
	s_delay_alu instid0(VALU_DEP_3) | instskip(SKIP_2) | instid1(VALU_DEP_4)
	v_xor_b32_e32 v2, v6, v2
	v_cndmask_b32_e64 v7, 0x7fffffff, 0, vcc_lo
	v_cmp_gt_i32_e32 vcc_lo, 0, v4
	v_lshlrev_b32_e32 v1, 2, v1
	s_delay_alu instid0(VALU_DEP_4) | instskip(NEXT) | instid1(VALU_DEP_4)
	v_bfe_u32 v2, v2, s29, 11
	v_xor_b32_e32 v3, v7, v3
	v_cndmask_b32_e64 v8, 0x7fffffff, 0, vcc_lo
	v_cmp_le_i32_e32 vcc_lo, s16, v0
	s_delay_alu instid0(VALU_DEP_4) | instskip(NEXT) | instid1(VALU_DEP_4)
	v_lshlrev_b32_e32 v2, 2, v2
	v_bfe_u32 v3, v3, s29, 11
	s_delay_alu instid0(VALU_DEP_4) | instskip(SKIP_1) | instid1(VALU_DEP_2)
	v_xor_b32_e32 v4, v8, v4
	s_or_b32 s49, vcc_lo, s49
	v_lshlrev_b32_e32 v3, 2, v3
	s_delay_alu instid0(VALU_DEP_2) | instskip(NEXT) | instid1(VALU_DEP_1)
	v_bfe_u32 v4, v4, s29, 11
	v_lshlrev_b32_e32 v4, 2, v4
	ds_add_u32 v1, v51 offset:8448
	ds_add_u32 v2, v51 offset:8448
	;; [unrolled: 1-line block ×4, first 2 shown]
	s_and_not1_b32 exec_lo, exec_lo, s49
	s_cbranch_execnz .LBB13_86
.LBB13_87:                              ;   in Loop: Header=BB13_18 Depth=1
	s_or_b32 exec_lo, exec_lo, s7
	s_and_saveexec_b32 s7, s1
	s_cbranch_execz .LBB13_89
; %bb.88:                               ;   in Loop: Header=BB13_18 Depth=1
	global_load_b32 v0, v[19:20], off
	s_waitcnt vmcnt(0)
	v_cmp_gt_i32_e32 vcc_lo, 0, v0
	v_cndmask_b32_e64 v1, 0x7fffffff, 0, vcc_lo
	s_delay_alu instid0(VALU_DEP_1) | instskip(NEXT) | instid1(VALU_DEP_1)
	v_xor_b32_e32 v0, v1, v0
	v_bfe_u32 v0, v0, s29, 11
	s_delay_alu instid0(VALU_DEP_1)
	v_lshlrev_b32_e32 v0, 2, v0
	ds_add_u32 v0, v51 offset:8448
.LBB13_89:                              ;   in Loop: Header=BB13_18 Depth=1
	s_or_b32 exec_lo, exec_lo, s7
                                        ; implicit-def: $vgpr0
	s_and_saveexec_b32 s7, s0
	s_cbranch_execz .LBB13_91
; %bb.90:                               ;   in Loop: Header=BB13_18 Depth=1
	global_load_b32 v0, v[15:16], off
	s_or_b32 s48, s48, exec_lo
	s_waitcnt vmcnt(0)
	v_cmp_gt_i32_e32 vcc_lo, 0, v0
	v_cndmask_b32_e64 v1, 0x7fffffff, 0, vcc_lo
	s_delay_alu instid0(VALU_DEP_1) | instskip(NEXT) | instid1(VALU_DEP_1)
	v_xor_b32_e32 v0, v1, v0
	v_bfe_u32 v0, v0, s29, 11
.LBB13_91:                              ;   in Loop: Header=BB13_18 Depth=1
	s_or_b32 exec_lo, exec_lo, s7
.LBB13_92:                              ;   in Loop: Header=BB13_18 Depth=1
	s_and_saveexec_b32 s7, s48
	s_cbranch_execz .LBB13_94
; %bb.93:                               ;   in Loop: Header=BB13_18 Depth=1
	s_delay_alu instid0(VALU_DEP_1)
	v_lshlrev_b32_e32 v0, 2, v0
	ds_add_u32 v0, v51 offset:8448
.LBB13_94:                              ;   in Loop: Header=BB13_18 Depth=1
	s_or_b32 exec_lo, exec_lo, s7
	v_dual_mov_b32 v0, v33 :: v_dual_mov_b32 v3, v27
	v_dual_mov_b32 v2, v29 :: v_dual_mov_b32 v1, v34
	s_mov_b32 s48, 0
	s_waitcnt lgkmcnt(0)
	s_barrier
	buffer_gl0_inv
	s_branch .LBB13_96
	.p2align	6
.LBB13_95:                              ;   in Loop: Header=BB13_96 Depth=2
	s_or_b32 exec_lo, exec_lo, s7
	v_add_nc_u32_e32 v3, s39, v3
	v_add_co_u32 v0, s7, v0, s47
	s_delay_alu instid0(VALU_DEP_1) | instskip(NEXT) | instid1(VALU_DEP_3)
	v_add_co_ci_u32_e64 v1, s7, 0, v1, s7
	v_cmp_lt_u32_e32 vcc_lo, 0x7ff, v3
	v_add_nc_u32_e32 v2, s47, v2
	s_or_b32 s48, vcc_lo, s48
	s_delay_alu instid0(SALU_CYCLE_1)
	s_and_not1_b32 exec_lo, exec_lo, s48
	s_cbranch_execz .LBB13_98
.LBB13_96:                              ;   Parent Loop BB13_18 Depth=1
                                        ; =>  This Inner Loop Header: Depth=2
	ds_load_b32 v4, v2
	s_mov_b32 s7, exec_lo
	s_waitcnt lgkmcnt(0)
	v_cmpx_ne_u32_e32 0, v4
	s_cbranch_execz .LBB13_95
; %bb.97:                               ;   in Loop: Header=BB13_96 Depth=2
	global_atomic_add_u32 v[0:1], v4, off
	s_branch .LBB13_95
.LBB13_98:                              ;   in Loop: Header=BB13_18 Depth=1
	s_or_b32 exec_lo, exec_lo, s48
	s_mov_b32 s7, 0
	s_waitcnt_vscnt null, 0x0
	s_barrier
	buffer_gl0_inv
	s_and_saveexec_b32 s48, s3
	s_cbranch_execz .LBB13_100
; %bb.99:                               ;   in Loop: Header=BB13_18 Depth=1
	v_mov_b32_e32 v0, s44
	global_atomic_inc_u32 v0, v28, v0, s[12:13] offset:256 glc
	s_waitcnt vmcnt(0)
	v_cmp_eq_u32_e32 vcc_lo, s44, v0
	s_and_b32 s7, vcc_lo, exec_lo
.LBB13_100:                             ;   in Loop: Header=BB13_18 Depth=1
	s_or_b32 exec_lo, exec_lo, s48
	global_load_b32 v0, v28, s[24:25] offset:14
	v_cndmask_b32_e64 v1, 0, 1, s7
	s_delay_alu instid0(VALU_DEP_1) | instskip(NEXT) | instid1(VALU_DEP_1)
	v_or_b32_dpp v1, v1, v1 row_shl:1 row_mask:0xf bank_mask:0xf bound_ctrl:1
	v_or_b32_dpp v1, v1, v1 row_shl:2 row_mask:0xf bank_mask:0xf bound_ctrl:1
	s_delay_alu instid0(VALU_DEP_1) | instskip(NEXT) | instid1(VALU_DEP_1)
	v_or_b32_dpp v1, v1, v1 row_shl:4 row_mask:0xf bank_mask:0xf bound_ctrl:1
	v_or_b32_dpp v1, v1, v1 row_shl:8 row_mask:0xf bank_mask:0xf bound_ctrl:1
	s_waitcnt vmcnt(0)
	v_readfirstlane_b32 s48, v0
	s_delay_alu instid0(VALU_DEP_2) | instskip(NEXT) | instid1(VALU_DEP_2)
	v_mov_b32_dpp v0, v1 row_share:0 row_mask:0xf bank_mask:0xf bound_ctrl:1
	s_and_b32 s7, s48, 0xffff
	s_lshr_b32 s48, s48, 16
	s_mul_i32 s49, s45, s7
	s_delay_alu instid0(VALU_DEP_1) | instskip(SKIP_1) | instid1(SALU_CYCLE_1)
	v_permlanex16_b32 v1, v0, 0, 0 op_sel:[0,1]
	s_ashr_i32 s49, s49, 8
	s_mul_i32 s48, s49, s48
	s_delay_alu instid0(VALU_DEP_1) | instskip(SKIP_1) | instid1(SALU_CYCLE_1)
	v_or_b32_e32 v2, v1, v0
	s_add_i32 s48, s48, 31
	s_and_not1_b32 s48, s48, 31
	s_delay_alu instid0(SALU_CYCLE_1)
	s_cmp_eq_u32 s48, 32
	s_cbranch_scc1 .LBB13_109
; %bb.101:                              ;   in Loop: Header=BB13_18 Depth=1
	v_mad_u32_u24 v3, v13, s7, v44
	s_mov_b32 s7, exec_lo
	s_delay_alu instid0(VALU_DEP_1) | instskip(NEXT) | instid1(VALU_DEP_1)
	v_mad_u64_u32 v[0:1], null, v3, s39, v[27:28]
	v_lshrrev_b32_e32 v1, 5, v0
	s_delay_alu instid0(VALU_DEP_1) | instskip(NEXT) | instid1(VALU_DEP_1)
	v_or_b32_e32 v1, v53, v1
	v_cmpx_eq_u32_e32 0, v1
	s_cbranch_execz .LBB13_103
; %bb.102:                              ;   in Loop: Header=BB13_18 Depth=1
	ds_store_b32 v28, v2 offset:16640
.LBB13_103:                             ;   in Loop: Header=BB13_18 Depth=1
	s_or_b32 exec_lo, exec_lo, s7
	v_cmp_eq_u32_e32 vcc_lo, 0, v53
	v_cmp_lt_u32_e64 s7, 31, v0
	s_waitcnt lgkmcnt(0)
	s_barrier
	buffer_gl0_inv
	s_and_b32 s48, s7, vcc_lo
	s_delay_alu instid0(SALU_CYCLE_1)
	s_and_saveexec_b32 s7, s48
	s_cbranch_execz .LBB13_108
; %bb.104:                              ;   in Loop: Header=BB13_18 Depth=1
	s_mov_b32 s49, exec_lo
	s_mov_b32 s48, 0
.LBB13_105:                             ;   Parent Loop BB13_18 Depth=1
                                        ; =>  This Inner Loop Header: Depth=2
	s_ctz_i32_b32 s50, s49
	s_delay_alu instid0(SALU_CYCLE_1) | instskip(SKIP_1) | instid1(SALU_CYCLE_1)
	v_readlane_b32 s51, v2, s50
	s_lshl_b32 s50, 1, s50
	s_and_not1_b32 s49, s49, s50
	s_delay_alu instid0(VALU_DEP_1)
	s_or_b32 s48, s48, s51
	s_cmp_lg_u32 s49, 0
	s_cbranch_scc1 .LBB13_105
; %bb.106:                              ;   in Loop: Header=BB13_18 Depth=1
	v_mbcnt_lo_u32_b32 v0, exec_lo, 0
	s_mov_b32 s49, exec_lo
	s_delay_alu instid0(VALU_DEP_1)
	v_cmpx_eq_u32_e32 0, v0
	s_xor_b32 s49, exec_lo, s49
	s_cbranch_execz .LBB13_108
; %bb.107:                              ;   in Loop: Header=BB13_18 Depth=1
	v_mov_b32_e32 v0, s48
	ds_or_b32 v28, v0 offset:16640
.LBB13_108:                             ;   in Loop: Header=BB13_18 Depth=1
	s_or_b32 exec_lo, exec_lo, s7
	s_waitcnt lgkmcnt(0)
	s_barrier
	buffer_gl0_inv
	ds_load_b32 v2, v28 offset:16640
	s_waitcnt lgkmcnt(0)
	s_barrier
	buffer_gl0_inv
.LBB13_109:                             ;   in Loop: Header=BB13_18 Depth=1
	s_mov_b32 s7, exec_lo
	v_cmpx_ne_u32_e32 0, v2
	s_xor_b32 s7, exec_lo, s7
	s_cbranch_execz .LBB13_113
; %bb.110:                              ;   in Loop: Header=BB13_18 Depth=1
	s_and_saveexec_b32 s48, s3
	s_cbranch_execz .LBB13_112
; %bb.111:                              ;   in Loop: Header=BB13_18 Depth=1
	s_add_i32 s49, s27, 1
	v_dual_mov_b32 v0, s12 :: v_dual_mov_b32 v1, s13
	v_mov_b32_e32 v2, s49
	flat_store_b32 v[0:1], v2 offset:640
.LBB13_112:                             ;   in Loop: Header=BB13_18 Depth=1
	s_or_b32 exec_lo, exec_lo, s48
.LBB13_113:                             ;   in Loop: Header=BB13_18 Depth=1
	s_and_not1_saveexec_b32 s7, s7
	s_cbranch_execz .LBB13_119
; %bb.114:                              ;   in Loop: Header=BB13_18 Depth=1
	s_and_saveexec_b32 s48, s3
	s_cbranch_execz .LBB13_118
; %bb.115:                              ;   in Loop: Header=BB13_18 Depth=1
	v_dual_mov_b32 v0, s12 :: v_dual_mov_b32 v1, s13
	flat_load_b32 v0, v[0:1] offset:640 glc
	s_waitcnt vmcnt(0) lgkmcnt(0)
	buffer_gl1_inv
	buffer_gl0_inv
	v_cmp_ge_u32_e32 vcc_lo, s27, v0
	s_and_b32 exec_lo, exec_lo, vcc_lo
	s_cbranch_execz .LBB13_118
; %bb.116:                              ;   in Loop: Header=BB13_18 Depth=1
	s_mov_b32 s49, 0
.LBB13_117:                             ;   Parent Loop BB13_18 Depth=1
                                        ; =>  This Inner Loop Header: Depth=2
	v_dual_mov_b32 v0, s12 :: v_dual_mov_b32 v1, s13
	s_sleep 1
	flat_load_b32 v0, v[0:1] offset:640 glc
	s_waitcnt vmcnt(0) lgkmcnt(0)
	buffer_gl1_inv
	buffer_gl0_inv
	v_readfirstlane_b32 s50, v0
	s_delay_alu instid0(VALU_DEP_1) | instskip(SKIP_1) | instid1(SALU_CYCLE_1)
	s_cmp_gt_u32 s50, s27
	s_cselect_b32 s50, -1, 0
	s_and_b32 s50, exec_lo, s50
	s_delay_alu instid0(SALU_CYCLE_1) | instskip(NEXT) | instid1(SALU_CYCLE_1)
	s_or_b32 s49, s50, s49
	s_and_not1_b32 exec_lo, exec_lo, s49
	s_cbranch_execnz .LBB13_117
.LBB13_118:                             ;   in Loop: Header=BB13_18 Depth=1
	s_or_b32 exec_lo, exec_lo, s48
	s_waitcnt lgkmcnt(0)
	s_waitcnt_vscnt null, 0x0
	s_barrier
	buffer_gl0_inv
.LBB13_119:                             ;   in Loop: Header=BB13_18 Depth=1
	s_or_b32 exec_lo, exec_lo, s7
	v_dual_mov_b32 v0, v33 :: v_dual_mov_b32 v3, v27
	v_dual_mov_b32 v2, v29 :: v_dual_mov_b32 v1, v34
	s_mov_b32 s48, 0
.LBB13_120:                             ;   Parent Loop BB13_18 Depth=1
                                        ; =>  This Inner Loop Header: Depth=2
	global_load_b32 v4, v[0:1], off
	v_add_nc_u32_e32 v3, s39, v3
	v_add_co_u32 v0, vcc_lo, v0, s47
	v_add_co_ci_u32_e32 v1, vcc_lo, 0, v1, vcc_lo
	s_delay_alu instid0(VALU_DEP_3) | instskip(NEXT) | instid1(VALU_DEP_1)
	v_cmp_lt_u32_e64 s7, 0x7ff, v3
	s_or_b32 s48, s7, s48
	s_waitcnt vmcnt(0)
	ds_store_b32 v2, v4
	v_add_nc_u32_e32 v2, s47, v2
	s_and_not1_b32 exec_lo, exec_lo, s48
	s_cbranch_execnz .LBB13_120
; %bb.121:                              ;   in Loop: Header=BB13_18 Depth=1
	s_or_b32 exec_lo, exec_lo, s48
	s_waitcnt lgkmcnt(0)
	s_waitcnt_vscnt null, 0x0
	s_barrier
	buffer_gl0_inv
	flat_load_b32 v0, v[29:30] glc dlc
	s_waitcnt vmcnt(0)
	flat_load_b32 v1, v[31:32] glc dlc
	s_waitcnt vmcnt(0) lgkmcnt(1)
	ds_store_b32 v45, v0
	s_waitcnt lgkmcnt(1)
	ds_store_b32 v46, v1 offset:4096
	s_waitcnt lgkmcnt(0)
	s_barrier
	buffer_gl0_inv
	ds_load_2addr_b32 v[0:1], v47 offset1:1
	s_waitcnt lgkmcnt(0)
	s_barrier
	buffer_gl0_inv
	v_add_nc_u32_e32 v2, v1, v0
	ds_store_b32 v45, v2
	s_waitcnt lgkmcnt(0)
	s_barrier
	buffer_gl0_inv
	s_and_saveexec_b32 s7, s5
	s_cbranch_execz .LBB13_123
; %bb.122:                              ;   in Loop: Header=BB13_18 Depth=1
	ds_load_2addr_b32 v[3:4], v52 offset1:1
	ds_load_2addr_b32 v[5:6], v52 offset0:2 offset1:3
	ds_load_2addr_b32 v[7:8], v52 offset0:4 offset1:5
	;; [unrolled: 1-line block ×15, first 2 shown]
	v_bfe_i32 v72, v53, 4, 1
	s_waitcnt lgkmcnt(15)
	v_add_nc_u32_e32 v11, v4, v3
	s_waitcnt lgkmcnt(14)
	s_delay_alu instid0(VALU_DEP_1) | instskip(SKIP_1) | instid1(VALU_DEP_1)
	v_add3_u32 v11, v11, v5, v6
	s_waitcnt lgkmcnt(13)
	v_add3_u32 v11, v11, v7, v8
	s_waitcnt lgkmcnt(12)
	s_delay_alu instid0(VALU_DEP_1) | instskip(SKIP_1) | instid1(VALU_DEP_1)
	v_add3_u32 v11, v11, v9, v10
	s_waitcnt lgkmcnt(11)
	v_add3_u32 v11, v11, v36, v37
	;; [unrolled: 5-line block ×7, first 2 shown]
	s_waitcnt lgkmcnt(0)
	s_delay_alu instid0(VALU_DEP_1) | instskip(NEXT) | instid1(VALU_DEP_1)
	v_add3_u32 v11, v11, v68, v69
	v_mov_b32_dpp v71, v11 row_shr:1 row_mask:0xf bank_mask:0xf
	v_and_b32_e32 v70, 15, v53
	s_delay_alu instid0(VALU_DEP_1) | instskip(NEXT) | instid1(VALU_DEP_3)
	v_cmp_ne_u32_e32 vcc_lo, 0, v70
	v_cndmask_b32_e32 v71, 0, v71, vcc_lo
	v_cmp_lt_u32_e32 vcc_lo, 1, v70
	s_delay_alu instid0(VALU_DEP_2) | instskip(NEXT) | instid1(VALU_DEP_1)
	v_add_nc_u32_e32 v11, v71, v11
	v_mov_b32_dpp v71, v11 row_shr:2 row_mask:0xf bank_mask:0xf
	s_delay_alu instid0(VALU_DEP_1) | instskip(SKIP_1) | instid1(VALU_DEP_2)
	v_cndmask_b32_e32 v71, 0, v71, vcc_lo
	v_cmp_lt_u32_e32 vcc_lo, 3, v70
	v_add_nc_u32_e32 v11, v11, v71
	s_delay_alu instid0(VALU_DEP_1) | instskip(NEXT) | instid1(VALU_DEP_1)
	v_mov_b32_dpp v71, v11 row_shr:4 row_mask:0xf bank_mask:0xf
	v_cndmask_b32_e32 v71, 0, v71, vcc_lo
	v_cmp_lt_u32_e32 vcc_lo, 7, v70
	s_delay_alu instid0(VALU_DEP_2) | instskip(NEXT) | instid1(VALU_DEP_1)
	v_add_nc_u32_e32 v11, v11, v71
	v_mov_b32_dpp v71, v11 row_shr:8 row_mask:0xf bank_mask:0xf
	s_delay_alu instid0(VALU_DEP_1) | instskip(NEXT) | instid1(VALU_DEP_1)
	v_dual_cndmask_b32 v70, 0, v71 :: v_dual_add_nc_u32 v71, -1, v53
	v_add_nc_u32_e32 v11, v11, v70
	s_delay_alu instid0(VALU_DEP_2) | instskip(SKIP_2) | instid1(VALU_DEP_1)
	v_cmp_gt_i32_e32 vcc_lo, 0, v71
	ds_swizzle_b32 v70, v11 offset:swizzle(BROADCAST,32,15)
	v_cndmask_b32_e32 v71, v71, v53, vcc_lo
	v_lshlrev_b32_e32 v71, 2, v71
	s_waitcnt lgkmcnt(0)
	v_and_b32_e32 v70, v72, v70
	s_delay_alu instid0(VALU_DEP_1) | instskip(SKIP_3) | instid1(VALU_DEP_1)
	v_add_nc_u32_e32 v11, v11, v70
	ds_bpermute_b32 v11, v71, v11
	s_waitcnt lgkmcnt(0)
	v_add_nc_u32_e32 v3, v11, v3
	v_cndmask_b32_e64 v2, v3, v2, s3
	s_delay_alu instid0(VALU_DEP_1) | instskip(NEXT) | instid1(VALU_DEP_1)
	v_add_nc_u32_e32 v3, v2, v4
	v_add_nc_u32_e32 v4, v3, v5
	s_delay_alu instid0(VALU_DEP_1) | instskip(NEXT) | instid1(VALU_DEP_1)
	v_add_nc_u32_e32 v5, v4, v6
	v_add_nc_u32_e32 v6, v5, v7
	;; [unrolled: 3-line block ×3, first 2 shown]
	s_delay_alu instid0(VALU_DEP_1)
	v_add_nc_u32_e32 v9, v8, v10
	ds_store_2addr_b32 v52, v2, v3 offset1:1
	ds_store_2addr_b32 v52, v4, v5 offset0:2 offset1:3
	ds_store_2addr_b32 v52, v6, v7 offset0:4 offset1:5
	;; [unrolled: 1-line block ×3, first 2 shown]
	v_add_nc_u32_e32 v10, v9, v36
	s_delay_alu instid0(VALU_DEP_1) | instskip(NEXT) | instid1(VALU_DEP_1)
	v_add_nc_u32_e32 v11, v10, v37
	v_add_nc_u32_e32 v36, v11, v38
	s_delay_alu instid0(VALU_DEP_1) | instskip(NEXT) | instid1(VALU_DEP_1)
	v_add_nc_u32_e32 v37, v36, v39
	;; [unrolled: 3-line block ×3, first 2 shown]
	v_add_nc_u32_e32 v40, v39, v42
	s_delay_alu instid0(VALU_DEP_1)
	v_add_nc_u32_e32 v41, v40, v43
	ds_store_2addr_b32 v52, v10, v11 offset0:8 offset1:9
	ds_store_2addr_b32 v52, v36, v37 offset0:10 offset1:11
	;; [unrolled: 1-line block ×4, first 2 shown]
	v_add_nc_u32_e32 v42, v41, v54
	s_delay_alu instid0(VALU_DEP_1) | instskip(NEXT) | instid1(VALU_DEP_1)
	v_add_nc_u32_e32 v43, v42, v55
	v_add_nc_u32_e32 v54, v43, v56
	s_delay_alu instid0(VALU_DEP_1) | instskip(NEXT) | instid1(VALU_DEP_1)
	v_add_nc_u32_e32 v55, v54, v57
	;; [unrolled: 3-line block ×7, first 2 shown]
	v_add_nc_u32_e32 v2, v65, v68
	s_delay_alu instid0(VALU_DEP_1)
	v_add_nc_u32_e32 v3, v2, v69
	ds_store_2addr_b32 v52, v42, v43 offset0:16 offset1:17
	ds_store_2addr_b32 v52, v54, v55 offset0:18 offset1:19
	;; [unrolled: 1-line block ×8, first 2 shown]
.LBB13_123:                             ;   in Loop: Header=BB13_18 Depth=1
	s_or_b32 exec_lo, exec_lo, s7
	v_mov_b32_e32 v2, 0
	s_waitcnt lgkmcnt(0)
	s_barrier
	buffer_gl0_inv
	s_and_saveexec_b32 s7, s2
	s_cbranch_execz .LBB13_125
; %bb.124:                              ;   in Loop: Header=BB13_18 Depth=1
	ds_load_b32 v2, v48
.LBB13_125:                             ;   in Loop: Header=BB13_18 Depth=1
	s_or_b32 exec_lo, exec_lo, s7
	s_waitcnt lgkmcnt(0)
	v_dual_mov_b32 v3, v49 :: v_dual_add_nc_u32 v0, v2, v0
	s_barrier
	buffer_gl0_inv
	v_dual_mov_b32 v4, v27 :: v_dual_add_nc_u32 v1, v0, v1
	s_mov_b32 s48, 0
	ds_store_2addr_b32 v47, v0, v1 offset1:1
	s_waitcnt lgkmcnt(0)
	s_barrier
	buffer_gl0_inv
	ds_load_b32 v0, v45
	ds_load_b32 v1, v46 offset:4096
	s_waitcnt lgkmcnt(1)
	flat_store_b32 v[29:30], v0 dlc
	s_waitcnt_vscnt null, 0x0
	s_waitcnt lgkmcnt(1)
	flat_store_b32 v[31:32], v1 dlc
	s_waitcnt_vscnt null, 0x0
	s_waitcnt lgkmcnt(0)
	s_barrier
	buffer_gl0_inv
	ds_load_b32 v0, v28 offset:16896
	s_set_inst_prefetch_distance 0x1
	s_branch .LBB13_127
	.p2align	6
.LBB13_126:                             ;   in Loop: Header=BB13_127 Depth=2
	s_or_b32 exec_lo, exec_lo, s7
	v_add_nc_u32_e32 v4, s39, v4
	v_add_nc_u32_e32 v3, s47, v3
	s_delay_alu instid0(VALU_DEP_2) | instskip(SKIP_1) | instid1(SALU_CYCLE_1)
	v_cmp_lt_u32_e32 vcc_lo, 0x7ff, v4
	s_or_b32 s48, vcc_lo, s48
	s_and_not1_b32 exec_lo, exec_lo, s48
	s_cbranch_execz .LBB13_131
.LBB13_127:                             ;   Parent Loop BB13_18 Depth=1
                                        ; =>  This Inner Loop Header: Depth=2
	v_mov_b32_e32 v2, 0
	s_mov_b32 s7, exec_lo
	v_cmpx_ne_u32_e32 0, v4
	s_cbranch_execz .LBB13_129
; %bb.128:                              ;   in Loop: Header=BB13_127 Depth=2
	ds_load_b32 v2, v3
.LBB13_129:                             ;   in Loop: Header=BB13_127 Depth=2
	s_or_b32 exec_lo, exec_lo, s7
	ds_load_b32 v5, v3 offset:4
	s_waitcnt lgkmcnt(1)
	v_cmp_gt_i32_e32 vcc_lo, v35, v2
	s_waitcnt lgkmcnt(0)
	v_cmp_ge_i32_e64 s7, v5, v35
	s_delay_alu instid0(VALU_DEP_1) | instskip(NEXT) | instid1(SALU_CYCLE_1)
	s_and_b32 s49, vcc_lo, s7
	s_and_saveexec_b32 s7, s49
	s_cbranch_execz .LBB13_126
; %bb.130:                              ;   in Loop: Header=BB13_127 Depth=2
	v_sub_nc_u32_e32 v1, v35, v2
	v_sub_nc_u32_e32 v2, v5, v2
	v_lshl_or_b32 v0, v4, s29, v0
	ds_store_b96 v28, v[0:2] offset:16896
	s_branch .LBB13_126
.LBB13_131:                             ;   in Loop: Header=BB13_18 Depth=1
	s_set_inst_prefetch_distance 0x2
	s_or_b32 exec_lo, exec_lo, s48
	s_cmp_eq_u32 s27, 2
	s_waitcnt lgkmcnt(0)
	s_barrier
	buffer_gl0_inv
	s_cbranch_scc0 .LBB13_496
; %bb.132:                              ;   in Loop: Header=BB13_18 Depth=1
	ds_load_b64 v[35:36], v28 offset:16896
	s_and_saveexec_b32 s7, s6
	s_cbranch_execz .LBB13_135
; %bb.133:                              ;   in Loop: Header=BB13_18 Depth=1
	s_waitcnt lgkmcnt(0)
	s_clause 0x1
	global_store_b32 v28, v36, s[12:13]
	global_store_b32 v28, v35, s[12:13] offset:12
	s_or_b32 exec_lo, exec_lo, s7
	v_mov_b32_e32 v37, v14
	s_and_saveexec_b32 s7, s4
	s_cbranch_execnz .LBB13_136
.LBB13_134:                             ;   in Loop: Header=BB13_18 Depth=1
	s_or_b32 exec_lo, exec_lo, s7
	s_delay_alu instid0(SALU_CYCLE_1)
	s_mov_b32 s7, exec_lo
	v_cmpx_gt_i32_e64 s16, v37
	s_cbranch_execnz .LBB13_395
	s_branch .LBB13_461
.LBB13_135:                             ;   in Loop: Header=BB13_18 Depth=1
	s_or_b32 exec_lo, exec_lo, s7
	v_mov_b32_e32 v37, v14
	s_and_saveexec_b32 s7, s4
	s_cbranch_execz .LBB13_134
.LBB13_136:                             ;   in Loop: Header=BB13_18 Depth=1
	v_dual_mov_b32 v40, v26 :: v_dual_mov_b32 v39, v25
	v_dual_mov_b32 v38, v24 :: v_dual_mov_b32 v37, v23
	s_mov_b32 s29, 0
	s_branch .LBB13_138
.LBB13_137:                             ;   in Loop: Header=BB13_138 Depth=2
	s_or_b32 exec_lo, exec_lo, s49
	v_add_nc_u32_e32 v37, s31, v37
	s_delay_alu instid0(VALU_DEP_1) | instskip(SKIP_1) | instid1(VALU_DEP_2)
	v_ashrrev_i32_e32 v38, 31, v37
	v_add_co_u32 v39, vcc_lo, s38, v37
	v_add_co_ci_u32_e32 v40, vcc_lo, s37, v38, vcc_lo
	s_delay_alu instid0(VALU_DEP_1) | instskip(SKIP_1) | instid1(SALU_CYCLE_1)
	v_cmp_le_u64_e32 vcc_lo, s[16:17], v[39:40]
	s_or_b32 s29, vcc_lo, s29
	s_and_not1_b32 exec_lo, exec_lo, s29
	s_cbranch_execz .LBB13_394
.LBB13_138:                             ;   Parent Loop BB13_18 Depth=1
                                        ; =>  This Inner Loop Header: Depth=2
	s_delay_alu instid0(VALU_DEP_1) | instskip(SKIP_3) | instid1(VALU_DEP_1)
	v_lshlrev_b64 v[0:1], 4, v[37:38]
	s_mov_b32 s50, 0
	s_mov_b32 s49, 0
	s_mov_b32 s48, exec_lo
                                        ; implicit-def: $vgpr41
	v_add_co_u32 v4, vcc_lo, s15, v0
	s_delay_alu instid0(VALU_DEP_2) | instskip(NEXT) | instid1(VALU_DEP_2)
	v_add_co_ci_u32_e32 v5, vcc_lo, s26, v1, vcc_lo
	v_add_co_u32 v8, vcc_lo, v4, s20
	global_load_b128 v[0:3], v[4:5], off
	v_add_co_ci_u32_e32 v9, vcc_lo, s21, v5, vcc_lo
	global_load_b128 v[4:7], v[8:9], off
	s_waitcnt vmcnt(1)
	v_cmp_gt_i32_e32 vcc_lo, 0, v0
	v_cndmask_b32_e64 v10, 0x7fffffff, 0, vcc_lo
	s_delay_alu instid0(VALU_DEP_1) | instskip(SKIP_2) | instid1(VALU_DEP_2)
	v_xor_b32_e32 v11, v10, v0
	v_lshl_add_u32 v10, v37, 2, s18
                                        ; implicit-def: $vgpr0
	s_waitcnt lgkmcnt(0)
	v_cmpx_ge_u32_e64 v11, v35
	s_xor_b32 s48, exec_lo, s48
	s_cbranch_execz .LBB13_148
; %bb.139:                              ;   in Loop: Header=BB13_138 Depth=2
	s_mov_b32 s51, 0
	s_mov_b32 s49, exec_lo
                                        ; implicit-def: $vgpr41
	v_cmpx_eq_u32_e64 v11, v35
	s_cbranch_execz .LBB13_145
; %bb.140:                              ;   in Loop: Header=BB13_138 Depth=2
	s_mov_b32 s51, exec_lo
	s_mov_b32 s50, exec_lo
	v_mbcnt_lo_u32_b32 v0, s51, 0
                                        ; implicit-def: $vgpr11
	s_delay_alu instid0(VALU_DEP_1)
	v_cmpx_eq_u32_e32 0, v0
	s_cbranch_execz .LBB13_142
; %bb.141:                              ;   in Loop: Header=BB13_138 Depth=2
	s_bcnt1_i32_b32 s51, s51
	s_delay_alu instid0(SALU_CYCLE_1)
	v_mov_b32_e32 v11, s51
	global_atomic_add_u32 v11, v28, v11, s[12:13] offset:512 glc
.LBB13_142:                             ;   in Loop: Header=BB13_138 Depth=2
	s_or_b32 exec_lo, exec_lo, s50
	s_waitcnt vmcnt(0)
	v_readfirstlane_b32 s50, v11
	s_mov_b32 s51, 0
	s_mov_b32 s52, exec_lo
                                        ; implicit-def: $vgpr41
	s_delay_alu instid0(VALU_DEP_1) | instskip(SKIP_1) | instid1(VALU_DEP_1)
	v_add_nc_u32_e32 v0, s50, v0
	s_mov_b32 s50, 0
	v_cmpx_lt_i32_e64 v0, v36
	s_xor_b32 s52, exec_lo, s52
; %bb.143:                              ;   in Loop: Header=BB13_138 Depth=2
	v_xad_u32 v41, v0, -1, s22
	s_and_b32 s51, s46, exec_lo
	s_and_b32 s50, s9, exec_lo
; %bb.144:                              ;   in Loop: Header=BB13_138 Depth=2
	s_or_b32 exec_lo, exec_lo, s52
	s_delay_alu instid0(SALU_CYCLE_1)
	s_and_b32 s51, s51, exec_lo
	s_and_b32 s50, s50, exec_lo
.LBB13_145:                             ;   in Loop: Header=BB13_138 Depth=2
	s_or_b32 exec_lo, exec_lo, s49
	v_mov_b32_e32 v0, v10
	s_and_b32 s49, s51, exec_lo
	s_and_b32 s50, s50, exec_lo
	s_and_not1_saveexec_b32 s48, s48
	s_cbranch_execnz .LBB13_149
.LBB13_146:                             ;   in Loop: Header=BB13_138 Depth=2
	s_or_b32 exec_lo, exec_lo, s48
	v_ashrrev_i32_e32 v11, 31, v10
	s_and_saveexec_b32 s48, s50
	s_cbranch_execz .LBB13_152
.LBB13_147:                             ;   in Loop: Header=BB13_138 Depth=2
	s_delay_alu instid0(VALU_DEP_1) | instskip(SKIP_1) | instid1(VALU_DEP_1)
	v_lshlrev_b64 v[42:43], 2, v[10:11]
	s_or_b32 s49, s49, exec_lo
	v_add_co_u32 v42, vcc_lo, s10, v42
	s_delay_alu instid0(VALU_DEP_2)
	v_add_co_ci_u32_e32 v43, vcc_lo, s11, v43, vcc_lo
	global_load_b32 v0, v[42:43], off
	s_or_b32 exec_lo, exec_lo, s48
	s_and_saveexec_b32 s48, s49
	s_cbranch_execnz .LBB13_153
	s_branch .LBB13_154
.LBB13_148:                             ;   in Loop: Header=BB13_138 Depth=2
	s_and_not1_saveexec_b32 s48, s48
	s_cbranch_execz .LBB13_146
.LBB13_149:                             ;   in Loop: Header=BB13_138 Depth=2
	s_mov_b32 s52, exec_lo
	s_mov_b32 s51, exec_lo
	v_mbcnt_lo_u32_b32 v0, s52, 0
                                        ; implicit-def: $vgpr11
	s_delay_alu instid0(VALU_DEP_1)
	v_cmpx_eq_u32_e32 0, v0
	s_cbranch_execz .LBB13_151
; %bb.150:                              ;   in Loop: Header=BB13_138 Depth=2
	s_bcnt1_i32_b32 s52, s52
	s_delay_alu instid0(SALU_CYCLE_1)
	v_mov_b32_e32 v11, s52
	global_atomic_add_u32 v11, v28, v11, s[12:13] offset:384 glc
.LBB13_151:                             ;   in Loop: Header=BB13_138 Depth=2
	s_or_b32 exec_lo, exec_lo, s51
	s_waitcnt vmcnt(0)
	v_readfirstlane_b32 s51, v11
	s_and_not1_b32 s49, s49, exec_lo
	s_and_b32 s52, s46, exec_lo
	s_and_not1_b32 s50, s50, exec_lo
	s_or_b32 s49, s49, s52
	v_dual_mov_b32 v0, v10 :: v_dual_add_nc_u32 v41, s51, v0
	s_and_b32 s51, s9, exec_lo
	s_delay_alu instid0(SALU_CYCLE_1)
	s_or_b32 s50, s50, s51
	s_or_b32 exec_lo, exec_lo, s48
	v_ashrrev_i32_e32 v11, 31, v10
	s_and_saveexec_b32 s48, s50
	s_cbranch_execnz .LBB13_147
.LBB13_152:                             ;   in Loop: Header=BB13_138 Depth=2
	s_or_b32 exec_lo, exec_lo, s48
	s_and_saveexec_b32 s48, s49
	s_cbranch_execz .LBB13_154
.LBB13_153:                             ;   in Loop: Header=BB13_138 Depth=2
	v_ashrrev_i32_e32 v42, 31, v41
	s_delay_alu instid0(VALU_DEP_1) | instskip(NEXT) | instid1(VALU_DEP_1)
	v_lshlrev_b64 v[41:42], 2, v[41:42]
	v_add_co_u32 v41, vcc_lo, s23, v41
	s_delay_alu instid0(VALU_DEP_2)
	v_add_co_ci_u32_e32 v42, vcc_lo, s30, v42, vcc_lo
	s_waitcnt vmcnt(0)
	global_store_b32 v[41:42], v0, off
.LBB13_154:                             ;   in Loop: Header=BB13_138 Depth=2
	s_or_b32 exec_lo, exec_lo, s48
	v_cmp_gt_i32_e32 vcc_lo, 0, v1
	v_add_nc_u32_e32 v38, 1, v10
	s_mov_b32 s50, 0
	s_mov_b32 s48, 0
	s_mov_b32 s49, exec_lo
	s_waitcnt vmcnt(0)
	v_cndmask_b32_e64 v0, 0x7fffffff, 0, vcc_lo
	s_delay_alu instid0(VALU_DEP_1) | instskip(NEXT) | instid1(VALU_DEP_1)
	v_xor_b32_e32 v1, v0, v1
                                        ; implicit-def: $vgpr0
	v_cmpx_ge_u32_e64 v1, v35
	s_xor_b32 s49, exec_lo, s49
	s_cbranch_execz .LBB13_164
; %bb.155:                              ;   in Loop: Header=BB13_138 Depth=2
	s_mov_b32 s51, 0
	s_mov_b32 s48, exec_lo
                                        ; implicit-def: $vgpr0
	v_cmpx_eq_u32_e64 v1, v35
	s_cbranch_execz .LBB13_161
; %bb.156:                              ;   in Loop: Header=BB13_138 Depth=2
	s_mov_b32 s51, exec_lo
	s_mov_b32 s50, exec_lo
	v_mbcnt_lo_u32_b32 v0, s51, 0
                                        ; implicit-def: $vgpr1
	s_delay_alu instid0(VALU_DEP_1)
	v_cmpx_eq_u32_e32 0, v0
	s_cbranch_execz .LBB13_158
; %bb.157:                              ;   in Loop: Header=BB13_138 Depth=2
	s_bcnt1_i32_b32 s51, s51
	s_delay_alu instid0(SALU_CYCLE_1)
	v_mov_b32_e32 v1, s51
	global_atomic_add_u32 v1, v28, v1, s[12:13] offset:512 glc
.LBB13_158:                             ;   in Loop: Header=BB13_138 Depth=2
	s_or_b32 exec_lo, exec_lo, s50
	s_waitcnt vmcnt(0)
	v_readfirstlane_b32 s50, v1
	s_mov_b32 s51, 0
	s_mov_b32 s52, exec_lo
	s_delay_alu instid0(VALU_DEP_1) | instskip(SKIP_1) | instid1(VALU_DEP_1)
	v_add_nc_u32_e32 v1, s50, v0
	s_mov_b32 s50, 0
                                        ; implicit-def: $vgpr0
	v_cmpx_lt_i32_e64 v1, v36
; %bb.159:                              ;   in Loop: Header=BB13_138 Depth=2
	v_xad_u32 v0, v1, -1, s22
	s_and_b32 s51, s46, exec_lo
	s_and_b32 s50, s9, exec_lo
; %bb.160:                              ;   in Loop: Header=BB13_138 Depth=2
	s_or_b32 exec_lo, exec_lo, s52
	s_delay_alu instid0(SALU_CYCLE_1)
	s_and_b32 s51, s51, exec_lo
	s_and_b32 s50, s50, exec_lo
.LBB13_161:                             ;   in Loop: Header=BB13_138 Depth=2
	s_or_b32 exec_lo, exec_lo, s48
	s_delay_alu instid0(SALU_CYCLE_1)
	s_and_b32 s48, s51, exec_lo
	s_and_b32 s50, s50, exec_lo
	s_and_not1_saveexec_b32 s49, s49
	s_cbranch_execnz .LBB13_165
.LBB13_162:                             ;   in Loop: Header=BB13_138 Depth=2
	s_or_b32 exec_lo, exec_lo, s49
	s_and_saveexec_b32 s49, s50
	s_cbranch_execz .LBB13_168
.LBB13_163:                             ;   in Loop: Header=BB13_138 Depth=2
	v_lshlrev_b64 v[41:42], 2, v[10:11]
	s_or_b32 s48, s48, exec_lo
	s_delay_alu instid0(VALU_DEP_1) | instskip(NEXT) | instid1(VALU_DEP_2)
	v_add_co_u32 v41, vcc_lo, s14, v41
	v_add_co_ci_u32_e32 v42, vcc_lo, s19, v42, vcc_lo
	global_load_b32 v38, v[41:42], off
	s_or_b32 exec_lo, exec_lo, s49
	s_and_saveexec_b32 s49, s48
	s_cbranch_execnz .LBB13_169
	s_branch .LBB13_170
.LBB13_164:                             ;   in Loop: Header=BB13_138 Depth=2
	s_and_not1_saveexec_b32 s49, s49
	s_cbranch_execz .LBB13_162
.LBB13_165:                             ;   in Loop: Header=BB13_138 Depth=2
	s_mov_b32 s52, exec_lo
	s_mov_b32 s51, exec_lo
	v_mbcnt_lo_u32_b32 v0, s52, 0
                                        ; implicit-def: $vgpr1
	s_delay_alu instid0(VALU_DEP_1)
	v_cmpx_eq_u32_e32 0, v0
	s_cbranch_execz .LBB13_167
; %bb.166:                              ;   in Loop: Header=BB13_138 Depth=2
	s_bcnt1_i32_b32 s52, s52
	s_delay_alu instid0(SALU_CYCLE_1)
	v_mov_b32_e32 v1, s52
	global_atomic_add_u32 v1, v28, v1, s[12:13] offset:384 glc
.LBB13_167:                             ;   in Loop: Header=BB13_138 Depth=2
	s_or_b32 exec_lo, exec_lo, s51
	s_waitcnt vmcnt(0)
	v_readfirstlane_b32 s51, v1
	s_and_not1_b32 s48, s48, exec_lo
	s_and_b32 s52, s46, exec_lo
	s_and_not1_b32 s50, s50, exec_lo
	s_or_b32 s48, s48, s52
	v_add_nc_u32_e32 v0, s51, v0
	s_and_b32 s51, s9, exec_lo
	s_delay_alu instid0(SALU_CYCLE_1)
	s_or_b32 s50, s50, s51
	s_or_b32 exec_lo, exec_lo, s49
	s_and_saveexec_b32 s49, s50
	s_cbranch_execnz .LBB13_163
.LBB13_168:                             ;   in Loop: Header=BB13_138 Depth=2
	s_or_b32 exec_lo, exec_lo, s49
	s_and_saveexec_b32 s49, s48
	s_cbranch_execz .LBB13_170
.LBB13_169:                             ;   in Loop: Header=BB13_138 Depth=2
	v_ashrrev_i32_e32 v1, 31, v0
	s_delay_alu instid0(VALU_DEP_1) | instskip(NEXT) | instid1(VALU_DEP_1)
	v_lshlrev_b64 v[0:1], 2, v[0:1]
	v_add_co_u32 v0, vcc_lo, s23, v0
	s_delay_alu instid0(VALU_DEP_2)
	v_add_co_ci_u32_e32 v1, vcc_lo, s30, v1, vcc_lo
	s_waitcnt vmcnt(0)
	global_store_b32 v[0:1], v38, off
.LBB13_170:                             ;   in Loop: Header=BB13_138 Depth=2
	s_or_b32 exec_lo, exec_lo, s49
	v_cmp_gt_i32_e32 vcc_lo, 0, v2
	s_mov_b32 s50, 0
	s_mov_b32 s48, 0
	s_mov_b32 s49, exec_lo
	v_cndmask_b32_e64 v0, 0x7fffffff, 0, vcc_lo
	s_delay_alu instid0(VALU_DEP_1) | instskip(SKIP_1) | instid1(VALU_DEP_2)
	v_xor_b32_e32 v1, v0, v2
	v_add_nc_u32_e32 v2, 2, v10
                                        ; implicit-def: $vgpr0
	v_cmpx_ge_u32_e64 v1, v35
	s_xor_b32 s49, exec_lo, s49
	s_cbranch_execz .LBB13_180
; %bb.171:                              ;   in Loop: Header=BB13_138 Depth=2
	s_mov_b32 s51, 0
	s_mov_b32 s48, exec_lo
                                        ; implicit-def: $vgpr0
	v_cmpx_eq_u32_e64 v1, v35
	s_cbranch_execz .LBB13_177
; %bb.172:                              ;   in Loop: Header=BB13_138 Depth=2
	s_mov_b32 s51, exec_lo
	s_mov_b32 s50, exec_lo
	v_mbcnt_lo_u32_b32 v0, s51, 0
                                        ; implicit-def: $vgpr1
	s_delay_alu instid0(VALU_DEP_1)
	v_cmpx_eq_u32_e32 0, v0
	s_cbranch_execz .LBB13_174
; %bb.173:                              ;   in Loop: Header=BB13_138 Depth=2
	s_bcnt1_i32_b32 s51, s51
	s_delay_alu instid0(SALU_CYCLE_1)
	v_mov_b32_e32 v1, s51
	global_atomic_add_u32 v1, v28, v1, s[12:13] offset:512 glc
.LBB13_174:                             ;   in Loop: Header=BB13_138 Depth=2
	s_or_b32 exec_lo, exec_lo, s50
	s_waitcnt vmcnt(0)
	v_readfirstlane_b32 s50, v1
	s_mov_b32 s51, 0
	s_mov_b32 s52, exec_lo
	s_delay_alu instid0(VALU_DEP_1) | instskip(SKIP_1) | instid1(VALU_DEP_1)
	v_add_nc_u32_e32 v1, s50, v0
	s_mov_b32 s50, 0
                                        ; implicit-def: $vgpr0
	v_cmpx_lt_i32_e64 v1, v36
; %bb.175:                              ;   in Loop: Header=BB13_138 Depth=2
	v_xad_u32 v0, v1, -1, s22
	s_and_b32 s51, s46, exec_lo
	s_and_b32 s50, s9, exec_lo
; %bb.176:                              ;   in Loop: Header=BB13_138 Depth=2
	s_or_b32 exec_lo, exec_lo, s52
	s_delay_alu instid0(SALU_CYCLE_1)
	s_and_b32 s51, s51, exec_lo
	s_and_b32 s50, s50, exec_lo
.LBB13_177:                             ;   in Loop: Header=BB13_138 Depth=2
	s_or_b32 exec_lo, exec_lo, s48
	s_delay_alu instid0(SALU_CYCLE_1)
	s_and_b32 s48, s51, exec_lo
	s_and_b32 s50, s50, exec_lo
	s_and_not1_saveexec_b32 s49, s49
	s_cbranch_execnz .LBB13_181
.LBB13_178:                             ;   in Loop: Header=BB13_138 Depth=2
	s_or_b32 exec_lo, exec_lo, s49
	s_and_saveexec_b32 s49, s50
	s_cbranch_execz .LBB13_184
.LBB13_179:                             ;   in Loop: Header=BB13_138 Depth=2
	v_lshlrev_b64 v[1:2], 2, v[10:11]
	s_or_b32 s48, s48, exec_lo
	s_delay_alu instid0(VALU_DEP_1) | instskip(NEXT) | instid1(VALU_DEP_2)
	v_add_co_u32 v1, vcc_lo, s33, v1
	v_add_co_ci_u32_e32 v2, vcc_lo, s34, v2, vcc_lo
	global_load_b32 v2, v[1:2], off
	s_or_b32 exec_lo, exec_lo, s49
	s_and_saveexec_b32 s49, s48
	s_cbranch_execnz .LBB13_185
	s_branch .LBB13_186
.LBB13_180:                             ;   in Loop: Header=BB13_138 Depth=2
	s_and_not1_saveexec_b32 s49, s49
	s_cbranch_execz .LBB13_178
.LBB13_181:                             ;   in Loop: Header=BB13_138 Depth=2
	s_mov_b32 s52, exec_lo
	s_mov_b32 s51, exec_lo
	v_mbcnt_lo_u32_b32 v0, s52, 0
                                        ; implicit-def: $vgpr1
	s_delay_alu instid0(VALU_DEP_1)
	v_cmpx_eq_u32_e32 0, v0
	s_cbranch_execz .LBB13_183
; %bb.182:                              ;   in Loop: Header=BB13_138 Depth=2
	s_bcnt1_i32_b32 s52, s52
	s_delay_alu instid0(SALU_CYCLE_1)
	v_mov_b32_e32 v1, s52
	global_atomic_add_u32 v1, v28, v1, s[12:13] offset:384 glc
.LBB13_183:                             ;   in Loop: Header=BB13_138 Depth=2
	s_or_b32 exec_lo, exec_lo, s51
	s_waitcnt vmcnt(0)
	v_readfirstlane_b32 s51, v1
	s_and_not1_b32 s48, s48, exec_lo
	s_and_b32 s52, s46, exec_lo
	s_and_not1_b32 s50, s50, exec_lo
	s_or_b32 s48, s48, s52
	v_add_nc_u32_e32 v0, s51, v0
	s_and_b32 s51, s9, exec_lo
	s_delay_alu instid0(SALU_CYCLE_1)
	s_or_b32 s50, s50, s51
	s_or_b32 exec_lo, exec_lo, s49
	s_and_saveexec_b32 s49, s50
	s_cbranch_execnz .LBB13_179
.LBB13_184:                             ;   in Loop: Header=BB13_138 Depth=2
	s_or_b32 exec_lo, exec_lo, s49
	s_and_saveexec_b32 s49, s48
	s_cbranch_execz .LBB13_186
.LBB13_185:                             ;   in Loop: Header=BB13_138 Depth=2
	v_ashrrev_i32_e32 v1, 31, v0
	s_delay_alu instid0(VALU_DEP_1) | instskip(NEXT) | instid1(VALU_DEP_1)
	v_lshlrev_b64 v[0:1], 2, v[0:1]
	v_add_co_u32 v0, vcc_lo, s23, v0
	s_delay_alu instid0(VALU_DEP_2)
	v_add_co_ci_u32_e32 v1, vcc_lo, s30, v1, vcc_lo
	s_waitcnt vmcnt(0)
	global_store_b32 v[0:1], v2, off
.LBB13_186:                             ;   in Loop: Header=BB13_138 Depth=2
	s_or_b32 exec_lo, exec_lo, s49
	v_cmp_gt_i32_e32 vcc_lo, 0, v3
	s_waitcnt vmcnt(0)
	v_add_nc_u32_e32 v2, 3, v10
	s_mov_b32 s50, 0
	s_mov_b32 s48, 0
	s_mov_b32 s49, exec_lo
	v_cndmask_b32_e64 v0, 0x7fffffff, 0, vcc_lo
	s_delay_alu instid0(VALU_DEP_1) | instskip(NEXT) | instid1(VALU_DEP_1)
	v_xor_b32_e32 v1, v0, v3
                                        ; implicit-def: $vgpr0
	v_cmpx_ge_u32_e64 v1, v35
	s_xor_b32 s49, exec_lo, s49
	s_cbranch_execz .LBB13_196
; %bb.187:                              ;   in Loop: Header=BB13_138 Depth=2
	s_mov_b32 s51, 0
	s_mov_b32 s48, exec_lo
                                        ; implicit-def: $vgpr0
	v_cmpx_eq_u32_e64 v1, v35
	s_cbranch_execz .LBB13_193
; %bb.188:                              ;   in Loop: Header=BB13_138 Depth=2
	s_mov_b32 s51, exec_lo
	s_mov_b32 s50, exec_lo
	v_mbcnt_lo_u32_b32 v0, s51, 0
                                        ; implicit-def: $vgpr1
	s_delay_alu instid0(VALU_DEP_1)
	v_cmpx_eq_u32_e32 0, v0
	s_cbranch_execz .LBB13_190
; %bb.189:                              ;   in Loop: Header=BB13_138 Depth=2
	s_bcnt1_i32_b32 s51, s51
	s_delay_alu instid0(SALU_CYCLE_1)
	v_mov_b32_e32 v1, s51
	global_atomic_add_u32 v1, v28, v1, s[12:13] offset:512 glc
.LBB13_190:                             ;   in Loop: Header=BB13_138 Depth=2
	s_or_b32 exec_lo, exec_lo, s50
	s_waitcnt vmcnt(0)
	v_readfirstlane_b32 s50, v1
	s_mov_b32 s51, 0
	s_mov_b32 s52, exec_lo
	s_delay_alu instid0(VALU_DEP_1) | instskip(SKIP_1) | instid1(VALU_DEP_1)
	v_add_nc_u32_e32 v1, s50, v0
	s_mov_b32 s50, 0
                                        ; implicit-def: $vgpr0
	v_cmpx_lt_i32_e64 v1, v36
; %bb.191:                              ;   in Loop: Header=BB13_138 Depth=2
	v_xad_u32 v0, v1, -1, s22
	s_and_b32 s51, s46, exec_lo
	s_and_b32 s50, s9, exec_lo
; %bb.192:                              ;   in Loop: Header=BB13_138 Depth=2
	s_or_b32 exec_lo, exec_lo, s52
	s_delay_alu instid0(SALU_CYCLE_1)
	s_and_b32 s51, s51, exec_lo
	s_and_b32 s50, s50, exec_lo
.LBB13_193:                             ;   in Loop: Header=BB13_138 Depth=2
	s_or_b32 exec_lo, exec_lo, s48
	s_delay_alu instid0(SALU_CYCLE_1)
	s_and_b32 s48, s51, exec_lo
	s_and_b32 s50, s50, exec_lo
	s_and_not1_saveexec_b32 s49, s49
	s_cbranch_execnz .LBB13_197
.LBB13_194:                             ;   in Loop: Header=BB13_138 Depth=2
	s_or_b32 exec_lo, exec_lo, s49
	s_and_saveexec_b32 s49, s50
	s_cbranch_execz .LBB13_200
.LBB13_195:                             ;   in Loop: Header=BB13_138 Depth=2
	v_lshlrev_b64 v[1:2], 2, v[10:11]
	s_or_b32 s48, s48, exec_lo
	s_delay_alu instid0(VALU_DEP_1) | instskip(NEXT) | instid1(VALU_DEP_2)
	v_add_co_u32 v1, vcc_lo, s35, v1
	v_add_co_ci_u32_e32 v2, vcc_lo, s36, v2, vcc_lo
	global_load_b32 v2, v[1:2], off
	s_or_b32 exec_lo, exec_lo, s49
	s_and_saveexec_b32 s49, s48
	s_cbranch_execnz .LBB13_201
	s_branch .LBB13_202
.LBB13_196:                             ;   in Loop: Header=BB13_138 Depth=2
	s_and_not1_saveexec_b32 s49, s49
	s_cbranch_execz .LBB13_194
.LBB13_197:                             ;   in Loop: Header=BB13_138 Depth=2
	s_mov_b32 s52, exec_lo
	s_mov_b32 s51, exec_lo
	v_mbcnt_lo_u32_b32 v0, s52, 0
                                        ; implicit-def: $vgpr1
	s_delay_alu instid0(VALU_DEP_1)
	v_cmpx_eq_u32_e32 0, v0
	s_cbranch_execz .LBB13_199
; %bb.198:                              ;   in Loop: Header=BB13_138 Depth=2
	s_bcnt1_i32_b32 s52, s52
	s_delay_alu instid0(SALU_CYCLE_1)
	v_mov_b32_e32 v1, s52
	global_atomic_add_u32 v1, v28, v1, s[12:13] offset:384 glc
.LBB13_199:                             ;   in Loop: Header=BB13_138 Depth=2
	s_or_b32 exec_lo, exec_lo, s51
	s_waitcnt vmcnt(0)
	v_readfirstlane_b32 s51, v1
	s_and_not1_b32 s48, s48, exec_lo
	s_and_b32 s52, s46, exec_lo
	s_and_not1_b32 s50, s50, exec_lo
	s_or_b32 s48, s48, s52
	v_add_nc_u32_e32 v0, s51, v0
	s_and_b32 s51, s9, exec_lo
	s_delay_alu instid0(SALU_CYCLE_1)
	s_or_b32 s50, s50, s51
	s_or_b32 exec_lo, exec_lo, s49
	s_and_saveexec_b32 s49, s50
	s_cbranch_execnz .LBB13_195
.LBB13_200:                             ;   in Loop: Header=BB13_138 Depth=2
	s_or_b32 exec_lo, exec_lo, s49
	s_and_saveexec_b32 s49, s48
	s_cbranch_execz .LBB13_202
.LBB13_201:                             ;   in Loop: Header=BB13_138 Depth=2
	v_ashrrev_i32_e32 v1, 31, v0
	s_delay_alu instid0(VALU_DEP_1) | instskip(NEXT) | instid1(VALU_DEP_1)
	v_lshlrev_b64 v[0:1], 2, v[0:1]
	v_add_co_u32 v0, vcc_lo, s23, v0
	s_delay_alu instid0(VALU_DEP_2)
	v_add_co_ci_u32_e32 v1, vcc_lo, s30, v1, vcc_lo
	s_waitcnt vmcnt(0)
	global_store_b32 v[0:1], v2, off
.LBB13_202:                             ;   in Loop: Header=BB13_138 Depth=2
	s_or_b32 exec_lo, exec_lo, s49
	v_lshlrev_b64 v[0:1], 4, v[39:40]
	s_waitcnt vmcnt(0)
	v_add_co_u32 v2, vcc_lo, v8, s20
	v_add_co_ci_u32_e32 v3, vcc_lo, s21, v9, vcc_lo
	v_add_co_u32 v38, null, v37, s8
	s_delay_alu instid0(VALU_DEP_4)
	v_add_co_u32 v0, vcc_lo, s15, v0
	v_add_co_ci_u32_e32 v1, vcc_lo, s26, v1, vcc_lo
	v_cmp_gt_i32_e32 vcc_lo, 0, v4
	s_clause 0x1
	global_load_b128 v[8:11], v[2:3], off
	global_load_b128 v[0:3], v[0:1], off
	s_mov_b32 s50, 0
	s_mov_b32 s49, 0
	v_cndmask_b32_e64 v40, 0x7fffffff, 0, vcc_lo
	s_mov_b32 s48, exec_lo
                                        ; implicit-def: $vgpr42
	s_delay_alu instid0(VALU_DEP_1) | instskip(SKIP_1) | instid1(VALU_DEP_2)
	v_xor_b32_e32 v41, v40, v4
	v_lshl_add_u32 v40, v38, 2, s18
                                        ; implicit-def: $vgpr4
	v_cmpx_ge_u32_e64 v41, v35
	s_xor_b32 s48, exec_lo, s48
	s_cbranch_execz .LBB13_212
; %bb.203:                              ;   in Loop: Header=BB13_138 Depth=2
	s_mov_b32 s51, 0
	s_mov_b32 s49, exec_lo
                                        ; implicit-def: $vgpr42
	v_cmpx_eq_u32_e64 v41, v35
	s_cbranch_execz .LBB13_209
; %bb.204:                              ;   in Loop: Header=BB13_138 Depth=2
	s_mov_b32 s51, exec_lo
	s_mov_b32 s50, exec_lo
	v_mbcnt_lo_u32_b32 v4, s51, 0
                                        ; implicit-def: $vgpr41
	s_delay_alu instid0(VALU_DEP_1)
	v_cmpx_eq_u32_e32 0, v4
	s_cbranch_execz .LBB13_206
; %bb.205:                              ;   in Loop: Header=BB13_138 Depth=2
	s_bcnt1_i32_b32 s51, s51
	s_delay_alu instid0(SALU_CYCLE_1)
	v_mov_b32_e32 v41, s51
	global_atomic_add_u32 v41, v28, v41, s[12:13] offset:512 glc
.LBB13_206:                             ;   in Loop: Header=BB13_138 Depth=2
	s_or_b32 exec_lo, exec_lo, s50
	s_waitcnt vmcnt(0)
	v_readfirstlane_b32 s50, v41
	s_mov_b32 s51, 0
	s_mov_b32 s52, exec_lo
                                        ; implicit-def: $vgpr42
	s_delay_alu instid0(VALU_DEP_1) | instskip(SKIP_1) | instid1(VALU_DEP_1)
	v_add_nc_u32_e32 v4, s50, v4
	s_mov_b32 s50, 0
	v_cmpx_lt_i32_e64 v4, v36
	s_xor_b32 s52, exec_lo, s52
; %bb.207:                              ;   in Loop: Header=BB13_138 Depth=2
	v_xad_u32 v42, v4, -1, s22
	s_and_b32 s51, s46, exec_lo
	s_and_b32 s50, s9, exec_lo
; %bb.208:                              ;   in Loop: Header=BB13_138 Depth=2
	s_or_b32 exec_lo, exec_lo, s52
	s_delay_alu instid0(SALU_CYCLE_1)
	s_and_b32 s51, s51, exec_lo
	s_and_b32 s50, s50, exec_lo
.LBB13_209:                             ;   in Loop: Header=BB13_138 Depth=2
	s_or_b32 exec_lo, exec_lo, s49
	v_mov_b32_e32 v4, v40
	s_and_b32 s49, s51, exec_lo
	s_and_b32 s50, s50, exec_lo
	s_and_not1_saveexec_b32 s48, s48
	s_cbranch_execnz .LBB13_213
.LBB13_210:                             ;   in Loop: Header=BB13_138 Depth=2
	s_or_b32 exec_lo, exec_lo, s48
	v_ashrrev_i32_e32 v41, 31, v40
	s_and_saveexec_b32 s48, s50
	s_cbranch_execz .LBB13_216
.LBB13_211:                             ;   in Loop: Header=BB13_138 Depth=2
	s_delay_alu instid0(VALU_DEP_1) | instskip(SKIP_1) | instid1(VALU_DEP_1)
	v_lshlrev_b64 v[54:55], 2, v[40:41]
	s_or_b32 s49, s49, exec_lo
	v_add_co_u32 v54, vcc_lo, s10, v54
	s_delay_alu instid0(VALU_DEP_2)
	v_add_co_ci_u32_e32 v55, vcc_lo, s11, v55, vcc_lo
	global_load_b32 v4, v[54:55], off
	s_or_b32 exec_lo, exec_lo, s48
	s_and_saveexec_b32 s48, s49
	s_cbranch_execnz .LBB13_217
	s_branch .LBB13_218
.LBB13_212:                             ;   in Loop: Header=BB13_138 Depth=2
	s_and_not1_saveexec_b32 s48, s48
	s_cbranch_execz .LBB13_210
.LBB13_213:                             ;   in Loop: Header=BB13_138 Depth=2
	s_mov_b32 s52, exec_lo
	s_mov_b32 s51, exec_lo
	v_mbcnt_lo_u32_b32 v4, s52, 0
                                        ; implicit-def: $vgpr41
	s_delay_alu instid0(VALU_DEP_1)
	v_cmpx_eq_u32_e32 0, v4
	s_cbranch_execz .LBB13_215
; %bb.214:                              ;   in Loop: Header=BB13_138 Depth=2
	s_bcnt1_i32_b32 s52, s52
	s_delay_alu instid0(SALU_CYCLE_1)
	v_mov_b32_e32 v41, s52
	global_atomic_add_u32 v41, v28, v41, s[12:13] offset:384 glc
.LBB13_215:                             ;   in Loop: Header=BB13_138 Depth=2
	s_or_b32 exec_lo, exec_lo, s51
	s_waitcnt vmcnt(0)
	v_readfirstlane_b32 s51, v41
	s_and_not1_b32 s49, s49, exec_lo
	s_and_b32 s52, s46, exec_lo
	s_and_not1_b32 s50, s50, exec_lo
	s_or_b32 s49, s49, s52
	v_add_nc_u32_e32 v42, s51, v4
	v_mov_b32_e32 v4, v40
	s_and_b32 s51, s9, exec_lo
	s_delay_alu instid0(SALU_CYCLE_1)
	s_or_b32 s50, s50, s51
	s_or_b32 exec_lo, exec_lo, s48
	v_ashrrev_i32_e32 v41, 31, v40
	s_and_saveexec_b32 s48, s50
	s_cbranch_execnz .LBB13_211
.LBB13_216:                             ;   in Loop: Header=BB13_138 Depth=2
	s_or_b32 exec_lo, exec_lo, s48
	s_and_saveexec_b32 s48, s49
	s_cbranch_execz .LBB13_218
.LBB13_217:                             ;   in Loop: Header=BB13_138 Depth=2
	v_ashrrev_i32_e32 v43, 31, v42
	s_delay_alu instid0(VALU_DEP_1) | instskip(NEXT) | instid1(VALU_DEP_1)
	v_lshlrev_b64 v[42:43], 2, v[42:43]
	v_add_co_u32 v42, vcc_lo, s23, v42
	s_delay_alu instid0(VALU_DEP_2)
	v_add_co_ci_u32_e32 v43, vcc_lo, s30, v43, vcc_lo
	s_waitcnt vmcnt(0)
	global_store_b32 v[42:43], v4, off
.LBB13_218:                             ;   in Loop: Header=BB13_138 Depth=2
	s_or_b32 exec_lo, exec_lo, s48
	v_cmp_gt_i32_e32 vcc_lo, 0, v5
	v_add_nc_u32_e32 v42, 1, v40
	s_mov_b32 s50, 0
	s_mov_b32 s48, 0
	s_mov_b32 s49, exec_lo
	s_waitcnt vmcnt(0)
	v_cndmask_b32_e64 v4, 0x7fffffff, 0, vcc_lo
	s_delay_alu instid0(VALU_DEP_1) | instskip(NEXT) | instid1(VALU_DEP_1)
	v_xor_b32_e32 v5, v4, v5
                                        ; implicit-def: $vgpr4
	v_cmpx_ge_u32_e64 v5, v35
	s_xor_b32 s49, exec_lo, s49
	s_cbranch_execz .LBB13_228
; %bb.219:                              ;   in Loop: Header=BB13_138 Depth=2
	s_mov_b32 s51, 0
	s_mov_b32 s48, exec_lo
                                        ; implicit-def: $vgpr4
	v_cmpx_eq_u32_e64 v5, v35
	s_cbranch_execz .LBB13_225
; %bb.220:                              ;   in Loop: Header=BB13_138 Depth=2
	s_mov_b32 s51, exec_lo
	s_mov_b32 s50, exec_lo
	v_mbcnt_lo_u32_b32 v4, s51, 0
                                        ; implicit-def: $vgpr5
	s_delay_alu instid0(VALU_DEP_1)
	v_cmpx_eq_u32_e32 0, v4
	s_cbranch_execz .LBB13_222
; %bb.221:                              ;   in Loop: Header=BB13_138 Depth=2
	s_bcnt1_i32_b32 s51, s51
	s_delay_alu instid0(SALU_CYCLE_1)
	v_mov_b32_e32 v5, s51
	global_atomic_add_u32 v5, v28, v5, s[12:13] offset:512 glc
.LBB13_222:                             ;   in Loop: Header=BB13_138 Depth=2
	s_or_b32 exec_lo, exec_lo, s50
	s_waitcnt vmcnt(0)
	v_readfirstlane_b32 s50, v5
	s_mov_b32 s51, 0
	s_mov_b32 s52, exec_lo
	s_delay_alu instid0(VALU_DEP_1) | instskip(SKIP_1) | instid1(VALU_DEP_1)
	v_add_nc_u32_e32 v5, s50, v4
	s_mov_b32 s50, 0
                                        ; implicit-def: $vgpr4
	v_cmpx_lt_i32_e64 v5, v36
; %bb.223:                              ;   in Loop: Header=BB13_138 Depth=2
	v_xad_u32 v4, v5, -1, s22
	s_and_b32 s51, s46, exec_lo
	s_and_b32 s50, s9, exec_lo
; %bb.224:                              ;   in Loop: Header=BB13_138 Depth=2
	s_or_b32 exec_lo, exec_lo, s52
	s_delay_alu instid0(SALU_CYCLE_1)
	s_and_b32 s51, s51, exec_lo
	s_and_b32 s50, s50, exec_lo
.LBB13_225:                             ;   in Loop: Header=BB13_138 Depth=2
	s_or_b32 exec_lo, exec_lo, s48
	s_delay_alu instid0(SALU_CYCLE_1)
	s_and_b32 s48, s51, exec_lo
	s_and_b32 s50, s50, exec_lo
	s_and_not1_saveexec_b32 s49, s49
	s_cbranch_execnz .LBB13_229
.LBB13_226:                             ;   in Loop: Header=BB13_138 Depth=2
	s_or_b32 exec_lo, exec_lo, s49
	s_and_saveexec_b32 s49, s50
	s_cbranch_execz .LBB13_232
.LBB13_227:                             ;   in Loop: Header=BB13_138 Depth=2
	v_lshlrev_b64 v[42:43], 2, v[40:41]
	s_or_b32 s48, s48, exec_lo
	s_delay_alu instid0(VALU_DEP_1) | instskip(NEXT) | instid1(VALU_DEP_2)
	v_add_co_u32 v42, vcc_lo, s14, v42
	v_add_co_ci_u32_e32 v43, vcc_lo, s19, v43, vcc_lo
	global_load_b32 v42, v[42:43], off
	s_or_b32 exec_lo, exec_lo, s49
	s_and_saveexec_b32 s49, s48
	s_cbranch_execnz .LBB13_233
	s_branch .LBB13_234
.LBB13_228:                             ;   in Loop: Header=BB13_138 Depth=2
	s_and_not1_saveexec_b32 s49, s49
	s_cbranch_execz .LBB13_226
.LBB13_229:                             ;   in Loop: Header=BB13_138 Depth=2
	s_mov_b32 s52, exec_lo
	s_mov_b32 s51, exec_lo
	v_mbcnt_lo_u32_b32 v4, s52, 0
                                        ; implicit-def: $vgpr5
	s_delay_alu instid0(VALU_DEP_1)
	v_cmpx_eq_u32_e32 0, v4
	s_cbranch_execz .LBB13_231
; %bb.230:                              ;   in Loop: Header=BB13_138 Depth=2
	s_bcnt1_i32_b32 s52, s52
	s_delay_alu instid0(SALU_CYCLE_1)
	v_mov_b32_e32 v5, s52
	global_atomic_add_u32 v5, v28, v5, s[12:13] offset:384 glc
.LBB13_231:                             ;   in Loop: Header=BB13_138 Depth=2
	s_or_b32 exec_lo, exec_lo, s51
	s_waitcnt vmcnt(0)
	v_readfirstlane_b32 s51, v5
	s_and_not1_b32 s48, s48, exec_lo
	s_and_b32 s52, s46, exec_lo
	s_and_not1_b32 s50, s50, exec_lo
	s_or_b32 s48, s48, s52
	v_add_nc_u32_e32 v4, s51, v4
	s_and_b32 s51, s9, exec_lo
	s_delay_alu instid0(SALU_CYCLE_1)
	s_or_b32 s50, s50, s51
	s_or_b32 exec_lo, exec_lo, s49
	s_and_saveexec_b32 s49, s50
	s_cbranch_execnz .LBB13_227
.LBB13_232:                             ;   in Loop: Header=BB13_138 Depth=2
	s_or_b32 exec_lo, exec_lo, s49
	s_and_saveexec_b32 s49, s48
	s_cbranch_execz .LBB13_234
.LBB13_233:                             ;   in Loop: Header=BB13_138 Depth=2
	v_ashrrev_i32_e32 v5, 31, v4
	s_delay_alu instid0(VALU_DEP_1) | instskip(NEXT) | instid1(VALU_DEP_1)
	v_lshlrev_b64 v[4:5], 2, v[4:5]
	v_add_co_u32 v4, vcc_lo, s23, v4
	s_delay_alu instid0(VALU_DEP_2)
	v_add_co_ci_u32_e32 v5, vcc_lo, s30, v5, vcc_lo
	s_waitcnt vmcnt(0)
	global_store_b32 v[4:5], v42, off
.LBB13_234:                             ;   in Loop: Header=BB13_138 Depth=2
	s_or_b32 exec_lo, exec_lo, s49
	v_cmp_gt_i32_e32 vcc_lo, 0, v6
	s_mov_b32 s50, 0
	s_mov_b32 s48, 0
	s_mov_b32 s49, exec_lo
	v_cndmask_b32_e64 v4, 0x7fffffff, 0, vcc_lo
	s_delay_alu instid0(VALU_DEP_1) | instskip(SKIP_1) | instid1(VALU_DEP_2)
	v_xor_b32_e32 v5, v4, v6
	v_add_nc_u32_e32 v6, 2, v40
                                        ; implicit-def: $vgpr4
	v_cmpx_ge_u32_e64 v5, v35
	s_xor_b32 s49, exec_lo, s49
	s_cbranch_execz .LBB13_244
; %bb.235:                              ;   in Loop: Header=BB13_138 Depth=2
	s_mov_b32 s51, 0
	s_mov_b32 s48, exec_lo
                                        ; implicit-def: $vgpr4
	v_cmpx_eq_u32_e64 v5, v35
	s_cbranch_execz .LBB13_241
; %bb.236:                              ;   in Loop: Header=BB13_138 Depth=2
	s_mov_b32 s51, exec_lo
	s_mov_b32 s50, exec_lo
	v_mbcnt_lo_u32_b32 v4, s51, 0
                                        ; implicit-def: $vgpr5
	s_delay_alu instid0(VALU_DEP_1)
	v_cmpx_eq_u32_e32 0, v4
	s_cbranch_execz .LBB13_238
; %bb.237:                              ;   in Loop: Header=BB13_138 Depth=2
	s_bcnt1_i32_b32 s51, s51
	s_delay_alu instid0(SALU_CYCLE_1)
	v_mov_b32_e32 v5, s51
	global_atomic_add_u32 v5, v28, v5, s[12:13] offset:512 glc
.LBB13_238:                             ;   in Loop: Header=BB13_138 Depth=2
	s_or_b32 exec_lo, exec_lo, s50
	s_waitcnt vmcnt(0)
	v_readfirstlane_b32 s50, v5
	s_mov_b32 s51, 0
	s_mov_b32 s52, exec_lo
	s_delay_alu instid0(VALU_DEP_1) | instskip(SKIP_1) | instid1(VALU_DEP_1)
	v_add_nc_u32_e32 v5, s50, v4
	s_mov_b32 s50, 0
                                        ; implicit-def: $vgpr4
	v_cmpx_lt_i32_e64 v5, v36
; %bb.239:                              ;   in Loop: Header=BB13_138 Depth=2
	v_xad_u32 v4, v5, -1, s22
	s_and_b32 s51, s46, exec_lo
	s_and_b32 s50, s9, exec_lo
; %bb.240:                              ;   in Loop: Header=BB13_138 Depth=2
	s_or_b32 exec_lo, exec_lo, s52
	s_delay_alu instid0(SALU_CYCLE_1)
	s_and_b32 s51, s51, exec_lo
	s_and_b32 s50, s50, exec_lo
.LBB13_241:                             ;   in Loop: Header=BB13_138 Depth=2
	s_or_b32 exec_lo, exec_lo, s48
	s_delay_alu instid0(SALU_CYCLE_1)
	s_and_b32 s48, s51, exec_lo
	s_and_b32 s50, s50, exec_lo
	s_and_not1_saveexec_b32 s49, s49
	s_cbranch_execnz .LBB13_245
.LBB13_242:                             ;   in Loop: Header=BB13_138 Depth=2
	s_or_b32 exec_lo, exec_lo, s49
	s_and_saveexec_b32 s49, s50
	s_cbranch_execz .LBB13_248
.LBB13_243:                             ;   in Loop: Header=BB13_138 Depth=2
	v_lshlrev_b64 v[5:6], 2, v[40:41]
	s_or_b32 s48, s48, exec_lo
	s_delay_alu instid0(VALU_DEP_1) | instskip(NEXT) | instid1(VALU_DEP_2)
	v_add_co_u32 v5, vcc_lo, s33, v5
	v_add_co_ci_u32_e32 v6, vcc_lo, s34, v6, vcc_lo
	global_load_b32 v6, v[5:6], off
	s_or_b32 exec_lo, exec_lo, s49
	s_and_saveexec_b32 s49, s48
	s_cbranch_execnz .LBB13_249
	s_branch .LBB13_250
.LBB13_244:                             ;   in Loop: Header=BB13_138 Depth=2
	s_and_not1_saveexec_b32 s49, s49
	s_cbranch_execz .LBB13_242
.LBB13_245:                             ;   in Loop: Header=BB13_138 Depth=2
	s_mov_b32 s52, exec_lo
	s_mov_b32 s51, exec_lo
	v_mbcnt_lo_u32_b32 v4, s52, 0
                                        ; implicit-def: $vgpr5
	s_delay_alu instid0(VALU_DEP_1)
	v_cmpx_eq_u32_e32 0, v4
	s_cbranch_execz .LBB13_247
; %bb.246:                              ;   in Loop: Header=BB13_138 Depth=2
	s_bcnt1_i32_b32 s52, s52
	s_delay_alu instid0(SALU_CYCLE_1)
	v_mov_b32_e32 v5, s52
	global_atomic_add_u32 v5, v28, v5, s[12:13] offset:384 glc
.LBB13_247:                             ;   in Loop: Header=BB13_138 Depth=2
	s_or_b32 exec_lo, exec_lo, s51
	s_waitcnt vmcnt(0)
	v_readfirstlane_b32 s51, v5
	s_and_not1_b32 s48, s48, exec_lo
	s_and_b32 s52, s46, exec_lo
	s_and_not1_b32 s50, s50, exec_lo
	s_or_b32 s48, s48, s52
	v_add_nc_u32_e32 v4, s51, v4
	s_and_b32 s51, s9, exec_lo
	s_delay_alu instid0(SALU_CYCLE_1)
	s_or_b32 s50, s50, s51
	s_or_b32 exec_lo, exec_lo, s49
	s_and_saveexec_b32 s49, s50
	s_cbranch_execnz .LBB13_243
.LBB13_248:                             ;   in Loop: Header=BB13_138 Depth=2
	s_or_b32 exec_lo, exec_lo, s49
	s_and_saveexec_b32 s49, s48
	s_cbranch_execz .LBB13_250
.LBB13_249:                             ;   in Loop: Header=BB13_138 Depth=2
	v_ashrrev_i32_e32 v5, 31, v4
	s_delay_alu instid0(VALU_DEP_1) | instskip(NEXT) | instid1(VALU_DEP_1)
	v_lshlrev_b64 v[4:5], 2, v[4:5]
	v_add_co_u32 v4, vcc_lo, s23, v4
	s_delay_alu instid0(VALU_DEP_2)
	v_add_co_ci_u32_e32 v5, vcc_lo, s30, v5, vcc_lo
	s_waitcnt vmcnt(0)
	global_store_b32 v[4:5], v6, off
.LBB13_250:                             ;   in Loop: Header=BB13_138 Depth=2
	s_or_b32 exec_lo, exec_lo, s49
	v_cmp_gt_i32_e32 vcc_lo, 0, v7
	s_waitcnt vmcnt(0)
	v_add_nc_u32_e32 v6, 3, v40
	s_mov_b32 s50, 0
	s_mov_b32 s48, 0
	s_mov_b32 s49, exec_lo
	v_cndmask_b32_e64 v4, 0x7fffffff, 0, vcc_lo
	s_delay_alu instid0(VALU_DEP_1) | instskip(NEXT) | instid1(VALU_DEP_1)
	v_xor_b32_e32 v5, v4, v7
                                        ; implicit-def: $vgpr4
	v_cmpx_ge_u32_e64 v5, v35
	s_xor_b32 s49, exec_lo, s49
	s_cbranch_execz .LBB13_260
; %bb.251:                              ;   in Loop: Header=BB13_138 Depth=2
	s_mov_b32 s51, 0
	s_mov_b32 s48, exec_lo
                                        ; implicit-def: $vgpr4
	v_cmpx_eq_u32_e64 v5, v35
	s_cbranch_execz .LBB13_257
; %bb.252:                              ;   in Loop: Header=BB13_138 Depth=2
	s_mov_b32 s51, exec_lo
	s_mov_b32 s50, exec_lo
	v_mbcnt_lo_u32_b32 v4, s51, 0
                                        ; implicit-def: $vgpr5
	s_delay_alu instid0(VALU_DEP_1)
	v_cmpx_eq_u32_e32 0, v4
	s_cbranch_execz .LBB13_254
; %bb.253:                              ;   in Loop: Header=BB13_138 Depth=2
	s_bcnt1_i32_b32 s51, s51
	s_delay_alu instid0(SALU_CYCLE_1)
	v_mov_b32_e32 v5, s51
	global_atomic_add_u32 v5, v28, v5, s[12:13] offset:512 glc
.LBB13_254:                             ;   in Loop: Header=BB13_138 Depth=2
	s_or_b32 exec_lo, exec_lo, s50
	s_waitcnt vmcnt(0)
	v_readfirstlane_b32 s50, v5
	s_mov_b32 s51, 0
	s_mov_b32 s52, exec_lo
	s_delay_alu instid0(VALU_DEP_1) | instskip(SKIP_1) | instid1(VALU_DEP_1)
	v_add_nc_u32_e32 v5, s50, v4
	s_mov_b32 s50, 0
                                        ; implicit-def: $vgpr4
	v_cmpx_lt_i32_e64 v5, v36
; %bb.255:                              ;   in Loop: Header=BB13_138 Depth=2
	v_xad_u32 v4, v5, -1, s22
	s_and_b32 s51, s46, exec_lo
	s_and_b32 s50, s9, exec_lo
; %bb.256:                              ;   in Loop: Header=BB13_138 Depth=2
	s_or_b32 exec_lo, exec_lo, s52
	s_delay_alu instid0(SALU_CYCLE_1)
	s_and_b32 s51, s51, exec_lo
	s_and_b32 s50, s50, exec_lo
.LBB13_257:                             ;   in Loop: Header=BB13_138 Depth=2
	s_or_b32 exec_lo, exec_lo, s48
	s_delay_alu instid0(SALU_CYCLE_1)
	s_and_b32 s48, s51, exec_lo
	s_and_b32 s50, s50, exec_lo
	s_and_not1_saveexec_b32 s49, s49
	s_cbranch_execnz .LBB13_261
.LBB13_258:                             ;   in Loop: Header=BB13_138 Depth=2
	s_or_b32 exec_lo, exec_lo, s49
	s_and_saveexec_b32 s49, s50
	s_cbranch_execz .LBB13_264
.LBB13_259:                             ;   in Loop: Header=BB13_138 Depth=2
	v_lshlrev_b64 v[5:6], 2, v[40:41]
	s_or_b32 s48, s48, exec_lo
	s_delay_alu instid0(VALU_DEP_1) | instskip(NEXT) | instid1(VALU_DEP_2)
	v_add_co_u32 v5, vcc_lo, s35, v5
	v_add_co_ci_u32_e32 v6, vcc_lo, s36, v6, vcc_lo
	global_load_b32 v6, v[5:6], off
	s_or_b32 exec_lo, exec_lo, s49
	s_and_saveexec_b32 s49, s48
	s_cbranch_execnz .LBB13_265
	s_branch .LBB13_266
.LBB13_260:                             ;   in Loop: Header=BB13_138 Depth=2
	s_and_not1_saveexec_b32 s49, s49
	s_cbranch_execz .LBB13_258
.LBB13_261:                             ;   in Loop: Header=BB13_138 Depth=2
	s_mov_b32 s52, exec_lo
	s_mov_b32 s51, exec_lo
	v_mbcnt_lo_u32_b32 v4, s52, 0
                                        ; implicit-def: $vgpr5
	s_delay_alu instid0(VALU_DEP_1)
	v_cmpx_eq_u32_e32 0, v4
	s_cbranch_execz .LBB13_263
; %bb.262:                              ;   in Loop: Header=BB13_138 Depth=2
	s_bcnt1_i32_b32 s52, s52
	s_delay_alu instid0(SALU_CYCLE_1)
	v_mov_b32_e32 v5, s52
	global_atomic_add_u32 v5, v28, v5, s[12:13] offset:384 glc
.LBB13_263:                             ;   in Loop: Header=BB13_138 Depth=2
	s_or_b32 exec_lo, exec_lo, s51
	s_waitcnt vmcnt(0)
	v_readfirstlane_b32 s51, v5
	s_and_not1_b32 s48, s48, exec_lo
	s_and_b32 s52, s46, exec_lo
	s_and_not1_b32 s50, s50, exec_lo
	s_or_b32 s48, s48, s52
	v_add_nc_u32_e32 v4, s51, v4
	s_and_b32 s51, s9, exec_lo
	s_delay_alu instid0(SALU_CYCLE_1)
	s_or_b32 s50, s50, s51
	s_or_b32 exec_lo, exec_lo, s49
	s_and_saveexec_b32 s49, s50
	s_cbranch_execnz .LBB13_259
.LBB13_264:                             ;   in Loop: Header=BB13_138 Depth=2
	s_or_b32 exec_lo, exec_lo, s49
	s_and_saveexec_b32 s49, s48
	s_cbranch_execz .LBB13_266
.LBB13_265:                             ;   in Loop: Header=BB13_138 Depth=2
	v_ashrrev_i32_e32 v5, 31, v4
	s_delay_alu instid0(VALU_DEP_1) | instskip(NEXT) | instid1(VALU_DEP_1)
	v_lshlrev_b64 v[4:5], 2, v[4:5]
	v_add_co_u32 v4, vcc_lo, s23, v4
	s_delay_alu instid0(VALU_DEP_2)
	v_add_co_ci_u32_e32 v5, vcc_lo, s30, v5, vcc_lo
	s_waitcnt vmcnt(0)
	global_store_b32 v[4:5], v6, off
.LBB13_266:                             ;   in Loop: Header=BB13_138 Depth=2
	s_or_b32 exec_lo, exec_lo, s49
	v_cmp_gt_i32_e32 vcc_lo, 0, v8
	s_waitcnt vmcnt(0)
	v_add_nc_u32_e32 v6, s8, v38
	s_mov_b32 s50, 0
	s_mov_b32 s49, 0
	s_mov_b32 s48, exec_lo
	v_cndmask_b32_e64 v4, 0x7fffffff, 0, vcc_lo
	s_delay_alu instid0(VALU_DEP_1) | instskip(SKIP_1) | instid1(VALU_DEP_2)
	v_xor_b32_e32 v5, v4, v8
	v_lshl_add_u32 v4, v6, 2, s18
                                        ; implicit-def: $vgpr8
                                        ; implicit-def: $vgpr6
	v_cmpx_ge_u32_e64 v5, v35
	s_xor_b32 s48, exec_lo, s48
	s_cbranch_execz .LBB13_276
; %bb.267:                              ;   in Loop: Header=BB13_138 Depth=2
	s_mov_b32 s51, 0
	s_mov_b32 s49, exec_lo
                                        ; implicit-def: $vgpr6
	v_cmpx_eq_u32_e64 v5, v35
	s_cbranch_execz .LBB13_273
; %bb.268:                              ;   in Loop: Header=BB13_138 Depth=2
	s_mov_b32 s51, exec_lo
	s_mov_b32 s50, exec_lo
	v_mbcnt_lo_u32_b32 v5, s51, 0
                                        ; implicit-def: $vgpr6
	s_delay_alu instid0(VALU_DEP_1)
	v_cmpx_eq_u32_e32 0, v5
	s_cbranch_execz .LBB13_270
; %bb.269:                              ;   in Loop: Header=BB13_138 Depth=2
	s_bcnt1_i32_b32 s51, s51
	s_delay_alu instid0(SALU_CYCLE_1)
	v_mov_b32_e32 v6, s51
	global_atomic_add_u32 v6, v28, v6, s[12:13] offset:512 glc
.LBB13_270:                             ;   in Loop: Header=BB13_138 Depth=2
	s_or_b32 exec_lo, exec_lo, s50
	s_waitcnt vmcnt(0)
	v_readfirstlane_b32 s50, v6
	s_mov_b32 s51, 0
	s_mov_b32 s52, exec_lo
                                        ; implicit-def: $vgpr6
	s_delay_alu instid0(VALU_DEP_1) | instskip(SKIP_1) | instid1(VALU_DEP_1)
	v_add_nc_u32_e32 v5, s50, v5
	s_mov_b32 s50, 0
	v_cmpx_lt_i32_e64 v5, v36
	s_xor_b32 s52, exec_lo, s52
; %bb.271:                              ;   in Loop: Header=BB13_138 Depth=2
	v_xad_u32 v6, v5, -1, s22
	s_and_b32 s51, s46, exec_lo
	s_and_b32 s50, s9, exec_lo
; %bb.272:                              ;   in Loop: Header=BB13_138 Depth=2
	s_or_b32 exec_lo, exec_lo, s52
	s_delay_alu instid0(SALU_CYCLE_1)
	s_and_b32 s51, s51, exec_lo
	s_and_b32 s50, s50, exec_lo
.LBB13_273:                             ;   in Loop: Header=BB13_138 Depth=2
	s_or_b32 exec_lo, exec_lo, s49
	v_mov_b32_e32 v8, v4
	s_and_b32 s49, s51, exec_lo
	s_and_b32 s50, s50, exec_lo
	s_and_not1_saveexec_b32 s48, s48
	s_cbranch_execnz .LBB13_277
.LBB13_274:                             ;   in Loop: Header=BB13_138 Depth=2
	s_or_b32 exec_lo, exec_lo, s48
	v_ashrrev_i32_e32 v5, 31, v4
	s_and_saveexec_b32 s48, s50
	s_cbranch_execz .LBB13_280
.LBB13_275:                             ;   in Loop: Header=BB13_138 Depth=2
	s_delay_alu instid0(VALU_DEP_1) | instskip(SKIP_1) | instid1(VALU_DEP_1)
	v_lshlrev_b64 v[7:8], 2, v[4:5]
	s_or_b32 s49, s49, exec_lo
	v_add_co_u32 v7, vcc_lo, s10, v7
	s_delay_alu instid0(VALU_DEP_2)
	v_add_co_ci_u32_e32 v8, vcc_lo, s11, v8, vcc_lo
	global_load_b32 v8, v[7:8], off
	s_or_b32 exec_lo, exec_lo, s48
	s_and_saveexec_b32 s48, s49
	s_cbranch_execnz .LBB13_281
	s_branch .LBB13_282
.LBB13_276:                             ;   in Loop: Header=BB13_138 Depth=2
	s_and_not1_saveexec_b32 s48, s48
	s_cbranch_execz .LBB13_274
.LBB13_277:                             ;   in Loop: Header=BB13_138 Depth=2
	s_mov_b32 s52, exec_lo
	s_mov_b32 s51, exec_lo
	v_mbcnt_lo_u32_b32 v5, s52, 0
                                        ; implicit-def: $vgpr6
	s_delay_alu instid0(VALU_DEP_1)
	v_cmpx_eq_u32_e32 0, v5
	s_cbranch_execz .LBB13_279
; %bb.278:                              ;   in Loop: Header=BB13_138 Depth=2
	s_bcnt1_i32_b32 s52, s52
	s_delay_alu instid0(SALU_CYCLE_1)
	v_mov_b32_e32 v6, s52
	global_atomic_add_u32 v6, v28, v6, s[12:13] offset:384 glc
.LBB13_279:                             ;   in Loop: Header=BB13_138 Depth=2
	s_or_b32 exec_lo, exec_lo, s51
	s_waitcnt vmcnt(0)
	v_readfirstlane_b32 s51, v6
	v_mov_b32_e32 v8, v4
	s_and_not1_b32 s49, s49, exec_lo
	s_and_b32 s52, s46, exec_lo
	s_and_not1_b32 s50, s50, exec_lo
	v_add_nc_u32_e32 v6, s51, v5
	s_and_b32 s51, s9, exec_lo
	s_or_b32 s49, s49, s52
	s_or_b32 s50, s50, s51
	s_or_b32 exec_lo, exec_lo, s48
	v_ashrrev_i32_e32 v5, 31, v4
	s_and_saveexec_b32 s48, s50
	s_cbranch_execnz .LBB13_275
.LBB13_280:                             ;   in Loop: Header=BB13_138 Depth=2
	s_or_b32 exec_lo, exec_lo, s48
	s_and_saveexec_b32 s48, s49
	s_cbranch_execz .LBB13_282
.LBB13_281:                             ;   in Loop: Header=BB13_138 Depth=2
	v_ashrrev_i32_e32 v7, 31, v6
	s_delay_alu instid0(VALU_DEP_1) | instskip(NEXT) | instid1(VALU_DEP_1)
	v_lshlrev_b64 v[6:7], 2, v[6:7]
	v_add_co_u32 v6, vcc_lo, s23, v6
	s_delay_alu instid0(VALU_DEP_2)
	v_add_co_ci_u32_e32 v7, vcc_lo, s30, v7, vcc_lo
	s_waitcnt vmcnt(0)
	global_store_b32 v[6:7], v8, off
.LBB13_282:                             ;   in Loop: Header=BB13_138 Depth=2
	s_or_b32 exec_lo, exec_lo, s48
	v_cmp_gt_i32_e32 vcc_lo, 0, v9
	s_waitcnt vmcnt(0)
	v_add_nc_u32_e32 v8, 1, v4
	s_mov_b32 s50, 0
	s_mov_b32 s48, 0
	s_mov_b32 s49, exec_lo
	v_cndmask_b32_e64 v6, 0x7fffffff, 0, vcc_lo
	s_delay_alu instid0(VALU_DEP_1) | instskip(NEXT) | instid1(VALU_DEP_1)
	v_xor_b32_e32 v7, v6, v9
                                        ; implicit-def: $vgpr6
	v_cmpx_ge_u32_e64 v7, v35
	s_xor_b32 s49, exec_lo, s49
	s_cbranch_execz .LBB13_292
; %bb.283:                              ;   in Loop: Header=BB13_138 Depth=2
	s_mov_b32 s51, 0
	s_mov_b32 s48, exec_lo
                                        ; implicit-def: $vgpr6
	v_cmpx_eq_u32_e64 v7, v35
	s_cbranch_execz .LBB13_289
; %bb.284:                              ;   in Loop: Header=BB13_138 Depth=2
	s_mov_b32 s51, exec_lo
	s_mov_b32 s50, exec_lo
	v_mbcnt_lo_u32_b32 v6, s51, 0
                                        ; implicit-def: $vgpr7
	s_delay_alu instid0(VALU_DEP_1)
	v_cmpx_eq_u32_e32 0, v6
	s_cbranch_execz .LBB13_286
; %bb.285:                              ;   in Loop: Header=BB13_138 Depth=2
	s_bcnt1_i32_b32 s51, s51
	s_delay_alu instid0(SALU_CYCLE_1)
	v_mov_b32_e32 v7, s51
	global_atomic_add_u32 v7, v28, v7, s[12:13] offset:512 glc
.LBB13_286:                             ;   in Loop: Header=BB13_138 Depth=2
	s_or_b32 exec_lo, exec_lo, s50
	s_waitcnt vmcnt(0)
	v_readfirstlane_b32 s50, v7
	s_mov_b32 s51, 0
	s_mov_b32 s52, exec_lo
	s_delay_alu instid0(VALU_DEP_1) | instskip(SKIP_1) | instid1(VALU_DEP_1)
	v_add_nc_u32_e32 v7, s50, v6
	s_mov_b32 s50, 0
                                        ; implicit-def: $vgpr6
	v_cmpx_lt_i32_e64 v7, v36
; %bb.287:                              ;   in Loop: Header=BB13_138 Depth=2
	v_xad_u32 v6, v7, -1, s22
	s_and_b32 s51, s46, exec_lo
	s_and_b32 s50, s9, exec_lo
; %bb.288:                              ;   in Loop: Header=BB13_138 Depth=2
	s_or_b32 exec_lo, exec_lo, s52
	s_delay_alu instid0(SALU_CYCLE_1)
	s_and_b32 s51, s51, exec_lo
	s_and_b32 s50, s50, exec_lo
.LBB13_289:                             ;   in Loop: Header=BB13_138 Depth=2
	s_or_b32 exec_lo, exec_lo, s48
	s_delay_alu instid0(SALU_CYCLE_1)
	s_and_b32 s48, s51, exec_lo
	s_and_b32 s50, s50, exec_lo
	s_and_not1_saveexec_b32 s49, s49
	s_cbranch_execnz .LBB13_293
.LBB13_290:                             ;   in Loop: Header=BB13_138 Depth=2
	s_or_b32 exec_lo, exec_lo, s49
	s_and_saveexec_b32 s49, s50
	s_cbranch_execz .LBB13_296
.LBB13_291:                             ;   in Loop: Header=BB13_138 Depth=2
	v_lshlrev_b64 v[7:8], 2, v[4:5]
	s_or_b32 s48, s48, exec_lo
	s_delay_alu instid0(VALU_DEP_1) | instskip(NEXT) | instid1(VALU_DEP_2)
	v_add_co_u32 v7, vcc_lo, s14, v7
	v_add_co_ci_u32_e32 v8, vcc_lo, s19, v8, vcc_lo
	global_load_b32 v8, v[7:8], off
	s_or_b32 exec_lo, exec_lo, s49
	s_and_saveexec_b32 s49, s48
	s_cbranch_execnz .LBB13_297
	s_branch .LBB13_298
.LBB13_292:                             ;   in Loop: Header=BB13_138 Depth=2
	s_and_not1_saveexec_b32 s49, s49
	s_cbranch_execz .LBB13_290
.LBB13_293:                             ;   in Loop: Header=BB13_138 Depth=2
	s_mov_b32 s52, exec_lo
	s_mov_b32 s51, exec_lo
	v_mbcnt_lo_u32_b32 v6, s52, 0
                                        ; implicit-def: $vgpr7
	s_delay_alu instid0(VALU_DEP_1)
	v_cmpx_eq_u32_e32 0, v6
	s_cbranch_execz .LBB13_295
; %bb.294:                              ;   in Loop: Header=BB13_138 Depth=2
	s_bcnt1_i32_b32 s52, s52
	s_delay_alu instid0(SALU_CYCLE_1)
	v_mov_b32_e32 v7, s52
	global_atomic_add_u32 v7, v28, v7, s[12:13] offset:384 glc
.LBB13_295:                             ;   in Loop: Header=BB13_138 Depth=2
	s_or_b32 exec_lo, exec_lo, s51
	s_waitcnt vmcnt(0)
	v_readfirstlane_b32 s51, v7
	s_and_not1_b32 s48, s48, exec_lo
	s_and_b32 s52, s46, exec_lo
	s_and_not1_b32 s50, s50, exec_lo
	s_or_b32 s48, s48, s52
	v_add_nc_u32_e32 v6, s51, v6
	s_and_b32 s51, s9, exec_lo
	s_delay_alu instid0(SALU_CYCLE_1)
	s_or_b32 s50, s50, s51
	s_or_b32 exec_lo, exec_lo, s49
	s_and_saveexec_b32 s49, s50
	s_cbranch_execnz .LBB13_291
.LBB13_296:                             ;   in Loop: Header=BB13_138 Depth=2
	s_or_b32 exec_lo, exec_lo, s49
	s_and_saveexec_b32 s49, s48
	s_cbranch_execz .LBB13_298
.LBB13_297:                             ;   in Loop: Header=BB13_138 Depth=2
	v_ashrrev_i32_e32 v7, 31, v6
	s_delay_alu instid0(VALU_DEP_1) | instskip(NEXT) | instid1(VALU_DEP_1)
	v_lshlrev_b64 v[6:7], 2, v[6:7]
	v_add_co_u32 v6, vcc_lo, s23, v6
	s_delay_alu instid0(VALU_DEP_2)
	v_add_co_ci_u32_e32 v7, vcc_lo, s30, v7, vcc_lo
	s_waitcnt vmcnt(0)
	global_store_b32 v[6:7], v8, off
.LBB13_298:                             ;   in Loop: Header=BB13_138 Depth=2
	s_or_b32 exec_lo, exec_lo, s49
	v_cmp_gt_i32_e32 vcc_lo, 0, v10
	s_waitcnt vmcnt(0)
	v_add_nc_u32_e32 v8, 2, v4
	s_mov_b32 s50, 0
	s_mov_b32 s48, 0
	s_mov_b32 s49, exec_lo
	v_cndmask_b32_e64 v6, 0x7fffffff, 0, vcc_lo
	s_delay_alu instid0(VALU_DEP_1) | instskip(NEXT) | instid1(VALU_DEP_1)
	v_xor_b32_e32 v7, v6, v10
                                        ; implicit-def: $vgpr6
	v_cmpx_ge_u32_e64 v7, v35
	s_xor_b32 s49, exec_lo, s49
	s_cbranch_execz .LBB13_308
; %bb.299:                              ;   in Loop: Header=BB13_138 Depth=2
	s_mov_b32 s51, 0
	s_mov_b32 s48, exec_lo
                                        ; implicit-def: $vgpr6
	v_cmpx_eq_u32_e64 v7, v35
	s_cbranch_execz .LBB13_305
; %bb.300:                              ;   in Loop: Header=BB13_138 Depth=2
	s_mov_b32 s51, exec_lo
	s_mov_b32 s50, exec_lo
	v_mbcnt_lo_u32_b32 v6, s51, 0
                                        ; implicit-def: $vgpr7
	s_delay_alu instid0(VALU_DEP_1)
	v_cmpx_eq_u32_e32 0, v6
	s_cbranch_execz .LBB13_302
; %bb.301:                              ;   in Loop: Header=BB13_138 Depth=2
	s_bcnt1_i32_b32 s51, s51
	s_delay_alu instid0(SALU_CYCLE_1)
	v_mov_b32_e32 v7, s51
	global_atomic_add_u32 v7, v28, v7, s[12:13] offset:512 glc
.LBB13_302:                             ;   in Loop: Header=BB13_138 Depth=2
	s_or_b32 exec_lo, exec_lo, s50
	s_waitcnt vmcnt(0)
	v_readfirstlane_b32 s50, v7
	s_mov_b32 s51, 0
	s_mov_b32 s52, exec_lo
	s_delay_alu instid0(VALU_DEP_1) | instskip(SKIP_1) | instid1(VALU_DEP_1)
	v_add_nc_u32_e32 v7, s50, v6
	s_mov_b32 s50, 0
                                        ; implicit-def: $vgpr6
	v_cmpx_lt_i32_e64 v7, v36
; %bb.303:                              ;   in Loop: Header=BB13_138 Depth=2
	v_xad_u32 v6, v7, -1, s22
	s_and_b32 s51, s46, exec_lo
	s_and_b32 s50, s9, exec_lo
; %bb.304:                              ;   in Loop: Header=BB13_138 Depth=2
	s_or_b32 exec_lo, exec_lo, s52
	s_delay_alu instid0(SALU_CYCLE_1)
	s_and_b32 s51, s51, exec_lo
	s_and_b32 s50, s50, exec_lo
.LBB13_305:                             ;   in Loop: Header=BB13_138 Depth=2
	s_or_b32 exec_lo, exec_lo, s48
	s_delay_alu instid0(SALU_CYCLE_1)
	s_and_b32 s48, s51, exec_lo
	s_and_b32 s50, s50, exec_lo
	s_and_not1_saveexec_b32 s49, s49
	s_cbranch_execnz .LBB13_309
.LBB13_306:                             ;   in Loop: Header=BB13_138 Depth=2
	s_or_b32 exec_lo, exec_lo, s49
	s_and_saveexec_b32 s49, s50
	s_cbranch_execz .LBB13_312
.LBB13_307:                             ;   in Loop: Header=BB13_138 Depth=2
	v_lshlrev_b64 v[7:8], 2, v[4:5]
	s_or_b32 s48, s48, exec_lo
	s_delay_alu instid0(VALU_DEP_1) | instskip(NEXT) | instid1(VALU_DEP_2)
	v_add_co_u32 v7, vcc_lo, s33, v7
	v_add_co_ci_u32_e32 v8, vcc_lo, s34, v8, vcc_lo
	global_load_b32 v8, v[7:8], off
	s_or_b32 exec_lo, exec_lo, s49
	s_and_saveexec_b32 s49, s48
	s_cbranch_execnz .LBB13_313
	s_branch .LBB13_314
.LBB13_308:                             ;   in Loop: Header=BB13_138 Depth=2
	s_and_not1_saveexec_b32 s49, s49
	s_cbranch_execz .LBB13_306
.LBB13_309:                             ;   in Loop: Header=BB13_138 Depth=2
	s_mov_b32 s52, exec_lo
	s_mov_b32 s51, exec_lo
	v_mbcnt_lo_u32_b32 v6, s52, 0
                                        ; implicit-def: $vgpr7
	s_delay_alu instid0(VALU_DEP_1)
	v_cmpx_eq_u32_e32 0, v6
	s_cbranch_execz .LBB13_311
; %bb.310:                              ;   in Loop: Header=BB13_138 Depth=2
	s_bcnt1_i32_b32 s52, s52
	s_delay_alu instid0(SALU_CYCLE_1)
	v_mov_b32_e32 v7, s52
	global_atomic_add_u32 v7, v28, v7, s[12:13] offset:384 glc
.LBB13_311:                             ;   in Loop: Header=BB13_138 Depth=2
	s_or_b32 exec_lo, exec_lo, s51
	s_waitcnt vmcnt(0)
	v_readfirstlane_b32 s51, v7
	s_and_not1_b32 s48, s48, exec_lo
	s_and_b32 s52, s46, exec_lo
	s_and_not1_b32 s50, s50, exec_lo
	s_or_b32 s48, s48, s52
	v_add_nc_u32_e32 v6, s51, v6
	s_and_b32 s51, s9, exec_lo
	s_delay_alu instid0(SALU_CYCLE_1)
	s_or_b32 s50, s50, s51
	s_or_b32 exec_lo, exec_lo, s49
	s_and_saveexec_b32 s49, s50
	s_cbranch_execnz .LBB13_307
.LBB13_312:                             ;   in Loop: Header=BB13_138 Depth=2
	s_or_b32 exec_lo, exec_lo, s49
	s_and_saveexec_b32 s49, s48
	s_cbranch_execz .LBB13_314
.LBB13_313:                             ;   in Loop: Header=BB13_138 Depth=2
	v_ashrrev_i32_e32 v7, 31, v6
	s_delay_alu instid0(VALU_DEP_1) | instskip(NEXT) | instid1(VALU_DEP_1)
	v_lshlrev_b64 v[6:7], 2, v[6:7]
	v_add_co_u32 v6, vcc_lo, s23, v6
	s_delay_alu instid0(VALU_DEP_2)
	v_add_co_ci_u32_e32 v7, vcc_lo, s30, v7, vcc_lo
	s_waitcnt vmcnt(0)
	global_store_b32 v[6:7], v8, off
.LBB13_314:                             ;   in Loop: Header=BB13_138 Depth=2
	s_or_b32 exec_lo, exec_lo, s49
	v_cmp_gt_i32_e32 vcc_lo, 0, v11
	s_waitcnt vmcnt(0)
	v_add_nc_u32_e32 v8, 3, v4
	s_mov_b32 s50, 0
	s_mov_b32 s48, 0
	s_mov_b32 s49, exec_lo
	v_cndmask_b32_e64 v6, 0x7fffffff, 0, vcc_lo
	s_delay_alu instid0(VALU_DEP_1) | instskip(NEXT) | instid1(VALU_DEP_1)
	v_xor_b32_e32 v7, v6, v11
                                        ; implicit-def: $vgpr6
	v_cmpx_ge_u32_e64 v7, v35
	s_xor_b32 s49, exec_lo, s49
	s_cbranch_execz .LBB13_324
; %bb.315:                              ;   in Loop: Header=BB13_138 Depth=2
	s_mov_b32 s51, 0
	s_mov_b32 s48, exec_lo
                                        ; implicit-def: $vgpr6
	v_cmpx_eq_u32_e64 v7, v35
	s_cbranch_execz .LBB13_321
; %bb.316:                              ;   in Loop: Header=BB13_138 Depth=2
	s_mov_b32 s51, exec_lo
	s_mov_b32 s50, exec_lo
	v_mbcnt_lo_u32_b32 v6, s51, 0
                                        ; implicit-def: $vgpr7
	s_delay_alu instid0(VALU_DEP_1)
	v_cmpx_eq_u32_e32 0, v6
	s_cbranch_execz .LBB13_318
; %bb.317:                              ;   in Loop: Header=BB13_138 Depth=2
	s_bcnt1_i32_b32 s51, s51
	s_delay_alu instid0(SALU_CYCLE_1)
	v_mov_b32_e32 v7, s51
	global_atomic_add_u32 v7, v28, v7, s[12:13] offset:512 glc
.LBB13_318:                             ;   in Loop: Header=BB13_138 Depth=2
	s_or_b32 exec_lo, exec_lo, s50
	s_waitcnt vmcnt(0)
	v_readfirstlane_b32 s50, v7
	s_mov_b32 s51, 0
	s_mov_b32 s52, exec_lo
	s_delay_alu instid0(VALU_DEP_1) | instskip(SKIP_1) | instid1(VALU_DEP_1)
	v_add_nc_u32_e32 v7, s50, v6
	s_mov_b32 s50, 0
                                        ; implicit-def: $vgpr6
	v_cmpx_lt_i32_e64 v7, v36
; %bb.319:                              ;   in Loop: Header=BB13_138 Depth=2
	v_xad_u32 v6, v7, -1, s22
	s_and_b32 s51, s46, exec_lo
	s_and_b32 s50, s9, exec_lo
; %bb.320:                              ;   in Loop: Header=BB13_138 Depth=2
	s_or_b32 exec_lo, exec_lo, s52
	s_delay_alu instid0(SALU_CYCLE_1)
	s_and_b32 s51, s51, exec_lo
	s_and_b32 s50, s50, exec_lo
.LBB13_321:                             ;   in Loop: Header=BB13_138 Depth=2
	s_or_b32 exec_lo, exec_lo, s48
	s_delay_alu instid0(SALU_CYCLE_1)
	s_and_b32 s48, s51, exec_lo
	s_and_b32 s50, s50, exec_lo
	s_and_not1_saveexec_b32 s49, s49
	s_cbranch_execnz .LBB13_325
.LBB13_322:                             ;   in Loop: Header=BB13_138 Depth=2
	s_or_b32 exec_lo, exec_lo, s49
	s_and_saveexec_b32 s49, s50
	s_cbranch_execz .LBB13_328
.LBB13_323:                             ;   in Loop: Header=BB13_138 Depth=2
	v_lshlrev_b64 v[4:5], 2, v[4:5]
	s_or_b32 s48, s48, exec_lo
	s_delay_alu instid0(VALU_DEP_1) | instskip(NEXT) | instid1(VALU_DEP_2)
	v_add_co_u32 v4, vcc_lo, s35, v4
	v_add_co_ci_u32_e32 v5, vcc_lo, s36, v5, vcc_lo
	global_load_b32 v8, v[4:5], off
	s_or_b32 exec_lo, exec_lo, s49
	s_and_saveexec_b32 s49, s48
	s_cbranch_execnz .LBB13_329
	s_branch .LBB13_330
.LBB13_324:                             ;   in Loop: Header=BB13_138 Depth=2
	s_and_not1_saveexec_b32 s49, s49
	s_cbranch_execz .LBB13_322
.LBB13_325:                             ;   in Loop: Header=BB13_138 Depth=2
	s_mov_b32 s52, exec_lo
	s_mov_b32 s51, exec_lo
	v_mbcnt_lo_u32_b32 v6, s52, 0
                                        ; implicit-def: $vgpr7
	s_delay_alu instid0(VALU_DEP_1)
	v_cmpx_eq_u32_e32 0, v6
	s_cbranch_execz .LBB13_327
; %bb.326:                              ;   in Loop: Header=BB13_138 Depth=2
	s_bcnt1_i32_b32 s52, s52
	s_delay_alu instid0(SALU_CYCLE_1)
	v_mov_b32_e32 v7, s52
	global_atomic_add_u32 v7, v28, v7, s[12:13] offset:384 glc
.LBB13_327:                             ;   in Loop: Header=BB13_138 Depth=2
	s_or_b32 exec_lo, exec_lo, s51
	s_waitcnt vmcnt(0)
	v_readfirstlane_b32 s51, v7
	s_and_not1_b32 s48, s48, exec_lo
	s_and_b32 s52, s46, exec_lo
	s_and_not1_b32 s50, s50, exec_lo
	s_or_b32 s48, s48, s52
	v_add_nc_u32_e32 v6, s51, v6
	s_and_b32 s51, s9, exec_lo
	s_delay_alu instid0(SALU_CYCLE_1)
	s_or_b32 s50, s50, s51
	s_or_b32 exec_lo, exec_lo, s49
	s_and_saveexec_b32 s49, s50
	s_cbranch_execnz .LBB13_323
.LBB13_328:                             ;   in Loop: Header=BB13_138 Depth=2
	s_or_b32 exec_lo, exec_lo, s49
	s_and_saveexec_b32 s49, s48
	s_cbranch_execz .LBB13_330
.LBB13_329:                             ;   in Loop: Header=BB13_138 Depth=2
	v_ashrrev_i32_e32 v7, 31, v6
	s_delay_alu instid0(VALU_DEP_1) | instskip(NEXT) | instid1(VALU_DEP_1)
	v_lshlrev_b64 v[4:5], 2, v[6:7]
	v_add_co_u32 v4, vcc_lo, s23, v4
	s_delay_alu instid0(VALU_DEP_2)
	v_add_co_ci_u32_e32 v5, vcc_lo, s30, v5, vcc_lo
	s_waitcnt vmcnt(0)
	global_store_b32 v[4:5], v8, off
.LBB13_330:                             ;   in Loop: Header=BB13_138 Depth=2
	s_or_b32 exec_lo, exec_lo, s49
	v_cmp_gt_i32_e32 vcc_lo, 0, v0
	s_mov_b32 s50, 0
	s_mov_b32 s49, 0
	s_mov_b32 s48, exec_lo
                                        ; implicit-def: $vgpr6
	v_cndmask_b32_e64 v4, 0x7fffffff, 0, vcc_lo
	s_delay_alu instid0(VALU_DEP_1) | instskip(SKIP_1) | instid1(VALU_DEP_2)
	v_xor_b32_e32 v5, v4, v0
	v_lshl_add_u32 v4, v39, 2, s18
                                        ; implicit-def: $vgpr0
	v_cmpx_ge_u32_e64 v5, v35
	s_xor_b32 s48, exec_lo, s48
	s_cbranch_execz .LBB13_340
; %bb.331:                              ;   in Loop: Header=BB13_138 Depth=2
	s_mov_b32 s51, 0
	s_mov_b32 s49, exec_lo
                                        ; implicit-def: $vgpr6
	v_cmpx_eq_u32_e64 v5, v35
	s_cbranch_execz .LBB13_337
; %bb.332:                              ;   in Loop: Header=BB13_138 Depth=2
	s_mov_b32 s51, exec_lo
	s_mov_b32 s50, exec_lo
	v_mbcnt_lo_u32_b32 v0, s51, 0
                                        ; implicit-def: $vgpr5
	s_delay_alu instid0(VALU_DEP_1)
	v_cmpx_eq_u32_e32 0, v0
	s_cbranch_execz .LBB13_334
; %bb.333:                              ;   in Loop: Header=BB13_138 Depth=2
	s_bcnt1_i32_b32 s51, s51
	s_delay_alu instid0(SALU_CYCLE_1)
	v_mov_b32_e32 v5, s51
	global_atomic_add_u32 v5, v28, v5, s[12:13] offset:512 glc
.LBB13_334:                             ;   in Loop: Header=BB13_138 Depth=2
	s_or_b32 exec_lo, exec_lo, s50
	s_waitcnt vmcnt(0)
	v_readfirstlane_b32 s50, v5
	s_mov_b32 s51, 0
	s_mov_b32 s52, exec_lo
                                        ; implicit-def: $vgpr6
	s_delay_alu instid0(VALU_DEP_1) | instskip(SKIP_1) | instid1(VALU_DEP_1)
	v_add_nc_u32_e32 v0, s50, v0
	s_mov_b32 s50, 0
	v_cmpx_lt_i32_e64 v0, v36
	s_xor_b32 s52, exec_lo, s52
; %bb.335:                              ;   in Loop: Header=BB13_138 Depth=2
	v_xad_u32 v6, v0, -1, s22
	s_and_b32 s51, s46, exec_lo
	s_and_b32 s50, s9, exec_lo
; %bb.336:                              ;   in Loop: Header=BB13_138 Depth=2
	s_or_b32 exec_lo, exec_lo, s52
	s_delay_alu instid0(SALU_CYCLE_1)
	s_and_b32 s51, s51, exec_lo
	s_and_b32 s50, s50, exec_lo
.LBB13_337:                             ;   in Loop: Header=BB13_138 Depth=2
	s_or_b32 exec_lo, exec_lo, s49
	v_mov_b32_e32 v0, v4
	s_and_b32 s49, s51, exec_lo
	s_and_b32 s50, s50, exec_lo
	s_and_not1_saveexec_b32 s48, s48
	s_cbranch_execnz .LBB13_341
.LBB13_338:                             ;   in Loop: Header=BB13_138 Depth=2
	s_or_b32 exec_lo, exec_lo, s48
	v_ashrrev_i32_e32 v5, 31, v4
	s_and_saveexec_b32 s48, s50
	s_cbranch_execz .LBB13_344
.LBB13_339:                             ;   in Loop: Header=BB13_138 Depth=2
	s_waitcnt vmcnt(0)
	s_delay_alu instid0(VALU_DEP_1) | instskip(SKIP_1) | instid1(VALU_DEP_1)
	v_lshlrev_b64 v[7:8], 2, v[4:5]
	s_or_b32 s49, s49, exec_lo
	v_add_co_u32 v7, vcc_lo, s10, v7
	s_delay_alu instid0(VALU_DEP_2)
	v_add_co_ci_u32_e32 v8, vcc_lo, s11, v8, vcc_lo
	global_load_b32 v0, v[7:8], off
	s_or_b32 exec_lo, exec_lo, s48
	s_and_saveexec_b32 s48, s49
	s_cbranch_execnz .LBB13_345
	s_branch .LBB13_346
.LBB13_340:                             ;   in Loop: Header=BB13_138 Depth=2
	s_and_not1_saveexec_b32 s48, s48
	s_cbranch_execz .LBB13_338
.LBB13_341:                             ;   in Loop: Header=BB13_138 Depth=2
	s_mov_b32 s52, exec_lo
	s_mov_b32 s51, exec_lo
	v_mbcnt_lo_u32_b32 v0, s52, 0
                                        ; implicit-def: $vgpr5
	s_delay_alu instid0(VALU_DEP_1)
	v_cmpx_eq_u32_e32 0, v0
	s_cbranch_execz .LBB13_343
; %bb.342:                              ;   in Loop: Header=BB13_138 Depth=2
	s_bcnt1_i32_b32 s52, s52
	s_delay_alu instid0(SALU_CYCLE_1)
	v_mov_b32_e32 v5, s52
	global_atomic_add_u32 v5, v28, v5, s[12:13] offset:384 glc
.LBB13_343:                             ;   in Loop: Header=BB13_138 Depth=2
	s_or_b32 exec_lo, exec_lo, s51
	s_waitcnt vmcnt(0)
	v_readfirstlane_b32 s51, v5
	s_and_not1_b32 s49, s49, exec_lo
	s_and_b32 s52, s46, exec_lo
	s_and_not1_b32 s50, s50, exec_lo
	s_or_b32 s49, s49, s52
	v_add_nc_u32_e32 v6, s51, v0
	v_mov_b32_e32 v0, v4
	s_and_b32 s51, s9, exec_lo
	s_delay_alu instid0(SALU_CYCLE_1)
	s_or_b32 s50, s50, s51
	s_or_b32 exec_lo, exec_lo, s48
	v_ashrrev_i32_e32 v5, 31, v4
	s_and_saveexec_b32 s48, s50
	s_cbranch_execnz .LBB13_339
.LBB13_344:                             ;   in Loop: Header=BB13_138 Depth=2
	s_or_b32 exec_lo, exec_lo, s48
	s_and_saveexec_b32 s48, s49
	s_cbranch_execz .LBB13_346
.LBB13_345:                             ;   in Loop: Header=BB13_138 Depth=2
	v_ashrrev_i32_e32 v7, 31, v6
	s_delay_alu instid0(VALU_DEP_1) | instskip(NEXT) | instid1(VALU_DEP_1)
	v_lshlrev_b64 v[6:7], 2, v[6:7]
	v_add_co_u32 v6, vcc_lo, s23, v6
	s_delay_alu instid0(VALU_DEP_2)
	v_add_co_ci_u32_e32 v7, vcc_lo, s30, v7, vcc_lo
	s_waitcnt vmcnt(0)
	global_store_b32 v[6:7], v0, off
.LBB13_346:                             ;   in Loop: Header=BB13_138 Depth=2
	s_or_b32 exec_lo, exec_lo, s48
	v_cmp_gt_i32_e32 vcc_lo, 0, v1
	v_add_nc_u32_e32 v6, 1, v4
	s_mov_b32 s50, 0
	s_mov_b32 s48, 0
	s_mov_b32 s49, exec_lo
	s_waitcnt vmcnt(0)
	v_cndmask_b32_e64 v0, 0x7fffffff, 0, vcc_lo
	s_delay_alu instid0(VALU_DEP_1) | instskip(NEXT) | instid1(VALU_DEP_1)
	v_xor_b32_e32 v1, v0, v1
                                        ; implicit-def: $vgpr0
	v_cmpx_ge_u32_e64 v1, v35
	s_xor_b32 s49, exec_lo, s49
	s_cbranch_execz .LBB13_356
; %bb.347:                              ;   in Loop: Header=BB13_138 Depth=2
	s_mov_b32 s51, 0
	s_mov_b32 s48, exec_lo
                                        ; implicit-def: $vgpr0
	v_cmpx_eq_u32_e64 v1, v35
	s_cbranch_execz .LBB13_353
; %bb.348:                              ;   in Loop: Header=BB13_138 Depth=2
	s_mov_b32 s51, exec_lo
	s_mov_b32 s50, exec_lo
	v_mbcnt_lo_u32_b32 v0, s51, 0
                                        ; implicit-def: $vgpr1
	s_delay_alu instid0(VALU_DEP_1)
	v_cmpx_eq_u32_e32 0, v0
	s_cbranch_execz .LBB13_350
; %bb.349:                              ;   in Loop: Header=BB13_138 Depth=2
	s_bcnt1_i32_b32 s51, s51
	s_delay_alu instid0(SALU_CYCLE_1)
	v_mov_b32_e32 v1, s51
	global_atomic_add_u32 v1, v28, v1, s[12:13] offset:512 glc
.LBB13_350:                             ;   in Loop: Header=BB13_138 Depth=2
	s_or_b32 exec_lo, exec_lo, s50
	s_waitcnt vmcnt(0)
	v_readfirstlane_b32 s50, v1
	s_mov_b32 s51, 0
	s_mov_b32 s52, exec_lo
	s_delay_alu instid0(VALU_DEP_1) | instskip(SKIP_1) | instid1(VALU_DEP_1)
	v_add_nc_u32_e32 v1, s50, v0
	s_mov_b32 s50, 0
                                        ; implicit-def: $vgpr0
	v_cmpx_lt_i32_e64 v1, v36
; %bb.351:                              ;   in Loop: Header=BB13_138 Depth=2
	v_xad_u32 v0, v1, -1, s22
	s_and_b32 s51, s46, exec_lo
	s_and_b32 s50, s9, exec_lo
; %bb.352:                              ;   in Loop: Header=BB13_138 Depth=2
	s_or_b32 exec_lo, exec_lo, s52
	s_delay_alu instid0(SALU_CYCLE_1)
	s_and_b32 s51, s51, exec_lo
	s_and_b32 s50, s50, exec_lo
.LBB13_353:                             ;   in Loop: Header=BB13_138 Depth=2
	s_or_b32 exec_lo, exec_lo, s48
	s_delay_alu instid0(SALU_CYCLE_1)
	s_and_b32 s48, s51, exec_lo
	s_and_b32 s50, s50, exec_lo
	s_and_not1_saveexec_b32 s49, s49
	s_cbranch_execnz .LBB13_357
.LBB13_354:                             ;   in Loop: Header=BB13_138 Depth=2
	s_or_b32 exec_lo, exec_lo, s49
	s_and_saveexec_b32 s49, s50
	s_cbranch_execz .LBB13_360
.LBB13_355:                             ;   in Loop: Header=BB13_138 Depth=2
	v_lshlrev_b64 v[6:7], 2, v[4:5]
	s_or_b32 s48, s48, exec_lo
	s_delay_alu instid0(VALU_DEP_1) | instskip(NEXT) | instid1(VALU_DEP_2)
	v_add_co_u32 v6, vcc_lo, s14, v6
	v_add_co_ci_u32_e32 v7, vcc_lo, s19, v7, vcc_lo
	global_load_b32 v6, v[6:7], off
	s_or_b32 exec_lo, exec_lo, s49
	s_and_saveexec_b32 s49, s48
	s_cbranch_execnz .LBB13_361
	s_branch .LBB13_362
.LBB13_356:                             ;   in Loop: Header=BB13_138 Depth=2
	s_and_not1_saveexec_b32 s49, s49
	s_cbranch_execz .LBB13_354
.LBB13_357:                             ;   in Loop: Header=BB13_138 Depth=2
	s_mov_b32 s52, exec_lo
	s_mov_b32 s51, exec_lo
	v_mbcnt_lo_u32_b32 v0, s52, 0
                                        ; implicit-def: $vgpr1
	s_delay_alu instid0(VALU_DEP_1)
	v_cmpx_eq_u32_e32 0, v0
	s_cbranch_execz .LBB13_359
; %bb.358:                              ;   in Loop: Header=BB13_138 Depth=2
	s_bcnt1_i32_b32 s52, s52
	s_delay_alu instid0(SALU_CYCLE_1)
	v_mov_b32_e32 v1, s52
	global_atomic_add_u32 v1, v28, v1, s[12:13] offset:384 glc
.LBB13_359:                             ;   in Loop: Header=BB13_138 Depth=2
	s_or_b32 exec_lo, exec_lo, s51
	s_waitcnt vmcnt(0)
	v_readfirstlane_b32 s51, v1
	s_and_not1_b32 s48, s48, exec_lo
	s_and_b32 s52, s46, exec_lo
	s_and_not1_b32 s50, s50, exec_lo
	s_or_b32 s48, s48, s52
	v_add_nc_u32_e32 v0, s51, v0
	s_and_b32 s51, s9, exec_lo
	s_delay_alu instid0(SALU_CYCLE_1)
	s_or_b32 s50, s50, s51
	s_or_b32 exec_lo, exec_lo, s49
	s_and_saveexec_b32 s49, s50
	s_cbranch_execnz .LBB13_355
.LBB13_360:                             ;   in Loop: Header=BB13_138 Depth=2
	s_or_b32 exec_lo, exec_lo, s49
	s_and_saveexec_b32 s49, s48
	s_cbranch_execz .LBB13_362
.LBB13_361:                             ;   in Loop: Header=BB13_138 Depth=2
	v_ashrrev_i32_e32 v1, 31, v0
	s_delay_alu instid0(VALU_DEP_1) | instskip(NEXT) | instid1(VALU_DEP_1)
	v_lshlrev_b64 v[0:1], 2, v[0:1]
	v_add_co_u32 v0, vcc_lo, s23, v0
	s_delay_alu instid0(VALU_DEP_2)
	v_add_co_ci_u32_e32 v1, vcc_lo, s30, v1, vcc_lo
	s_waitcnt vmcnt(0)
	global_store_b32 v[0:1], v6, off
.LBB13_362:                             ;   in Loop: Header=BB13_138 Depth=2
	s_or_b32 exec_lo, exec_lo, s49
	v_cmp_gt_i32_e32 vcc_lo, 0, v2
	s_mov_b32 s50, 0
	s_mov_b32 s48, 0
	s_mov_b32 s49, exec_lo
	v_cndmask_b32_e64 v0, 0x7fffffff, 0, vcc_lo
	s_delay_alu instid0(VALU_DEP_1) | instskip(SKIP_1) | instid1(VALU_DEP_2)
	v_xor_b32_e32 v1, v0, v2
	v_add_nc_u32_e32 v2, 2, v4
                                        ; implicit-def: $vgpr0
	v_cmpx_ge_u32_e64 v1, v35
	s_xor_b32 s49, exec_lo, s49
	s_cbranch_execz .LBB13_372
; %bb.363:                              ;   in Loop: Header=BB13_138 Depth=2
	s_mov_b32 s51, 0
	s_mov_b32 s48, exec_lo
                                        ; implicit-def: $vgpr0
	v_cmpx_eq_u32_e64 v1, v35
	s_cbranch_execz .LBB13_369
; %bb.364:                              ;   in Loop: Header=BB13_138 Depth=2
	s_mov_b32 s51, exec_lo
	s_mov_b32 s50, exec_lo
	v_mbcnt_lo_u32_b32 v0, s51, 0
                                        ; implicit-def: $vgpr1
	s_delay_alu instid0(VALU_DEP_1)
	v_cmpx_eq_u32_e32 0, v0
	s_cbranch_execz .LBB13_366
; %bb.365:                              ;   in Loop: Header=BB13_138 Depth=2
	s_bcnt1_i32_b32 s51, s51
	s_delay_alu instid0(SALU_CYCLE_1)
	v_mov_b32_e32 v1, s51
	global_atomic_add_u32 v1, v28, v1, s[12:13] offset:512 glc
.LBB13_366:                             ;   in Loop: Header=BB13_138 Depth=2
	s_or_b32 exec_lo, exec_lo, s50
	s_waitcnt vmcnt(0)
	v_readfirstlane_b32 s50, v1
	s_mov_b32 s51, 0
	s_mov_b32 s52, exec_lo
	s_delay_alu instid0(VALU_DEP_1) | instskip(SKIP_1) | instid1(VALU_DEP_1)
	v_add_nc_u32_e32 v1, s50, v0
	s_mov_b32 s50, 0
                                        ; implicit-def: $vgpr0
	v_cmpx_lt_i32_e64 v1, v36
; %bb.367:                              ;   in Loop: Header=BB13_138 Depth=2
	v_xad_u32 v0, v1, -1, s22
	s_and_b32 s51, s46, exec_lo
	s_and_b32 s50, s9, exec_lo
; %bb.368:                              ;   in Loop: Header=BB13_138 Depth=2
	s_or_b32 exec_lo, exec_lo, s52
	s_delay_alu instid0(SALU_CYCLE_1)
	s_and_b32 s51, s51, exec_lo
	s_and_b32 s50, s50, exec_lo
.LBB13_369:                             ;   in Loop: Header=BB13_138 Depth=2
	s_or_b32 exec_lo, exec_lo, s48
	s_delay_alu instid0(SALU_CYCLE_1)
	s_and_b32 s48, s51, exec_lo
	s_and_b32 s50, s50, exec_lo
	s_and_not1_saveexec_b32 s49, s49
	s_cbranch_execnz .LBB13_373
.LBB13_370:                             ;   in Loop: Header=BB13_138 Depth=2
	s_or_b32 exec_lo, exec_lo, s49
	s_and_saveexec_b32 s49, s50
	s_cbranch_execz .LBB13_376
.LBB13_371:                             ;   in Loop: Header=BB13_138 Depth=2
	v_lshlrev_b64 v[1:2], 2, v[4:5]
	s_or_b32 s48, s48, exec_lo
	s_delay_alu instid0(VALU_DEP_1) | instskip(NEXT) | instid1(VALU_DEP_2)
	v_add_co_u32 v1, vcc_lo, s33, v1
	v_add_co_ci_u32_e32 v2, vcc_lo, s34, v2, vcc_lo
	global_load_b32 v2, v[1:2], off
	s_or_b32 exec_lo, exec_lo, s49
	s_and_saveexec_b32 s49, s48
	s_cbranch_execnz .LBB13_377
	s_branch .LBB13_378
.LBB13_372:                             ;   in Loop: Header=BB13_138 Depth=2
	s_and_not1_saveexec_b32 s49, s49
	s_cbranch_execz .LBB13_370
.LBB13_373:                             ;   in Loop: Header=BB13_138 Depth=2
	s_mov_b32 s52, exec_lo
	s_mov_b32 s51, exec_lo
	v_mbcnt_lo_u32_b32 v0, s52, 0
                                        ; implicit-def: $vgpr1
	s_delay_alu instid0(VALU_DEP_1)
	v_cmpx_eq_u32_e32 0, v0
	s_cbranch_execz .LBB13_375
; %bb.374:                              ;   in Loop: Header=BB13_138 Depth=2
	s_bcnt1_i32_b32 s52, s52
	s_delay_alu instid0(SALU_CYCLE_1)
	v_mov_b32_e32 v1, s52
	global_atomic_add_u32 v1, v28, v1, s[12:13] offset:384 glc
.LBB13_375:                             ;   in Loop: Header=BB13_138 Depth=2
	s_or_b32 exec_lo, exec_lo, s51
	s_waitcnt vmcnt(0)
	v_readfirstlane_b32 s51, v1
	s_and_not1_b32 s48, s48, exec_lo
	s_and_b32 s52, s46, exec_lo
	s_and_not1_b32 s50, s50, exec_lo
	s_or_b32 s48, s48, s52
	v_add_nc_u32_e32 v0, s51, v0
	s_and_b32 s51, s9, exec_lo
	s_delay_alu instid0(SALU_CYCLE_1)
	s_or_b32 s50, s50, s51
	s_or_b32 exec_lo, exec_lo, s49
	s_and_saveexec_b32 s49, s50
	s_cbranch_execnz .LBB13_371
.LBB13_376:                             ;   in Loop: Header=BB13_138 Depth=2
	s_or_b32 exec_lo, exec_lo, s49
	s_and_saveexec_b32 s49, s48
	s_cbranch_execz .LBB13_378
.LBB13_377:                             ;   in Loop: Header=BB13_138 Depth=2
	v_ashrrev_i32_e32 v1, 31, v0
	s_delay_alu instid0(VALU_DEP_1) | instskip(NEXT) | instid1(VALU_DEP_1)
	v_lshlrev_b64 v[0:1], 2, v[0:1]
	v_add_co_u32 v0, vcc_lo, s23, v0
	s_delay_alu instid0(VALU_DEP_2)
	v_add_co_ci_u32_e32 v1, vcc_lo, s30, v1, vcc_lo
	s_waitcnt vmcnt(0)
	global_store_b32 v[0:1], v2, off
.LBB13_378:                             ;   in Loop: Header=BB13_138 Depth=2
	s_or_b32 exec_lo, exec_lo, s49
	v_cmp_gt_i32_e32 vcc_lo, 0, v3
	s_waitcnt vmcnt(0)
	v_add_nc_u32_e32 v2, 3, v4
	s_mov_b32 s50, 0
	s_mov_b32 s48, 0
	s_mov_b32 s49, exec_lo
	v_cndmask_b32_e64 v0, 0x7fffffff, 0, vcc_lo
	s_delay_alu instid0(VALU_DEP_1) | instskip(NEXT) | instid1(VALU_DEP_1)
	v_xor_b32_e32 v1, v0, v3
                                        ; implicit-def: $vgpr0
	v_cmpx_ge_u32_e64 v1, v35
	s_xor_b32 s49, exec_lo, s49
	s_cbranch_execz .LBB13_388
; %bb.379:                              ;   in Loop: Header=BB13_138 Depth=2
	s_mov_b32 s51, 0
	s_mov_b32 s48, exec_lo
                                        ; implicit-def: $vgpr0
	v_cmpx_eq_u32_e64 v1, v35
	s_cbranch_execz .LBB13_385
; %bb.380:                              ;   in Loop: Header=BB13_138 Depth=2
	s_mov_b32 s51, exec_lo
	s_mov_b32 s50, exec_lo
	v_mbcnt_lo_u32_b32 v0, s51, 0
                                        ; implicit-def: $vgpr1
	s_delay_alu instid0(VALU_DEP_1)
	v_cmpx_eq_u32_e32 0, v0
	s_cbranch_execz .LBB13_382
; %bb.381:                              ;   in Loop: Header=BB13_138 Depth=2
	s_bcnt1_i32_b32 s51, s51
	s_delay_alu instid0(SALU_CYCLE_1)
	v_mov_b32_e32 v1, s51
	global_atomic_add_u32 v1, v28, v1, s[12:13] offset:512 glc
.LBB13_382:                             ;   in Loop: Header=BB13_138 Depth=2
	s_or_b32 exec_lo, exec_lo, s50
	s_waitcnt vmcnt(0)
	v_readfirstlane_b32 s50, v1
	s_mov_b32 s51, 0
	s_mov_b32 s52, exec_lo
	s_delay_alu instid0(VALU_DEP_1) | instskip(SKIP_1) | instid1(VALU_DEP_1)
	v_add_nc_u32_e32 v1, s50, v0
	s_mov_b32 s50, 0
                                        ; implicit-def: $vgpr0
	v_cmpx_lt_i32_e64 v1, v36
; %bb.383:                              ;   in Loop: Header=BB13_138 Depth=2
	v_xad_u32 v0, v1, -1, s22
	s_and_b32 s51, s46, exec_lo
	s_and_b32 s50, s9, exec_lo
; %bb.384:                              ;   in Loop: Header=BB13_138 Depth=2
	s_or_b32 exec_lo, exec_lo, s52
	s_delay_alu instid0(SALU_CYCLE_1)
	s_and_b32 s51, s51, exec_lo
	s_and_b32 s50, s50, exec_lo
.LBB13_385:                             ;   in Loop: Header=BB13_138 Depth=2
	s_or_b32 exec_lo, exec_lo, s48
	s_delay_alu instid0(SALU_CYCLE_1)
	s_and_b32 s48, s51, exec_lo
	s_and_b32 s50, s50, exec_lo
	s_and_not1_saveexec_b32 s49, s49
	s_cbranch_execnz .LBB13_389
.LBB13_386:                             ;   in Loop: Header=BB13_138 Depth=2
	s_or_b32 exec_lo, exec_lo, s49
	s_and_saveexec_b32 s49, s50
	s_cbranch_execz .LBB13_392
.LBB13_387:                             ;   in Loop: Header=BB13_138 Depth=2
	v_lshlrev_b64 v[1:2], 2, v[4:5]
	s_or_b32 s48, s48, exec_lo
	s_delay_alu instid0(VALU_DEP_1) | instskip(NEXT) | instid1(VALU_DEP_2)
	v_add_co_u32 v1, vcc_lo, s35, v1
	v_add_co_ci_u32_e32 v2, vcc_lo, s36, v2, vcc_lo
	global_load_b32 v2, v[1:2], off
	s_or_b32 exec_lo, exec_lo, s49
	s_and_saveexec_b32 s49, s48
	s_cbranch_execz .LBB13_137
	s_branch .LBB13_393
.LBB13_388:                             ;   in Loop: Header=BB13_138 Depth=2
	s_and_not1_saveexec_b32 s49, s49
	s_cbranch_execz .LBB13_386
.LBB13_389:                             ;   in Loop: Header=BB13_138 Depth=2
	s_mov_b32 s52, exec_lo
	s_mov_b32 s51, exec_lo
	v_mbcnt_lo_u32_b32 v0, s52, 0
                                        ; implicit-def: $vgpr1
	s_delay_alu instid0(VALU_DEP_1)
	v_cmpx_eq_u32_e32 0, v0
	s_cbranch_execz .LBB13_391
; %bb.390:                              ;   in Loop: Header=BB13_138 Depth=2
	s_bcnt1_i32_b32 s52, s52
	s_delay_alu instid0(SALU_CYCLE_1)
	v_mov_b32_e32 v1, s52
	global_atomic_add_u32 v1, v28, v1, s[12:13] offset:384 glc
.LBB13_391:                             ;   in Loop: Header=BB13_138 Depth=2
	s_or_b32 exec_lo, exec_lo, s51
	s_waitcnt vmcnt(0)
	v_readfirstlane_b32 s51, v1
	s_and_not1_b32 s48, s48, exec_lo
	s_and_b32 s52, s46, exec_lo
	s_and_not1_b32 s50, s50, exec_lo
	s_or_b32 s48, s48, s52
	v_add_nc_u32_e32 v0, s51, v0
	s_and_b32 s51, s9, exec_lo
	s_delay_alu instid0(SALU_CYCLE_1)
	s_or_b32 s50, s50, s51
	s_or_b32 exec_lo, exec_lo, s49
	s_and_saveexec_b32 s49, s50
	s_cbranch_execnz .LBB13_387
.LBB13_392:                             ;   in Loop: Header=BB13_138 Depth=2
	s_or_b32 exec_lo, exec_lo, s49
	s_and_saveexec_b32 s49, s48
	s_cbranch_execz .LBB13_137
.LBB13_393:                             ;   in Loop: Header=BB13_138 Depth=2
	v_ashrrev_i32_e32 v1, 31, v0
	s_delay_alu instid0(VALU_DEP_1) | instskip(NEXT) | instid1(VALU_DEP_1)
	v_lshlrev_b64 v[0:1], 2, v[0:1]
	v_add_co_u32 v0, vcc_lo, s23, v0
	s_delay_alu instid0(VALU_DEP_2)
	v_add_co_ci_u32_e32 v1, vcc_lo, s30, v1, vcc_lo
	s_waitcnt vmcnt(0)
	global_store_b32 v[0:1], v2, off
	s_branch .LBB13_137
.LBB13_394:                             ;   in Loop: Header=BB13_18 Depth=1
	s_or_b32 exec_lo, exec_lo, s29
	s_delay_alu instid0(SALU_CYCLE_1) | instskip(NEXT) | instid1(SALU_CYCLE_1)
	s_or_b32 exec_lo, exec_lo, s7
	s_mov_b32 s7, exec_lo
	v_cmpx_gt_i32_e64 s16, v37
	s_cbranch_execz .LBB13_461
.LBB13_395:                             ;   in Loop: Header=BB13_18 Depth=1
	v_lshl_add_u32 v4, v37, 2, s18
	s_mov_b32 s29, 0
	s_branch .LBB13_397
.LBB13_396:                             ;   in Loop: Header=BB13_397 Depth=2
	s_or_b32 exec_lo, exec_lo, s49
	v_add_nc_u32_e32 v37, s8, v37
	v_add_nc_u32_e32 v4, s31, v4
	s_delay_alu instid0(VALU_DEP_2) | instskip(SKIP_1) | instid1(SALU_CYCLE_1)
	v_cmp_le_i32_e32 vcc_lo, s16, v37
	s_or_b32 s29, vcc_lo, s29
	s_and_not1_b32 exec_lo, exec_lo, s29
	s_cbranch_execz .LBB13_461
.LBB13_397:                             ;   Parent Loop BB13_18 Depth=1
                                        ; =>  This Inner Loop Header: Depth=2
	v_ashrrev_i32_e32 v38, 31, v37
	s_mov_b32 s50, 0
	s_mov_b32 s49, 0
	s_mov_b32 s48, exec_lo
                                        ; implicit-def: $vgpr6
	s_delay_alu instid0(VALU_DEP_1) | instskip(NEXT) | instid1(VALU_DEP_1)
	v_lshlrev_b64 v[0:1], 4, v[37:38]
	v_add_co_u32 v0, vcc_lo, s15, v0
	s_delay_alu instid0(VALU_DEP_2) | instskip(SKIP_4) | instid1(VALU_DEP_1)
	v_add_co_ci_u32_e32 v1, vcc_lo, s26, v1, vcc_lo
	global_load_b128 v[0:3], v[0:1], off
	s_waitcnt vmcnt(0)
	v_cmp_gt_i32_e32 vcc_lo, 0, v0
	v_cndmask_b32_e64 v5, 0x7fffffff, 0, vcc_lo
	v_xor_b32_e32 v5, v5, v0
                                        ; implicit-def: $vgpr0
	s_waitcnt lgkmcnt(0)
	s_delay_alu instid0(VALU_DEP_1)
	v_cmpx_ge_u32_e64 v5, v35
	s_xor_b32 s48, exec_lo, s48
	s_cbranch_execz .LBB13_407
; %bb.398:                              ;   in Loop: Header=BB13_397 Depth=2
	s_mov_b32 s51, 0
	s_mov_b32 s49, exec_lo
                                        ; implicit-def: $vgpr6
	v_cmpx_eq_u32_e64 v5, v35
	s_cbranch_execz .LBB13_404
; %bb.399:                              ;   in Loop: Header=BB13_397 Depth=2
	s_mov_b32 s51, exec_lo
	s_mov_b32 s50, exec_lo
	v_mbcnt_lo_u32_b32 v0, s51, 0
                                        ; implicit-def: $vgpr5
	s_delay_alu instid0(VALU_DEP_1)
	v_cmpx_eq_u32_e32 0, v0
	s_cbranch_execz .LBB13_401
; %bb.400:                              ;   in Loop: Header=BB13_397 Depth=2
	s_bcnt1_i32_b32 s51, s51
	s_delay_alu instid0(SALU_CYCLE_1)
	v_mov_b32_e32 v5, s51
	global_atomic_add_u32 v5, v28, v5, s[12:13] offset:512 glc
.LBB13_401:                             ;   in Loop: Header=BB13_397 Depth=2
	s_or_b32 exec_lo, exec_lo, s50
	s_waitcnt vmcnt(0)
	v_readfirstlane_b32 s50, v5
	s_mov_b32 s51, 0
	s_mov_b32 s52, exec_lo
                                        ; implicit-def: $vgpr6
	s_delay_alu instid0(VALU_DEP_1) | instskip(SKIP_1) | instid1(VALU_DEP_1)
	v_add_nc_u32_e32 v0, s50, v0
	s_mov_b32 s50, 0
	v_cmpx_lt_i32_e64 v0, v36
	s_xor_b32 s52, exec_lo, s52
; %bb.402:                              ;   in Loop: Header=BB13_397 Depth=2
	v_xad_u32 v6, v0, -1, s22
	s_mov_b32 s51, exec_lo
	s_and_b32 s50, s9, exec_lo
; %bb.403:                              ;   in Loop: Header=BB13_397 Depth=2
	s_or_b32 exec_lo, exec_lo, s52
	s_delay_alu instid0(SALU_CYCLE_1)
	s_and_b32 s51, s51, exec_lo
	s_and_b32 s50, s50, exec_lo
.LBB13_404:                             ;   in Loop: Header=BB13_397 Depth=2
	s_or_b32 exec_lo, exec_lo, s49
	v_mov_b32_e32 v0, v4
	s_and_b32 s49, s51, exec_lo
	s_and_b32 s50, s50, exec_lo
	s_and_not1_saveexec_b32 s48, s48
	s_cbranch_execnz .LBB13_408
.LBB13_405:                             ;   in Loop: Header=BB13_397 Depth=2
	s_or_b32 exec_lo, exec_lo, s48
	v_ashrrev_i32_e32 v5, 31, v4
	s_and_saveexec_b32 s48, s50
	s_cbranch_execz .LBB13_411
.LBB13_406:                             ;   in Loop: Header=BB13_397 Depth=2
	s_delay_alu instid0(VALU_DEP_1) | instskip(SKIP_1) | instid1(VALU_DEP_1)
	v_lshlrev_b64 v[7:8], 2, v[4:5]
	s_or_b32 s49, s49, exec_lo
	v_add_co_u32 v7, vcc_lo, s10, v7
	s_delay_alu instid0(VALU_DEP_2)
	v_add_co_ci_u32_e32 v8, vcc_lo, s11, v8, vcc_lo
	global_load_b32 v0, v[7:8], off
	s_or_b32 exec_lo, exec_lo, s48
	s_and_saveexec_b32 s48, s49
	s_cbranch_execnz .LBB13_412
	s_branch .LBB13_413
.LBB13_407:                             ;   in Loop: Header=BB13_397 Depth=2
	s_and_not1_saveexec_b32 s48, s48
	s_cbranch_execz .LBB13_405
.LBB13_408:                             ;   in Loop: Header=BB13_397 Depth=2
	s_mov_b32 s52, exec_lo
	s_mov_b32 s51, exec_lo
	v_mbcnt_lo_u32_b32 v0, s52, 0
                                        ; implicit-def: $vgpr5
	s_delay_alu instid0(VALU_DEP_1)
	v_cmpx_eq_u32_e32 0, v0
	s_cbranch_execz .LBB13_410
; %bb.409:                              ;   in Loop: Header=BB13_397 Depth=2
	s_bcnt1_i32_b32 s52, s52
	s_delay_alu instid0(SALU_CYCLE_1)
	v_mov_b32_e32 v5, s52
	global_atomic_add_u32 v5, v28, v5, s[12:13] offset:384 glc
.LBB13_410:                             ;   in Loop: Header=BB13_397 Depth=2
	s_or_b32 exec_lo, exec_lo, s51
	s_waitcnt vmcnt(0)
	v_readfirstlane_b32 s51, v5
	s_and_not1_b32 s49, s49, exec_lo
	s_and_b32 s52, s46, exec_lo
	s_and_not1_b32 s50, s50, exec_lo
	s_or_b32 s49, s49, s52
	v_add_nc_u32_e32 v6, s51, v0
	v_mov_b32_e32 v0, v4
	s_and_b32 s51, s9, exec_lo
	s_delay_alu instid0(SALU_CYCLE_1)
	s_or_b32 s50, s50, s51
	s_or_b32 exec_lo, exec_lo, s48
	v_ashrrev_i32_e32 v5, 31, v4
	s_and_saveexec_b32 s48, s50
	s_cbranch_execnz .LBB13_406
.LBB13_411:                             ;   in Loop: Header=BB13_397 Depth=2
	s_or_b32 exec_lo, exec_lo, s48
	s_and_saveexec_b32 s48, s49
	s_cbranch_execz .LBB13_413
.LBB13_412:                             ;   in Loop: Header=BB13_397 Depth=2
	v_ashrrev_i32_e32 v7, 31, v6
	s_delay_alu instid0(VALU_DEP_1) | instskip(NEXT) | instid1(VALU_DEP_1)
	v_lshlrev_b64 v[6:7], 2, v[6:7]
	v_add_co_u32 v6, vcc_lo, s23, v6
	s_delay_alu instid0(VALU_DEP_2)
	v_add_co_ci_u32_e32 v7, vcc_lo, s30, v7, vcc_lo
	s_waitcnt vmcnt(0)
	global_store_b32 v[6:7], v0, off
.LBB13_413:                             ;   in Loop: Header=BB13_397 Depth=2
	s_or_b32 exec_lo, exec_lo, s48
	v_cmp_gt_i32_e32 vcc_lo, 0, v1
	v_add_nc_u32_e32 v6, 1, v4
	s_mov_b32 s50, 0
	s_mov_b32 s48, 0
	s_mov_b32 s49, exec_lo
	s_waitcnt vmcnt(0)
	v_cndmask_b32_e64 v0, 0x7fffffff, 0, vcc_lo
	s_delay_alu instid0(VALU_DEP_1) | instskip(NEXT) | instid1(VALU_DEP_1)
	v_xor_b32_e32 v1, v0, v1
                                        ; implicit-def: $vgpr0
	v_cmpx_ge_u32_e64 v1, v35
	s_xor_b32 s49, exec_lo, s49
	s_cbranch_execz .LBB13_423
; %bb.414:                              ;   in Loop: Header=BB13_397 Depth=2
	s_mov_b32 s51, 0
	s_mov_b32 s48, exec_lo
                                        ; implicit-def: $vgpr0
	v_cmpx_eq_u32_e64 v1, v35
	s_cbranch_execz .LBB13_420
; %bb.415:                              ;   in Loop: Header=BB13_397 Depth=2
	s_mov_b32 s51, exec_lo
	s_mov_b32 s50, exec_lo
	v_mbcnt_lo_u32_b32 v0, s51, 0
                                        ; implicit-def: $vgpr1
	s_delay_alu instid0(VALU_DEP_1)
	v_cmpx_eq_u32_e32 0, v0
	s_cbranch_execz .LBB13_417
; %bb.416:                              ;   in Loop: Header=BB13_397 Depth=2
	s_bcnt1_i32_b32 s51, s51
	s_delay_alu instid0(SALU_CYCLE_1)
	v_mov_b32_e32 v1, s51
	global_atomic_add_u32 v1, v28, v1, s[12:13] offset:512 glc
.LBB13_417:                             ;   in Loop: Header=BB13_397 Depth=2
	s_or_b32 exec_lo, exec_lo, s50
	s_waitcnt vmcnt(0)
	v_readfirstlane_b32 s50, v1
	s_mov_b32 s51, 0
	s_mov_b32 s52, exec_lo
	s_delay_alu instid0(VALU_DEP_1) | instskip(SKIP_1) | instid1(VALU_DEP_1)
	v_add_nc_u32_e32 v1, s50, v0
	s_mov_b32 s50, 0
                                        ; implicit-def: $vgpr0
	v_cmpx_lt_i32_e64 v1, v36
; %bb.418:                              ;   in Loop: Header=BB13_397 Depth=2
	v_xad_u32 v0, v1, -1, s22
	s_and_b32 s51, s46, exec_lo
	s_and_b32 s50, s9, exec_lo
; %bb.419:                              ;   in Loop: Header=BB13_397 Depth=2
	s_or_b32 exec_lo, exec_lo, s52
	s_delay_alu instid0(SALU_CYCLE_1)
	s_and_b32 s51, s51, exec_lo
	s_and_b32 s50, s50, exec_lo
.LBB13_420:                             ;   in Loop: Header=BB13_397 Depth=2
	s_or_b32 exec_lo, exec_lo, s48
	s_delay_alu instid0(SALU_CYCLE_1)
	s_and_b32 s48, s51, exec_lo
	s_and_b32 s50, s50, exec_lo
	s_and_not1_saveexec_b32 s49, s49
	s_cbranch_execnz .LBB13_424
.LBB13_421:                             ;   in Loop: Header=BB13_397 Depth=2
	s_or_b32 exec_lo, exec_lo, s49
	s_and_saveexec_b32 s49, s50
	s_cbranch_execz .LBB13_427
.LBB13_422:                             ;   in Loop: Header=BB13_397 Depth=2
	v_lshlrev_b64 v[6:7], 2, v[4:5]
	s_or_b32 s48, s48, exec_lo
	s_delay_alu instid0(VALU_DEP_1) | instskip(NEXT) | instid1(VALU_DEP_2)
	v_add_co_u32 v6, vcc_lo, s14, v6
	v_add_co_ci_u32_e32 v7, vcc_lo, s19, v7, vcc_lo
	global_load_b32 v6, v[6:7], off
	s_or_b32 exec_lo, exec_lo, s49
	s_and_saveexec_b32 s49, s48
	s_cbranch_execnz .LBB13_428
	s_branch .LBB13_429
.LBB13_423:                             ;   in Loop: Header=BB13_397 Depth=2
	s_and_not1_saveexec_b32 s49, s49
	s_cbranch_execz .LBB13_421
.LBB13_424:                             ;   in Loop: Header=BB13_397 Depth=2
	s_mov_b32 s52, exec_lo
	s_mov_b32 s51, exec_lo
	v_mbcnt_lo_u32_b32 v0, s52, 0
                                        ; implicit-def: $vgpr1
	s_delay_alu instid0(VALU_DEP_1)
	v_cmpx_eq_u32_e32 0, v0
	s_cbranch_execz .LBB13_426
; %bb.425:                              ;   in Loop: Header=BB13_397 Depth=2
	s_bcnt1_i32_b32 s52, s52
	s_delay_alu instid0(SALU_CYCLE_1)
	v_mov_b32_e32 v1, s52
	global_atomic_add_u32 v1, v28, v1, s[12:13] offset:384 glc
.LBB13_426:                             ;   in Loop: Header=BB13_397 Depth=2
	s_or_b32 exec_lo, exec_lo, s51
	s_waitcnt vmcnt(0)
	v_readfirstlane_b32 s51, v1
	s_and_not1_b32 s50, s50, exec_lo
	s_or_b32 s48, s48, exec_lo
	s_delay_alu instid0(VALU_DEP_1) | instskip(SKIP_1) | instid1(SALU_CYCLE_1)
	v_add_nc_u32_e32 v0, s51, v0
	s_and_b32 s51, s9, exec_lo
	s_or_b32 s50, s50, s51
	s_or_b32 exec_lo, exec_lo, s49
	s_and_saveexec_b32 s49, s50
	s_cbranch_execnz .LBB13_422
.LBB13_427:                             ;   in Loop: Header=BB13_397 Depth=2
	s_or_b32 exec_lo, exec_lo, s49
	s_and_saveexec_b32 s49, s48
	s_cbranch_execz .LBB13_429
.LBB13_428:                             ;   in Loop: Header=BB13_397 Depth=2
	v_ashrrev_i32_e32 v1, 31, v0
	s_delay_alu instid0(VALU_DEP_1) | instskip(NEXT) | instid1(VALU_DEP_1)
	v_lshlrev_b64 v[0:1], 2, v[0:1]
	v_add_co_u32 v0, vcc_lo, s23, v0
	s_delay_alu instid0(VALU_DEP_2)
	v_add_co_ci_u32_e32 v1, vcc_lo, s30, v1, vcc_lo
	s_waitcnt vmcnt(0)
	global_store_b32 v[0:1], v6, off
.LBB13_429:                             ;   in Loop: Header=BB13_397 Depth=2
	s_or_b32 exec_lo, exec_lo, s49
	v_cmp_gt_i32_e32 vcc_lo, 0, v2
	s_mov_b32 s50, 0
	s_mov_b32 s48, 0
	s_mov_b32 s49, exec_lo
	v_cndmask_b32_e64 v0, 0x7fffffff, 0, vcc_lo
	s_delay_alu instid0(VALU_DEP_1) | instskip(SKIP_1) | instid1(VALU_DEP_2)
	v_xor_b32_e32 v1, v0, v2
	v_add_nc_u32_e32 v2, 2, v4
                                        ; implicit-def: $vgpr0
	v_cmpx_ge_u32_e64 v1, v35
	s_xor_b32 s49, exec_lo, s49
	s_cbranch_execz .LBB13_439
; %bb.430:                              ;   in Loop: Header=BB13_397 Depth=2
	s_mov_b32 s51, 0
	s_mov_b32 s48, exec_lo
                                        ; implicit-def: $vgpr0
	v_cmpx_eq_u32_e64 v1, v35
	s_cbranch_execz .LBB13_436
; %bb.431:                              ;   in Loop: Header=BB13_397 Depth=2
	s_mov_b32 s51, exec_lo
	s_mov_b32 s50, exec_lo
	v_mbcnt_lo_u32_b32 v0, s51, 0
                                        ; implicit-def: $vgpr1
	s_delay_alu instid0(VALU_DEP_1)
	v_cmpx_eq_u32_e32 0, v0
	s_cbranch_execz .LBB13_433
; %bb.432:                              ;   in Loop: Header=BB13_397 Depth=2
	s_bcnt1_i32_b32 s51, s51
	s_delay_alu instid0(SALU_CYCLE_1)
	v_mov_b32_e32 v1, s51
	global_atomic_add_u32 v1, v28, v1, s[12:13] offset:512 glc
.LBB13_433:                             ;   in Loop: Header=BB13_397 Depth=2
	s_or_b32 exec_lo, exec_lo, s50
	s_waitcnt vmcnt(0)
	v_readfirstlane_b32 s50, v1
	s_mov_b32 s51, 0
	s_mov_b32 s52, exec_lo
	s_delay_alu instid0(VALU_DEP_1) | instskip(SKIP_1) | instid1(VALU_DEP_1)
	v_add_nc_u32_e32 v1, s50, v0
	s_mov_b32 s50, 0
                                        ; implicit-def: $vgpr0
	v_cmpx_lt_i32_e64 v1, v36
; %bb.434:                              ;   in Loop: Header=BB13_397 Depth=2
	v_xad_u32 v0, v1, -1, s22
	s_and_b32 s51, s46, exec_lo
	s_and_b32 s50, s9, exec_lo
; %bb.435:                              ;   in Loop: Header=BB13_397 Depth=2
	s_or_b32 exec_lo, exec_lo, s52
	s_delay_alu instid0(SALU_CYCLE_1)
	s_and_b32 s51, s51, exec_lo
	s_and_b32 s50, s50, exec_lo
.LBB13_436:                             ;   in Loop: Header=BB13_397 Depth=2
	s_or_b32 exec_lo, exec_lo, s48
	s_delay_alu instid0(SALU_CYCLE_1)
	s_and_b32 s48, s51, exec_lo
	s_and_b32 s50, s50, exec_lo
	s_and_not1_saveexec_b32 s49, s49
	s_cbranch_execnz .LBB13_440
.LBB13_437:                             ;   in Loop: Header=BB13_397 Depth=2
	s_or_b32 exec_lo, exec_lo, s49
	s_and_saveexec_b32 s49, s50
	s_cbranch_execz .LBB13_443
.LBB13_438:                             ;   in Loop: Header=BB13_397 Depth=2
	v_lshlrev_b64 v[1:2], 2, v[4:5]
	s_or_b32 s48, s48, exec_lo
	s_delay_alu instid0(VALU_DEP_1) | instskip(NEXT) | instid1(VALU_DEP_2)
	v_add_co_u32 v1, vcc_lo, s33, v1
	v_add_co_ci_u32_e32 v2, vcc_lo, s34, v2, vcc_lo
	global_load_b32 v2, v[1:2], off
	s_or_b32 exec_lo, exec_lo, s49
	s_and_saveexec_b32 s49, s48
	s_cbranch_execnz .LBB13_444
	s_branch .LBB13_445
.LBB13_439:                             ;   in Loop: Header=BB13_397 Depth=2
	s_and_not1_saveexec_b32 s49, s49
	s_cbranch_execz .LBB13_437
.LBB13_440:                             ;   in Loop: Header=BB13_397 Depth=2
	s_mov_b32 s52, exec_lo
	s_mov_b32 s51, exec_lo
	v_mbcnt_lo_u32_b32 v0, s52, 0
                                        ; implicit-def: $vgpr1
	s_delay_alu instid0(VALU_DEP_1)
	v_cmpx_eq_u32_e32 0, v0
	s_cbranch_execz .LBB13_442
; %bb.441:                              ;   in Loop: Header=BB13_397 Depth=2
	s_bcnt1_i32_b32 s52, s52
	s_delay_alu instid0(SALU_CYCLE_1)
	v_mov_b32_e32 v1, s52
	global_atomic_add_u32 v1, v28, v1, s[12:13] offset:384 glc
.LBB13_442:                             ;   in Loop: Header=BB13_397 Depth=2
	s_or_b32 exec_lo, exec_lo, s51
	s_waitcnt vmcnt(0)
	v_readfirstlane_b32 s51, v1
	s_and_not1_b32 s50, s50, exec_lo
	s_or_b32 s48, s48, exec_lo
	s_delay_alu instid0(VALU_DEP_1) | instskip(SKIP_1) | instid1(SALU_CYCLE_1)
	v_add_nc_u32_e32 v0, s51, v0
	s_and_b32 s51, s9, exec_lo
	s_or_b32 s50, s50, s51
	s_or_b32 exec_lo, exec_lo, s49
	s_and_saveexec_b32 s49, s50
	s_cbranch_execnz .LBB13_438
.LBB13_443:                             ;   in Loop: Header=BB13_397 Depth=2
	s_or_b32 exec_lo, exec_lo, s49
	s_and_saveexec_b32 s49, s48
	s_cbranch_execz .LBB13_445
.LBB13_444:                             ;   in Loop: Header=BB13_397 Depth=2
	v_ashrrev_i32_e32 v1, 31, v0
	s_delay_alu instid0(VALU_DEP_1) | instskip(NEXT) | instid1(VALU_DEP_1)
	v_lshlrev_b64 v[0:1], 2, v[0:1]
	v_add_co_u32 v0, vcc_lo, s23, v0
	s_delay_alu instid0(VALU_DEP_2)
	v_add_co_ci_u32_e32 v1, vcc_lo, s30, v1, vcc_lo
	s_waitcnt vmcnt(0)
	global_store_b32 v[0:1], v2, off
.LBB13_445:                             ;   in Loop: Header=BB13_397 Depth=2
	s_or_b32 exec_lo, exec_lo, s49
	v_cmp_gt_i32_e32 vcc_lo, 0, v3
	s_waitcnt vmcnt(0)
	v_add_nc_u32_e32 v2, 3, v4
	s_mov_b32 s50, 0
	s_mov_b32 s48, 0
	s_mov_b32 s49, exec_lo
	v_cndmask_b32_e64 v0, 0x7fffffff, 0, vcc_lo
	s_delay_alu instid0(VALU_DEP_1) | instskip(NEXT) | instid1(VALU_DEP_1)
	v_xor_b32_e32 v1, v0, v3
                                        ; implicit-def: $vgpr0
	v_cmpx_ge_u32_e64 v1, v35
	s_xor_b32 s49, exec_lo, s49
	s_cbranch_execz .LBB13_455
; %bb.446:                              ;   in Loop: Header=BB13_397 Depth=2
	s_mov_b32 s51, 0
	s_mov_b32 s48, exec_lo
                                        ; implicit-def: $vgpr0
	v_cmpx_eq_u32_e64 v1, v35
	s_cbranch_execz .LBB13_452
; %bb.447:                              ;   in Loop: Header=BB13_397 Depth=2
	s_mov_b32 s51, exec_lo
	s_mov_b32 s50, exec_lo
	v_mbcnt_lo_u32_b32 v0, s51, 0
                                        ; implicit-def: $vgpr1
	s_delay_alu instid0(VALU_DEP_1)
	v_cmpx_eq_u32_e32 0, v0
	s_cbranch_execz .LBB13_449
; %bb.448:                              ;   in Loop: Header=BB13_397 Depth=2
	s_bcnt1_i32_b32 s51, s51
	s_delay_alu instid0(SALU_CYCLE_1)
	v_mov_b32_e32 v1, s51
	global_atomic_add_u32 v1, v28, v1, s[12:13] offset:512 glc
.LBB13_449:                             ;   in Loop: Header=BB13_397 Depth=2
	s_or_b32 exec_lo, exec_lo, s50
	s_waitcnt vmcnt(0)
	v_readfirstlane_b32 s50, v1
	s_mov_b32 s51, 0
	s_mov_b32 s52, exec_lo
	s_delay_alu instid0(VALU_DEP_1) | instskip(SKIP_1) | instid1(VALU_DEP_1)
	v_add_nc_u32_e32 v1, s50, v0
	s_mov_b32 s50, 0
                                        ; implicit-def: $vgpr0
	v_cmpx_lt_i32_e64 v1, v36
; %bb.450:                              ;   in Loop: Header=BB13_397 Depth=2
	v_xad_u32 v0, v1, -1, s22
	s_and_b32 s51, s46, exec_lo
	s_and_b32 s50, s9, exec_lo
; %bb.451:                              ;   in Loop: Header=BB13_397 Depth=2
	s_or_b32 exec_lo, exec_lo, s52
	s_delay_alu instid0(SALU_CYCLE_1)
	s_and_b32 s51, s51, exec_lo
	s_and_b32 s50, s50, exec_lo
.LBB13_452:                             ;   in Loop: Header=BB13_397 Depth=2
	s_or_b32 exec_lo, exec_lo, s48
	s_delay_alu instid0(SALU_CYCLE_1)
	s_and_b32 s48, s51, exec_lo
	s_and_b32 s50, s50, exec_lo
	s_and_not1_saveexec_b32 s49, s49
	s_cbranch_execnz .LBB13_456
.LBB13_453:                             ;   in Loop: Header=BB13_397 Depth=2
	s_or_b32 exec_lo, exec_lo, s49
	s_and_saveexec_b32 s49, s50
	s_cbranch_execz .LBB13_459
.LBB13_454:                             ;   in Loop: Header=BB13_397 Depth=2
	v_lshlrev_b64 v[1:2], 2, v[4:5]
	s_or_b32 s48, s48, exec_lo
	s_delay_alu instid0(VALU_DEP_1) | instskip(NEXT) | instid1(VALU_DEP_2)
	v_add_co_u32 v1, vcc_lo, s35, v1
	v_add_co_ci_u32_e32 v2, vcc_lo, s36, v2, vcc_lo
	global_load_b32 v2, v[1:2], off
	s_or_b32 exec_lo, exec_lo, s49
	s_and_saveexec_b32 s49, s48
	s_cbranch_execz .LBB13_396
	s_branch .LBB13_460
.LBB13_455:                             ;   in Loop: Header=BB13_397 Depth=2
	s_and_not1_saveexec_b32 s49, s49
	s_cbranch_execz .LBB13_453
.LBB13_456:                             ;   in Loop: Header=BB13_397 Depth=2
	s_mov_b32 s52, exec_lo
	s_mov_b32 s51, exec_lo
	v_mbcnt_lo_u32_b32 v0, s52, 0
                                        ; implicit-def: $vgpr1
	s_delay_alu instid0(VALU_DEP_1)
	v_cmpx_eq_u32_e32 0, v0
	s_cbranch_execz .LBB13_458
; %bb.457:                              ;   in Loop: Header=BB13_397 Depth=2
	s_bcnt1_i32_b32 s52, s52
	s_delay_alu instid0(SALU_CYCLE_1)
	v_mov_b32_e32 v1, s52
	global_atomic_add_u32 v1, v28, v1, s[12:13] offset:384 glc
.LBB13_458:                             ;   in Loop: Header=BB13_397 Depth=2
	s_or_b32 exec_lo, exec_lo, s51
	s_waitcnt vmcnt(0)
	v_readfirstlane_b32 s51, v1
	s_and_not1_b32 s50, s50, exec_lo
	s_or_b32 s48, s48, exec_lo
	s_delay_alu instid0(VALU_DEP_1) | instskip(SKIP_1) | instid1(SALU_CYCLE_1)
	v_add_nc_u32_e32 v0, s51, v0
	s_and_b32 s51, s9, exec_lo
	s_or_b32 s50, s50, s51
	s_or_b32 exec_lo, exec_lo, s49
	s_and_saveexec_b32 s49, s50
	s_cbranch_execnz .LBB13_454
.LBB13_459:                             ;   in Loop: Header=BB13_397 Depth=2
	s_or_b32 exec_lo, exec_lo, s49
	s_and_saveexec_b32 s49, s48
	s_cbranch_execz .LBB13_396
.LBB13_460:                             ;   in Loop: Header=BB13_397 Depth=2
	v_ashrrev_i32_e32 v1, 31, v0
	s_delay_alu instid0(VALU_DEP_1) | instskip(NEXT) | instid1(VALU_DEP_1)
	v_lshlrev_b64 v[0:1], 2, v[0:1]
	v_add_co_u32 v0, vcc_lo, s23, v0
	s_delay_alu instid0(VALU_DEP_2)
	v_add_co_ci_u32_e32 v1, vcc_lo, s30, v1, vcc_lo
	s_waitcnt vmcnt(0)
	global_store_b32 v[0:1], v2, off
	s_branch .LBB13_396
.LBB13_461:                             ;   in Loop: Header=BB13_18 Depth=1
	s_or_b32 exec_lo, exec_lo, s7
	s_and_saveexec_b32 s7, s1
	s_cbranch_execz .LBB13_478
; %bb.462:                              ;   in Loop: Header=BB13_18 Depth=1
	global_load_b32 v0, v[19:20], off
	s_mov_b32 s49, 0
	s_mov_b32 s48, 0
	s_mov_b32 s29, exec_lo
                                        ; implicit-def: $vgpr2
	s_waitcnt vmcnt(0)
	v_cmp_gt_i32_e32 vcc_lo, 0, v0
	v_cndmask_b32_e64 v1, 0x7fffffff, 0, vcc_lo
	s_delay_alu instid0(VALU_DEP_1) | instskip(SKIP_1) | instid1(VALU_DEP_1)
	v_xor_b32_e32 v1, v1, v0
                                        ; implicit-def: $vgpr0
	s_waitcnt lgkmcnt(0)
	v_cmpx_ge_u32_e64 v1, v35
	s_xor_b32 s29, exec_lo, s29
	s_cbranch_execz .LBB13_472
; %bb.463:                              ;   in Loop: Header=BB13_18 Depth=1
	s_mov_b32 s50, 0
	s_mov_b32 s48, exec_lo
                                        ; implicit-def: $vgpr0
	v_cmpx_eq_u32_e64 v1, v35
	s_cbranch_execz .LBB13_469
; %bb.464:                              ;   in Loop: Header=BB13_18 Depth=1
	s_mov_b32 s50, exec_lo
	s_mov_b32 s49, exec_lo
	v_mbcnt_lo_u32_b32 v0, s50, 0
                                        ; implicit-def: $vgpr1
	s_delay_alu instid0(VALU_DEP_1)
	v_cmpx_eq_u32_e32 0, v0
	s_cbranch_execz .LBB13_466
; %bb.465:                              ;   in Loop: Header=BB13_18 Depth=1
	s_bcnt1_i32_b32 s50, s50
	s_delay_alu instid0(SALU_CYCLE_1)
	v_mov_b32_e32 v1, s50
	global_atomic_add_u32 v1, v28, v1, s[12:13] offset:512 glc
.LBB13_466:                             ;   in Loop: Header=BB13_18 Depth=1
	s_or_b32 exec_lo, exec_lo, s49
	s_waitcnt vmcnt(0)
	v_readfirstlane_b32 s49, v1
	s_mov_b32 s50, 0
	s_mov_b32 s51, exec_lo
	s_delay_alu instid0(VALU_DEP_1) | instskip(SKIP_1) | instid1(VALU_DEP_1)
	v_add_nc_u32_e32 v1, s49, v0
	s_mov_b32 s49, 0
                                        ; implicit-def: $vgpr0
	v_cmpx_lt_i32_e64 v1, v36
	s_xor_b32 s51, exec_lo, s51
; %bb.467:                              ;   in Loop: Header=BB13_18 Depth=1
	v_xad_u32 v0, v1, -1, s22
	s_and_b32 s50, s46, exec_lo
	s_and_b32 s49, s9, exec_lo
; %bb.468:                              ;   in Loop: Header=BB13_18 Depth=1
	s_or_b32 exec_lo, exec_lo, s51
	s_delay_alu instid0(SALU_CYCLE_1)
	s_and_b32 s50, s50, exec_lo
	s_and_b32 s49, s49, exec_lo
.LBB13_469:                             ;   in Loop: Header=BB13_18 Depth=1
	s_or_b32 exec_lo, exec_lo, s48
	v_mov_b32_e32 v2, v14
	s_and_b32 s48, s50, exec_lo
	s_and_b32 s49, s49, exec_lo
	s_and_not1_saveexec_b32 s29, s29
	s_cbranch_execnz .LBB13_473
.LBB13_470:                             ;   in Loop: Header=BB13_18 Depth=1
	s_or_b32 exec_lo, exec_lo, s29
	s_and_saveexec_b32 s29, s49
	s_cbranch_execz .LBB13_476
.LBB13_471:                             ;   in Loop: Header=BB13_18 Depth=1
	global_load_b32 v2, v[21:22], off
	s_or_b32 s48, s48, exec_lo
	s_or_b32 exec_lo, exec_lo, s29
	s_delay_alu instid0(SALU_CYCLE_1)
	s_and_b32 exec_lo, exec_lo, s48
	s_cbranch_execnz .LBB13_477
	s_branch .LBB13_478
.LBB13_472:                             ;   in Loop: Header=BB13_18 Depth=1
	s_and_not1_saveexec_b32 s29, s29
	s_cbranch_execz .LBB13_470
.LBB13_473:                             ;   in Loop: Header=BB13_18 Depth=1
	s_mov_b32 s51, exec_lo
	s_mov_b32 s50, exec_lo
	v_mbcnt_lo_u32_b32 v0, s51, 0
                                        ; implicit-def: $vgpr1
	s_delay_alu instid0(VALU_DEP_1)
	v_cmpx_eq_u32_e32 0, v0
	s_cbranch_execz .LBB13_475
; %bb.474:                              ;   in Loop: Header=BB13_18 Depth=1
	s_bcnt1_i32_b32 s51, s51
	s_delay_alu instid0(SALU_CYCLE_1)
	v_mov_b32_e32 v1, s51
	global_atomic_add_u32 v1, v28, v1, s[12:13] offset:384 glc
.LBB13_475:                             ;   in Loop: Header=BB13_18 Depth=1
	s_or_b32 exec_lo, exec_lo, s50
	s_waitcnt vmcnt(0)
	v_readfirstlane_b32 s50, v1
	v_mov_b32_e32 v2, v14
	s_and_not1_b32 s48, s48, exec_lo
	s_and_b32 s51, s46, exec_lo
	s_and_not1_b32 s49, s49, exec_lo
	v_add_nc_u32_e32 v0, s50, v0
	s_and_b32 s50, s9, exec_lo
	s_or_b32 s48, s48, s51
	s_or_b32 s49, s49, s50
	s_or_b32 exec_lo, exec_lo, s29
	s_and_saveexec_b32 s29, s49
	s_cbranch_execnz .LBB13_471
.LBB13_476:                             ;   in Loop: Header=BB13_18 Depth=1
	s_or_b32 exec_lo, exec_lo, s29
	s_delay_alu instid0(SALU_CYCLE_1)
	s_and_b32 exec_lo, exec_lo, s48
	s_cbranch_execz .LBB13_478
.LBB13_477:                             ;   in Loop: Header=BB13_18 Depth=1
	v_ashrrev_i32_e32 v1, 31, v0
	s_delay_alu instid0(VALU_DEP_1) | instskip(NEXT) | instid1(VALU_DEP_1)
	v_lshlrev_b64 v[0:1], 2, v[0:1]
	v_add_co_u32 v0, vcc_lo, s23, v0
	s_delay_alu instid0(VALU_DEP_2)
	v_add_co_ci_u32_e32 v1, vcc_lo, s30, v1, vcc_lo
	s_waitcnt vmcnt(0)
	global_store_b32 v[0:1], v2, off
.LBB13_478:                             ;   in Loop: Header=BB13_18 Depth=1
	s_or_b32 exec_lo, exec_lo, s7
	s_and_saveexec_b32 s7, s0
	s_cbranch_execz .LBB13_495
; %bb.479:                              ;   in Loop: Header=BB13_18 Depth=1
	global_load_b32 v0, v[15:16], off
	s_mov_b32 s49, 0
	s_mov_b32 s48, 0
	s_mov_b32 s29, exec_lo
                                        ; implicit-def: $vgpr2
	s_waitcnt vmcnt(0)
	v_cmp_gt_i32_e32 vcc_lo, 0, v0
	v_cndmask_b32_e64 v1, 0x7fffffff, 0, vcc_lo
	s_delay_alu instid0(VALU_DEP_1) | instskip(SKIP_1) | instid1(VALU_DEP_1)
	v_xor_b32_e32 v1, v1, v0
                                        ; implicit-def: $vgpr0
	s_waitcnt lgkmcnt(0)
	v_cmpx_ge_u32_e64 v1, v35
	s_xor_b32 s29, exec_lo, s29
	s_cbranch_execz .LBB13_489
; %bb.480:                              ;   in Loop: Header=BB13_18 Depth=1
	s_mov_b32 s50, 0
	s_mov_b32 s48, exec_lo
                                        ; implicit-def: $vgpr0
	v_cmpx_eq_u32_e64 v1, v35
	s_cbranch_execz .LBB13_486
; %bb.481:                              ;   in Loop: Header=BB13_18 Depth=1
	s_mov_b32 s50, exec_lo
	s_mov_b32 s49, exec_lo
	v_mbcnt_lo_u32_b32 v0, s50, 0
                                        ; implicit-def: $vgpr1
	s_delay_alu instid0(VALU_DEP_1)
	v_cmpx_eq_u32_e32 0, v0
	s_cbranch_execz .LBB13_483
; %bb.482:                              ;   in Loop: Header=BB13_18 Depth=1
	s_bcnt1_i32_b32 s50, s50
	s_delay_alu instid0(SALU_CYCLE_1)
	v_mov_b32_e32 v1, s50
	global_atomic_add_u32 v1, v28, v1, s[12:13] offset:512 glc
.LBB13_483:                             ;   in Loop: Header=BB13_18 Depth=1
	s_or_b32 exec_lo, exec_lo, s49
	s_waitcnt vmcnt(0)
	v_readfirstlane_b32 s49, v1
	s_mov_b32 s50, 0
	s_mov_b32 s51, exec_lo
	s_delay_alu instid0(VALU_DEP_1) | instskip(SKIP_1) | instid1(VALU_DEP_1)
	v_add_nc_u32_e32 v1, s49, v0
	s_mov_b32 s49, 0
                                        ; implicit-def: $vgpr0
	v_cmpx_lt_i32_e64 v1, v36
	s_xor_b32 s51, exec_lo, s51
; %bb.484:                              ;   in Loop: Header=BB13_18 Depth=1
	v_xad_u32 v0, v1, -1, s22
	s_and_b32 s50, s46, exec_lo
	s_and_b32 s49, s9, exec_lo
; %bb.485:                              ;   in Loop: Header=BB13_18 Depth=1
	s_or_b32 exec_lo, exec_lo, s51
	s_delay_alu instid0(SALU_CYCLE_1)
	s_and_b32 s50, s50, exec_lo
	s_and_b32 s49, s49, exec_lo
.LBB13_486:                             ;   in Loop: Header=BB13_18 Depth=1
	s_or_b32 exec_lo, exec_lo, s48
	v_mov_b32_e32 v2, v12
	s_and_b32 s48, s50, exec_lo
	s_and_b32 s49, s49, exec_lo
	s_and_not1_saveexec_b32 s29, s29
	s_cbranch_execnz .LBB13_490
.LBB13_487:                             ;   in Loop: Header=BB13_18 Depth=1
	s_or_b32 exec_lo, exec_lo, s29
	s_and_saveexec_b32 s29, s49
	s_cbranch_execz .LBB13_493
.LBB13_488:                             ;   in Loop: Header=BB13_18 Depth=1
	global_load_b32 v2, v[17:18], off
	s_or_b32 s48, s48, exec_lo
	s_or_b32 exec_lo, exec_lo, s29
	s_delay_alu instid0(SALU_CYCLE_1)
	s_and_b32 exec_lo, exec_lo, s48
	s_cbranch_execnz .LBB13_494
	s_branch .LBB13_495
.LBB13_489:                             ;   in Loop: Header=BB13_18 Depth=1
	s_and_not1_saveexec_b32 s29, s29
	s_cbranch_execz .LBB13_487
.LBB13_490:                             ;   in Loop: Header=BB13_18 Depth=1
	s_mov_b32 s51, exec_lo
	s_mov_b32 s50, exec_lo
	v_mbcnt_lo_u32_b32 v0, s51, 0
                                        ; implicit-def: $vgpr1
	s_delay_alu instid0(VALU_DEP_1)
	v_cmpx_eq_u32_e32 0, v0
	s_cbranch_execz .LBB13_492
; %bb.491:                              ;   in Loop: Header=BB13_18 Depth=1
	s_bcnt1_i32_b32 s51, s51
	s_delay_alu instid0(SALU_CYCLE_1)
	v_mov_b32_e32 v1, s51
	global_atomic_add_u32 v1, v28, v1, s[12:13] offset:384 glc
.LBB13_492:                             ;   in Loop: Header=BB13_18 Depth=1
	s_or_b32 exec_lo, exec_lo, s50
	s_waitcnt vmcnt(0)
	v_readfirstlane_b32 s50, v1
	v_mov_b32_e32 v2, v12
	s_and_not1_b32 s48, s48, exec_lo
	s_and_b32 s51, s46, exec_lo
	s_and_not1_b32 s49, s49, exec_lo
	v_add_nc_u32_e32 v0, s50, v0
	s_and_b32 s50, s9, exec_lo
	s_or_b32 s48, s48, s51
	s_or_b32 s49, s49, s50
	s_or_b32 exec_lo, exec_lo, s29
	s_and_saveexec_b32 s29, s49
	s_cbranch_execnz .LBB13_488
.LBB13_493:                             ;   in Loop: Header=BB13_18 Depth=1
	s_or_b32 exec_lo, exec_lo, s29
	s_delay_alu instid0(SALU_CYCLE_1)
	s_and_b32 exec_lo, exec_lo, s48
	s_cbranch_execz .LBB13_495
.LBB13_494:                             ;   in Loop: Header=BB13_18 Depth=1
	v_ashrrev_i32_e32 v1, 31, v0
	s_delay_alu instid0(VALU_DEP_1) | instskip(NEXT) | instid1(VALU_DEP_1)
	v_lshlrev_b64 v[0:1], 2, v[0:1]
	v_add_co_u32 v0, vcc_lo, s23, v0
	s_delay_alu instid0(VALU_DEP_2)
	v_add_co_ci_u32_e32 v1, vcc_lo, s30, v1, vcc_lo
	s_waitcnt vmcnt(0)
	global_store_b32 v[0:1], v2, off
.LBB13_495:                             ;   in Loop: Header=BB13_18 Depth=1
	s_or_b32 exec_lo, exec_lo, s7
.LBB13_496:                             ;   in Loop: Header=BB13_18 Depth=1
	s_add_i32 s27, s27, 1
	v_add_co_u32 v33, vcc_lo, 0x2000, v33
	s_cmp_eq_u32 s27, 3
	v_add_co_ci_u32_e32 v34, vcc_lo, 0, v34, vcc_lo
	s_mov_b32 s7, -1
	s_cselect_b32 s29, -1, 0
	s_branch .LBB13_17
.LBB13_497:
	s_and_not1_b32 vcc_lo, exec_lo, s7
	s_cbranch_vccz .LBB13_655
; %bb.498:
	v_mov_b32_e32 v28, 0
	v_mov_b32_e32 v4, v14
	s_add_i32 s2, s28, 32
	ds_load_b32 v13, v28 offset:16896
	s_and_saveexec_b32 s3, s4
	s_cbranch_execz .LBB13_611
; %bb.499:
	s_lshl_b32 s5, -1, s2
	s_mov_b32 s4, 0
	s_branch .LBB13_503
.LBB13_500:                             ;   in Loop: Header=BB13_503 Depth=1
	v_ashrrev_i32_e32 v5, 31, v4
	s_delay_alu instid0(VALU_DEP_1) | instskip(NEXT) | instid1(VALU_DEP_1)
	v_lshlrev_b64 v[1:2], 2, v[4:5]
	v_add_co_u32 v1, vcc_lo, s35, v1
	s_delay_alu instid0(VALU_DEP_2)
	v_add_co_ci_u32_e32 v2, vcc_lo, s36, v2, vcc_lo
	global_load_b32 v1, v[1:2], off
.LBB13_501:                             ;   in Loop: Header=BB13_503 Depth=1
	v_add_nc_u32_e32 v2, s7, v0
	s_delay_alu instid0(VALU_DEP_1) | instskip(NEXT) | instid1(VALU_DEP_1)
	v_ashrrev_i32_e32 v3, 31, v2
	v_lshlrev_b64 v[2:3], 2, v[2:3]
	s_delay_alu instid0(VALU_DEP_1) | instskip(NEXT) | instid1(VALU_DEP_2)
	v_add_co_u32 v2, vcc_lo, s23, v2
	v_add_co_ci_u32_e32 v3, vcc_lo, s30, v3, vcc_lo
	s_waitcnt vmcnt(0)
	global_store_b32 v[2:3], v1, off
.LBB13_502:                             ;   in Loop: Header=BB13_503 Depth=1
	s_or_b32 exec_lo, exec_lo, s6
	v_add_nc_u32_e32 v23, s31, v23
	s_delay_alu instid0(VALU_DEP_1) | instskip(SKIP_1) | instid1(VALU_DEP_2)
	v_ashrrev_i32_e32 v24, 31, v23
	v_add_co_u32 v25, vcc_lo, s38, v23
	v_add_co_ci_u32_e32 v26, vcc_lo, s37, v24, vcc_lo
	s_delay_alu instid0(VALU_DEP_1) | instskip(SKIP_1) | instid1(SALU_CYCLE_1)
	v_cmp_le_u64_e32 vcc_lo, s[16:17], v[25:26]
	s_or_b32 s4, vcc_lo, s4
	s_and_not1_b32 exec_lo, exec_lo, s4
	s_cbranch_execz .LBB13_610
.LBB13_503:                             ; =>This Inner Loop Header: Depth=1
	v_lshlrev_b64 v[0:1], 4, v[23:24]
	s_mov_b32 s6, exec_lo
	s_delay_alu instid0(VALU_DEP_1) | instskip(NEXT) | instid1(VALU_DEP_2)
	v_add_co_u32 v4, vcc_lo, s15, v0
	v_add_co_ci_u32_e32 v5, vcc_lo, s26, v1, vcc_lo
	s_delay_alu instid0(VALU_DEP_2)
	v_add_co_u32 v8, vcc_lo, v4, s20
	global_load_b128 v[0:3], v[4:5], off
	v_add_co_ci_u32_e32 v9, vcc_lo, s21, v5, vcc_lo
	global_load_b128 v[4:7], v[8:9], off
	s_waitcnt vmcnt(1)
	v_cmp_gt_i32_e32 vcc_lo, 0, v0
	v_cndmask_b32_e64 v10, 0x7fffffff, 0, vcc_lo
	s_delay_alu instid0(VALU_DEP_1) | instskip(SKIP_1) | instid1(VALU_DEP_2)
	v_xor_b32_e32 v0, v10, v0
	v_lshl_add_u32 v10, v23, 2, s18
	v_and_b32_e32 v0, s5, v0
	s_waitcnt lgkmcnt(0)
	s_delay_alu instid0(VALU_DEP_1)
	v_cmpx_le_u32_e64 v0, v13
	s_cbranch_execz .LBB13_509
; %bb.504:                              ;   in Loop: Header=BB13_503 Depth=1
	s_mov_b32 s22, exec_lo
	s_mov_b32 s7, exec_lo
	v_mbcnt_lo_u32_b32 v0, s22, 0
                                        ; implicit-def: $vgpr11
	s_delay_alu instid0(VALU_DEP_1)
	v_cmpx_eq_u32_e32 0, v0
	s_cbranch_execz .LBB13_506
; %bb.505:                              ;   in Loop: Header=BB13_503 Depth=1
	s_bcnt1_i32_b32 s22, s22
	s_delay_alu instid0(SALU_CYCLE_1)
	v_mov_b32_e32 v11, s22
	global_atomic_add_u32 v11, v28, v11, s[12:13] offset:384 glc
.LBB13_506:                             ;   in Loop: Header=BB13_503 Depth=1
	s_or_b32 exec_lo, exec_lo, s7
	s_waitcnt vmcnt(0)
	v_readfirstlane_b32 s7, v11
	v_mov_b32_e32 v11, v10
	s_and_not1_b32 vcc_lo, exec_lo, s9
	s_cbranch_vccnz .LBB13_508
; %bb.507:                              ;   in Loop: Header=BB13_503 Depth=1
	v_ashrrev_i32_e32 v11, 31, v10
	s_delay_alu instid0(VALU_DEP_1) | instskip(NEXT) | instid1(VALU_DEP_1)
	v_lshlrev_b64 v[29:30], 2, v[10:11]
	v_add_co_u32 v29, vcc_lo, s10, v29
	s_delay_alu instid0(VALU_DEP_2)
	v_add_co_ci_u32_e32 v30, vcc_lo, s11, v30, vcc_lo
	global_load_b32 v11, v[29:30], off
.LBB13_508:                             ;   in Loop: Header=BB13_503 Depth=1
	s_delay_alu instid0(VALU_DEP_2) | instskip(NEXT) | instid1(VALU_DEP_1)
	v_add_nc_u32_e32 v29, s7, v0
	v_ashrrev_i32_e32 v30, 31, v29
	s_delay_alu instid0(VALU_DEP_1) | instskip(NEXT) | instid1(VALU_DEP_1)
	v_lshlrev_b64 v[29:30], 2, v[29:30]
	v_add_co_u32 v29, vcc_lo, s23, v29
	s_delay_alu instid0(VALU_DEP_2)
	v_add_co_ci_u32_e32 v30, vcc_lo, s30, v30, vcc_lo
	s_waitcnt vmcnt(0)
	global_store_b32 v[29:30], v11, off
.LBB13_509:                             ;   in Loop: Header=BB13_503 Depth=1
	s_or_b32 exec_lo, exec_lo, s6
	v_cmp_gt_i32_e32 vcc_lo, 0, v1
	s_mov_b32 s6, exec_lo
	v_cndmask_b32_e64 v0, 0x7fffffff, 0, vcc_lo
	s_delay_alu instid0(VALU_DEP_1) | instskip(NEXT) | instid1(VALU_DEP_1)
	v_xor_b32_e32 v0, v0, v1
	v_and_b32_e32 v0, s5, v0
	s_delay_alu instid0(VALU_DEP_1)
	v_cmpx_le_u32_e64 v0, v13
	s_cbranch_execz .LBB13_516
; %bb.510:                              ;   in Loop: Header=BB13_503 Depth=1
	s_mov_b32 s22, exec_lo
	s_mov_b32 s7, exec_lo
	v_mbcnt_lo_u32_b32 v0, s22, 0
                                        ; implicit-def: $vgpr1
	s_delay_alu instid0(VALU_DEP_1)
	v_cmpx_eq_u32_e32 0, v0
	s_cbranch_execz .LBB13_512
; %bb.511:                              ;   in Loop: Header=BB13_503 Depth=1
	s_bcnt1_i32_b32 s22, s22
	s_delay_alu instid0(SALU_CYCLE_1)
	v_mov_b32_e32 v1, s22
	global_atomic_add_u32 v1, v28, v1, s[12:13] offset:384 glc
.LBB13_512:                             ;   in Loop: Header=BB13_503 Depth=1
	s_or_b32 exec_lo, exec_lo, s7
	s_waitcnt vmcnt(0)
	v_readfirstlane_b32 s7, v1
	s_and_not1_b32 vcc_lo, exec_lo, s9
	s_cbranch_vccnz .LBB13_514
; %bb.513:                              ;   in Loop: Header=BB13_503 Depth=1
	v_ashrrev_i32_e32 v11, 31, v10
	s_delay_alu instid0(VALU_DEP_1) | instskip(NEXT) | instid1(VALU_DEP_1)
	v_lshlrev_b64 v[29:30], 2, v[10:11]
	v_add_co_u32 v29, vcc_lo, s14, v29
	s_delay_alu instid0(VALU_DEP_2)
	v_add_co_ci_u32_e32 v30, vcc_lo, s19, v30, vcc_lo
	global_load_b32 v1, v[29:30], off
	s_branch .LBB13_515
.LBB13_514:                             ;   in Loop: Header=BB13_503 Depth=1
	v_add_nc_u32_e32 v1, 1, v10
.LBB13_515:                             ;   in Loop: Header=BB13_503 Depth=1
	s_delay_alu instid0(VALU_DEP_2) | instskip(NEXT) | instid1(VALU_DEP_1)
	v_add_nc_u32_e32 v29, s7, v0
	v_ashrrev_i32_e32 v30, 31, v29
	s_delay_alu instid0(VALU_DEP_1) | instskip(NEXT) | instid1(VALU_DEP_1)
	v_lshlrev_b64 v[29:30], 2, v[29:30]
	v_add_co_u32 v29, vcc_lo, s23, v29
	s_delay_alu instid0(VALU_DEP_2)
	v_add_co_ci_u32_e32 v30, vcc_lo, s30, v30, vcc_lo
	s_waitcnt vmcnt(0)
	global_store_b32 v[29:30], v1, off
.LBB13_516:                             ;   in Loop: Header=BB13_503 Depth=1
	s_or_b32 exec_lo, exec_lo, s6
	v_cmp_gt_i32_e32 vcc_lo, 0, v2
	s_mov_b32 s6, exec_lo
	v_cndmask_b32_e64 v0, 0x7fffffff, 0, vcc_lo
	s_delay_alu instid0(VALU_DEP_1) | instskip(NEXT) | instid1(VALU_DEP_1)
	v_xor_b32_e32 v0, v0, v2
	v_and_b32_e32 v0, s5, v0
	s_delay_alu instid0(VALU_DEP_1)
	v_cmpx_le_u32_e64 v0, v13
	s_cbranch_execz .LBB13_523
; %bb.517:                              ;   in Loop: Header=BB13_503 Depth=1
	s_mov_b32 s22, exec_lo
	s_mov_b32 s7, exec_lo
	v_mbcnt_lo_u32_b32 v0, s22, 0
                                        ; implicit-def: $vgpr1
	s_delay_alu instid0(VALU_DEP_1)
	v_cmpx_eq_u32_e32 0, v0
	s_cbranch_execz .LBB13_519
; %bb.518:                              ;   in Loop: Header=BB13_503 Depth=1
	s_bcnt1_i32_b32 s22, s22
	s_delay_alu instid0(SALU_CYCLE_1)
	v_mov_b32_e32 v1, s22
	global_atomic_add_u32 v1, v28, v1, s[12:13] offset:384 glc
.LBB13_519:                             ;   in Loop: Header=BB13_503 Depth=1
	s_or_b32 exec_lo, exec_lo, s7
	s_waitcnt vmcnt(0)
	v_readfirstlane_b32 s7, v1
	s_and_not1_b32 vcc_lo, exec_lo, s9
	s_cbranch_vccnz .LBB13_521
; %bb.520:                              ;   in Loop: Header=BB13_503 Depth=1
	v_ashrrev_i32_e32 v11, 31, v10
	s_delay_alu instid0(VALU_DEP_1) | instskip(NEXT) | instid1(VALU_DEP_1)
	v_lshlrev_b64 v[1:2], 2, v[10:11]
	v_add_co_u32 v1, vcc_lo, s33, v1
	s_delay_alu instid0(VALU_DEP_2)
	v_add_co_ci_u32_e32 v2, vcc_lo, s34, v2, vcc_lo
	global_load_b32 v1, v[1:2], off
	s_branch .LBB13_522
.LBB13_521:                             ;   in Loop: Header=BB13_503 Depth=1
	v_add_nc_u32_e32 v1, 2, v10
.LBB13_522:                             ;   in Loop: Header=BB13_503 Depth=1
	s_delay_alu instid0(VALU_DEP_2) | instskip(NEXT) | instid1(VALU_DEP_1)
	v_add_nc_u32_e32 v29, s7, v0
	v_ashrrev_i32_e32 v30, 31, v29
	s_delay_alu instid0(VALU_DEP_1) | instskip(NEXT) | instid1(VALU_DEP_1)
	v_lshlrev_b64 v[29:30], 2, v[29:30]
	v_add_co_u32 v29, vcc_lo, s23, v29
	s_delay_alu instid0(VALU_DEP_2)
	v_add_co_ci_u32_e32 v30, vcc_lo, s30, v30, vcc_lo
	s_waitcnt vmcnt(0)
	global_store_b32 v[29:30], v1, off
.LBB13_523:                             ;   in Loop: Header=BB13_503 Depth=1
	;; [unrolled: 52-line block ×3, first 2 shown]
	s_or_b32 exec_lo, exec_lo, s6
	v_lshlrev_b64 v[0:1], 4, v[25:26]
	v_add_co_u32 v2, vcc_lo, v8, s20
	v_add_co_ci_u32_e32 v3, vcc_lo, s21, v9, vcc_lo
	s_mov_b32 s6, exec_lo
	s_delay_alu instid0(VALU_DEP_3) | instskip(NEXT) | instid1(VALU_DEP_4)
	v_add_co_u32 v0, vcc_lo, s15, v0
	v_add_co_ci_u32_e32 v1, vcc_lo, s26, v1, vcc_lo
	s_waitcnt vmcnt(0)
	v_cmp_gt_i32_e32 vcc_lo, 0, v4
	s_clause 0x1
	global_load_b128 v[8:11], v[2:3], off
	global_load_b128 v[0:3], v[0:1], off
	v_cndmask_b32_e64 v24, 0x7fffffff, 0, vcc_lo
	s_delay_alu instid0(VALU_DEP_1) | instskip(SKIP_1) | instid1(VALU_DEP_2)
	v_xor_b32_e32 v24, v24, v4
	v_add_co_u32 v4, null, v23, s8
	v_and_b32_e32 v24, s5, v24
	s_delay_alu instid0(VALU_DEP_2) | instskip(NEXT) | instid1(VALU_DEP_2)
	v_lshl_add_u32 v26, v4, 2, s18
	v_cmpx_le_u32_e64 v24, v13
	s_cbranch_execz .LBB13_536
; %bb.531:                              ;   in Loop: Header=BB13_503 Depth=1
	s_mov_b32 s22, exec_lo
	s_mov_b32 s7, exec_lo
	v_mbcnt_lo_u32_b32 v24, s22, 0
                                        ; implicit-def: $vgpr27
	s_delay_alu instid0(VALU_DEP_1)
	v_cmpx_eq_u32_e32 0, v24
	s_cbranch_execz .LBB13_533
; %bb.532:                              ;   in Loop: Header=BB13_503 Depth=1
	s_bcnt1_i32_b32 s22, s22
	s_delay_alu instid0(SALU_CYCLE_1)
	v_mov_b32_e32 v27, s22
	global_atomic_add_u32 v27, v28, v27, s[12:13] offset:384 glc
.LBB13_533:                             ;   in Loop: Header=BB13_503 Depth=1
	s_or_b32 exec_lo, exec_lo, s7
	s_waitcnt vmcnt(0)
	v_readfirstlane_b32 s7, v27
	v_mov_b32_e32 v27, v26
	s_and_not1_b32 vcc_lo, exec_lo, s9
	s_cbranch_vccnz .LBB13_535
; %bb.534:                              ;   in Loop: Header=BB13_503 Depth=1
	v_ashrrev_i32_e32 v27, 31, v26
	s_delay_alu instid0(VALU_DEP_1) | instskip(NEXT) | instid1(VALU_DEP_1)
	v_lshlrev_b64 v[29:30], 2, v[26:27]
	v_add_co_u32 v29, vcc_lo, s10, v29
	s_delay_alu instid0(VALU_DEP_2)
	v_add_co_ci_u32_e32 v30, vcc_lo, s11, v30, vcc_lo
	global_load_b32 v27, v[29:30], off
.LBB13_535:                             ;   in Loop: Header=BB13_503 Depth=1
	s_delay_alu instid0(VALU_DEP_2) | instskip(NEXT) | instid1(VALU_DEP_1)
	v_add_nc_u32_e32 v29, s7, v24
	v_ashrrev_i32_e32 v30, 31, v29
	s_delay_alu instid0(VALU_DEP_1) | instskip(NEXT) | instid1(VALU_DEP_1)
	v_lshlrev_b64 v[29:30], 2, v[29:30]
	v_add_co_u32 v29, vcc_lo, s23, v29
	s_delay_alu instid0(VALU_DEP_2)
	v_add_co_ci_u32_e32 v30, vcc_lo, s30, v30, vcc_lo
	s_waitcnt vmcnt(0)
	global_store_b32 v[29:30], v27, off
.LBB13_536:                             ;   in Loop: Header=BB13_503 Depth=1
	s_or_b32 exec_lo, exec_lo, s6
	v_cmp_gt_i32_e32 vcc_lo, 0, v5
	s_mov_b32 s6, exec_lo
	v_cndmask_b32_e64 v24, 0x7fffffff, 0, vcc_lo
	s_delay_alu instid0(VALU_DEP_1) | instskip(NEXT) | instid1(VALU_DEP_1)
	v_xor_b32_e32 v5, v24, v5
	v_and_b32_e32 v5, s5, v5
	s_delay_alu instid0(VALU_DEP_1)
	v_cmpx_le_u32_e64 v5, v13
	s_cbranch_execz .LBB13_543
; %bb.537:                              ;   in Loop: Header=BB13_503 Depth=1
	s_mov_b32 s22, exec_lo
	s_mov_b32 s7, exec_lo
	v_mbcnt_lo_u32_b32 v5, s22, 0
                                        ; implicit-def: $vgpr24
	s_delay_alu instid0(VALU_DEP_1)
	v_cmpx_eq_u32_e32 0, v5
	s_cbranch_execz .LBB13_539
; %bb.538:                              ;   in Loop: Header=BB13_503 Depth=1
	s_bcnt1_i32_b32 s22, s22
	s_delay_alu instid0(SALU_CYCLE_1)
	v_mov_b32_e32 v24, s22
	global_atomic_add_u32 v24, v28, v24, s[12:13] offset:384 glc
.LBB13_539:                             ;   in Loop: Header=BB13_503 Depth=1
	s_or_b32 exec_lo, exec_lo, s7
	s_waitcnt vmcnt(0)
	v_readfirstlane_b32 s7, v24
	s_and_not1_b32 vcc_lo, exec_lo, s9
	s_cbranch_vccnz .LBB13_541
; %bb.540:                              ;   in Loop: Header=BB13_503 Depth=1
	v_ashrrev_i32_e32 v27, 31, v26
	s_delay_alu instid0(VALU_DEP_1) | instskip(NEXT) | instid1(VALU_DEP_1)
	v_lshlrev_b64 v[29:30], 2, v[26:27]
	v_add_co_u32 v29, vcc_lo, s14, v29
	s_delay_alu instid0(VALU_DEP_2)
	v_add_co_ci_u32_e32 v30, vcc_lo, s19, v30, vcc_lo
	global_load_b32 v24, v[29:30], off
	s_branch .LBB13_542
.LBB13_541:                             ;   in Loop: Header=BB13_503 Depth=1
	v_add_nc_u32_e32 v24, 1, v26
.LBB13_542:                             ;   in Loop: Header=BB13_503 Depth=1
	s_delay_alu instid0(VALU_DEP_2) | instskip(NEXT) | instid1(VALU_DEP_1)
	v_add_nc_u32_e32 v29, s7, v5
	v_ashrrev_i32_e32 v30, 31, v29
	s_delay_alu instid0(VALU_DEP_1) | instskip(NEXT) | instid1(VALU_DEP_1)
	v_lshlrev_b64 v[29:30], 2, v[29:30]
	v_add_co_u32 v29, vcc_lo, s23, v29
	s_delay_alu instid0(VALU_DEP_2)
	v_add_co_ci_u32_e32 v30, vcc_lo, s30, v30, vcc_lo
	s_waitcnt vmcnt(0)
	global_store_b32 v[29:30], v24, off
.LBB13_543:                             ;   in Loop: Header=BB13_503 Depth=1
	s_or_b32 exec_lo, exec_lo, s6
	v_cmp_gt_i32_e32 vcc_lo, 0, v6
	s_mov_b32 s6, exec_lo
	v_cndmask_b32_e64 v5, 0x7fffffff, 0, vcc_lo
	s_delay_alu instid0(VALU_DEP_1) | instskip(NEXT) | instid1(VALU_DEP_1)
	v_xor_b32_e32 v5, v5, v6
	v_and_b32_e32 v5, s5, v5
	s_delay_alu instid0(VALU_DEP_1)
	v_cmpx_le_u32_e64 v5, v13
	s_cbranch_execz .LBB13_550
; %bb.544:                              ;   in Loop: Header=BB13_503 Depth=1
	s_mov_b32 s22, exec_lo
	s_mov_b32 s7, exec_lo
	v_mbcnt_lo_u32_b32 v5, s22, 0
                                        ; implicit-def: $vgpr6
	s_delay_alu instid0(VALU_DEP_1)
	v_cmpx_eq_u32_e32 0, v5
	s_cbranch_execz .LBB13_546
; %bb.545:                              ;   in Loop: Header=BB13_503 Depth=1
	s_bcnt1_i32_b32 s22, s22
	s_delay_alu instid0(SALU_CYCLE_1)
	v_mov_b32_e32 v6, s22
	global_atomic_add_u32 v6, v28, v6, s[12:13] offset:384 glc
.LBB13_546:                             ;   in Loop: Header=BB13_503 Depth=1
	s_or_b32 exec_lo, exec_lo, s7
	s_waitcnt vmcnt(0)
	v_readfirstlane_b32 s7, v6
	s_and_not1_b32 vcc_lo, exec_lo, s9
	s_cbranch_vccnz .LBB13_548
; %bb.547:                              ;   in Loop: Header=BB13_503 Depth=1
	v_ashrrev_i32_e32 v27, 31, v26
	s_delay_alu instid0(VALU_DEP_1) | instskip(NEXT) | instid1(VALU_DEP_1)
	v_lshlrev_b64 v[29:30], 2, v[26:27]
	v_add_co_u32 v29, vcc_lo, s33, v29
	s_delay_alu instid0(VALU_DEP_2)
	v_add_co_ci_u32_e32 v30, vcc_lo, s34, v30, vcc_lo
	global_load_b32 v6, v[29:30], off
	s_branch .LBB13_549
.LBB13_548:                             ;   in Loop: Header=BB13_503 Depth=1
	v_add_nc_u32_e32 v6, 2, v26
.LBB13_549:                             ;   in Loop: Header=BB13_503 Depth=1
	s_delay_alu instid0(VALU_DEP_2) | instskip(NEXT) | instid1(VALU_DEP_1)
	v_add_nc_u32_e32 v29, s7, v5
	v_ashrrev_i32_e32 v30, 31, v29
	s_delay_alu instid0(VALU_DEP_1) | instskip(NEXT) | instid1(VALU_DEP_1)
	v_lshlrev_b64 v[29:30], 2, v[29:30]
	v_add_co_u32 v29, vcc_lo, s23, v29
	s_delay_alu instid0(VALU_DEP_2)
	v_add_co_ci_u32_e32 v30, vcc_lo, s30, v30, vcc_lo
	s_waitcnt vmcnt(0)
	global_store_b32 v[29:30], v6, off
.LBB13_550:                             ;   in Loop: Header=BB13_503 Depth=1
	s_or_b32 exec_lo, exec_lo, s6
	v_cmp_gt_i32_e32 vcc_lo, 0, v7
	s_mov_b32 s6, exec_lo
	v_cndmask_b32_e64 v5, 0x7fffffff, 0, vcc_lo
	s_delay_alu instid0(VALU_DEP_1) | instskip(NEXT) | instid1(VALU_DEP_1)
	v_xor_b32_e32 v5, v5, v7
	v_and_b32_e32 v5, s5, v5
	s_delay_alu instid0(VALU_DEP_1)
	v_cmpx_le_u32_e64 v5, v13
	s_cbranch_execz .LBB13_557
; %bb.551:                              ;   in Loop: Header=BB13_503 Depth=1
	s_mov_b32 s22, exec_lo
	s_mov_b32 s7, exec_lo
	v_mbcnt_lo_u32_b32 v5, s22, 0
                                        ; implicit-def: $vgpr6
	s_delay_alu instid0(VALU_DEP_1)
	v_cmpx_eq_u32_e32 0, v5
	s_cbranch_execz .LBB13_553
; %bb.552:                              ;   in Loop: Header=BB13_503 Depth=1
	s_bcnt1_i32_b32 s22, s22
	s_delay_alu instid0(SALU_CYCLE_1)
	v_mov_b32_e32 v6, s22
	global_atomic_add_u32 v6, v28, v6, s[12:13] offset:384 glc
.LBB13_553:                             ;   in Loop: Header=BB13_503 Depth=1
	s_or_b32 exec_lo, exec_lo, s7
	s_waitcnt vmcnt(0)
	v_readfirstlane_b32 s7, v6
	s_and_not1_b32 vcc_lo, exec_lo, s9
	s_cbranch_vccnz .LBB13_555
; %bb.554:                              ;   in Loop: Header=BB13_503 Depth=1
	v_ashrrev_i32_e32 v27, 31, v26
	s_delay_alu instid0(VALU_DEP_1) | instskip(NEXT) | instid1(VALU_DEP_1)
	v_lshlrev_b64 v[6:7], 2, v[26:27]
	v_add_co_u32 v6, vcc_lo, s35, v6
	s_delay_alu instid0(VALU_DEP_2)
	v_add_co_ci_u32_e32 v7, vcc_lo, s36, v7, vcc_lo
	global_load_b32 v6, v[6:7], off
	s_branch .LBB13_556
.LBB13_555:                             ;   in Loop: Header=BB13_503 Depth=1
	v_add_nc_u32_e32 v6, 3, v26
.LBB13_556:                             ;   in Loop: Header=BB13_503 Depth=1
	s_delay_alu instid0(VALU_DEP_2) | instskip(NEXT) | instid1(VALU_DEP_1)
	v_add_nc_u32_e32 v26, s7, v5
	v_ashrrev_i32_e32 v27, 31, v26
	s_delay_alu instid0(VALU_DEP_1) | instskip(NEXT) | instid1(VALU_DEP_1)
	v_lshlrev_b64 v[26:27], 2, v[26:27]
	v_add_co_u32 v26, vcc_lo, s23, v26
	s_delay_alu instid0(VALU_DEP_2)
	v_add_co_ci_u32_e32 v27, vcc_lo, s30, v27, vcc_lo
	s_waitcnt vmcnt(0)
	global_store_b32 v[26:27], v6, off
.LBB13_557:                             ;   in Loop: Header=BB13_503 Depth=1
	s_or_b32 exec_lo, exec_lo, s6
	s_waitcnt vmcnt(1)
	v_cmp_gt_i32_e32 vcc_lo, 0, v8
	v_add_nc_u32_e32 v4, s8, v4
	s_mov_b32 s6, exec_lo
	v_cndmask_b32_e64 v5, 0x7fffffff, 0, vcc_lo
	s_delay_alu instid0(VALU_DEP_2) | instskip(NEXT) | instid1(VALU_DEP_2)
	v_lshl_add_u32 v4, v4, 2, s18
	v_xor_b32_e32 v5, v5, v8
	s_delay_alu instid0(VALU_DEP_1) | instskip(NEXT) | instid1(VALU_DEP_1)
	v_and_b32_e32 v5, s5, v5
	v_cmpx_le_u32_e64 v5, v13
	s_cbranch_execz .LBB13_563
; %bb.558:                              ;   in Loop: Header=BB13_503 Depth=1
	s_mov_b32 s22, exec_lo
	s_mov_b32 s7, exec_lo
	v_mbcnt_lo_u32_b32 v6, s22, 0
                                        ; implicit-def: $vgpr5
	s_delay_alu instid0(VALU_DEP_1)
	v_cmpx_eq_u32_e32 0, v6
	s_cbranch_execz .LBB13_560
; %bb.559:                              ;   in Loop: Header=BB13_503 Depth=1
	s_bcnt1_i32_b32 s22, s22
	s_delay_alu instid0(SALU_CYCLE_1)
	v_mov_b32_e32 v5, s22
	global_atomic_add_u32 v5, v28, v5, s[12:13] offset:384 glc
.LBB13_560:                             ;   in Loop: Header=BB13_503 Depth=1
	s_or_b32 exec_lo, exec_lo, s7
	s_waitcnt vmcnt(0)
	v_readfirstlane_b32 s7, v5
	v_mov_b32_e32 v5, v4
	s_and_not1_b32 vcc_lo, exec_lo, s9
	s_cbranch_vccnz .LBB13_562
; %bb.561:                              ;   in Loop: Header=BB13_503 Depth=1
	v_ashrrev_i32_e32 v5, 31, v4
	s_delay_alu instid0(VALU_DEP_1) | instskip(NEXT) | instid1(VALU_DEP_1)
	v_lshlrev_b64 v[7:8], 2, v[4:5]
	v_add_co_u32 v7, vcc_lo, s10, v7
	s_delay_alu instid0(VALU_DEP_2)
	v_add_co_ci_u32_e32 v8, vcc_lo, s11, v8, vcc_lo
	global_load_b32 v5, v[7:8], off
.LBB13_562:                             ;   in Loop: Header=BB13_503 Depth=1
	s_delay_alu instid0(VALU_DEP_2) | instskip(NEXT) | instid1(VALU_DEP_1)
	v_add_nc_u32_e32 v6, s7, v6
	v_ashrrev_i32_e32 v7, 31, v6
	s_delay_alu instid0(VALU_DEP_1) | instskip(NEXT) | instid1(VALU_DEP_1)
	v_lshlrev_b64 v[6:7], 2, v[6:7]
	v_add_co_u32 v6, vcc_lo, s23, v6
	s_delay_alu instid0(VALU_DEP_2)
	v_add_co_ci_u32_e32 v7, vcc_lo, s30, v7, vcc_lo
	s_waitcnt vmcnt(0)
	global_store_b32 v[6:7], v5, off
.LBB13_563:                             ;   in Loop: Header=BB13_503 Depth=1
	s_or_b32 exec_lo, exec_lo, s6
	v_cmp_gt_i32_e32 vcc_lo, 0, v9
	s_mov_b32 s6, exec_lo
	v_cndmask_b32_e64 v5, 0x7fffffff, 0, vcc_lo
	s_delay_alu instid0(VALU_DEP_1) | instskip(NEXT) | instid1(VALU_DEP_1)
	v_xor_b32_e32 v5, v5, v9
	v_and_b32_e32 v5, s5, v5
	s_delay_alu instid0(VALU_DEP_1)
	v_cmpx_le_u32_e64 v5, v13
	s_cbranch_execz .LBB13_570
; %bb.564:                              ;   in Loop: Header=BB13_503 Depth=1
	s_mov_b32 s22, exec_lo
	s_mov_b32 s7, exec_lo
	v_mbcnt_lo_u32_b32 v6, s22, 0
                                        ; implicit-def: $vgpr5
	s_delay_alu instid0(VALU_DEP_1)
	v_cmpx_eq_u32_e32 0, v6
	s_cbranch_execz .LBB13_566
; %bb.565:                              ;   in Loop: Header=BB13_503 Depth=1
	s_bcnt1_i32_b32 s22, s22
	s_delay_alu instid0(SALU_CYCLE_1)
	v_mov_b32_e32 v5, s22
	global_atomic_add_u32 v5, v28, v5, s[12:13] offset:384 glc
.LBB13_566:                             ;   in Loop: Header=BB13_503 Depth=1
	s_or_b32 exec_lo, exec_lo, s7
	s_waitcnt vmcnt(0)
	v_readfirstlane_b32 s7, v5
	s_and_not1_b32 vcc_lo, exec_lo, s9
	s_cbranch_vccnz .LBB13_568
; %bb.567:                              ;   in Loop: Header=BB13_503 Depth=1
	v_ashrrev_i32_e32 v5, 31, v4
	s_delay_alu instid0(VALU_DEP_1) | instskip(NEXT) | instid1(VALU_DEP_1)
	v_lshlrev_b64 v[7:8], 2, v[4:5]
	v_add_co_u32 v7, vcc_lo, s14, v7
	s_delay_alu instid0(VALU_DEP_2)
	v_add_co_ci_u32_e32 v8, vcc_lo, s19, v8, vcc_lo
	global_load_b32 v5, v[7:8], off
	s_branch .LBB13_569
.LBB13_568:                             ;   in Loop: Header=BB13_503 Depth=1
	v_add_nc_u32_e32 v5, 1, v4
.LBB13_569:                             ;   in Loop: Header=BB13_503 Depth=1
	s_delay_alu instid0(VALU_DEP_2) | instskip(NEXT) | instid1(VALU_DEP_1)
	v_add_nc_u32_e32 v6, s7, v6
	v_ashrrev_i32_e32 v7, 31, v6
	s_delay_alu instid0(VALU_DEP_1) | instskip(NEXT) | instid1(VALU_DEP_1)
	v_lshlrev_b64 v[6:7], 2, v[6:7]
	v_add_co_u32 v6, vcc_lo, s23, v6
	s_delay_alu instid0(VALU_DEP_2)
	v_add_co_ci_u32_e32 v7, vcc_lo, s30, v7, vcc_lo
	s_waitcnt vmcnt(0)
	global_store_b32 v[6:7], v5, off
.LBB13_570:                             ;   in Loop: Header=BB13_503 Depth=1
	s_or_b32 exec_lo, exec_lo, s6
	v_cmp_gt_i32_e32 vcc_lo, 0, v10
	s_mov_b32 s6, exec_lo
	v_cndmask_b32_e64 v5, 0x7fffffff, 0, vcc_lo
	s_delay_alu instid0(VALU_DEP_1) | instskip(NEXT) | instid1(VALU_DEP_1)
	v_xor_b32_e32 v5, v5, v10
	v_and_b32_e32 v5, s5, v5
	s_delay_alu instid0(VALU_DEP_1)
	v_cmpx_le_u32_e64 v5, v13
	s_cbranch_execz .LBB13_577
; %bb.571:                              ;   in Loop: Header=BB13_503 Depth=1
	s_mov_b32 s22, exec_lo
	s_mov_b32 s7, exec_lo
	v_mbcnt_lo_u32_b32 v6, s22, 0
                                        ; implicit-def: $vgpr5
	s_delay_alu instid0(VALU_DEP_1)
	v_cmpx_eq_u32_e32 0, v6
	s_cbranch_execz .LBB13_573
; %bb.572:                              ;   in Loop: Header=BB13_503 Depth=1
	s_bcnt1_i32_b32 s22, s22
	s_delay_alu instid0(SALU_CYCLE_1)
	v_mov_b32_e32 v5, s22
	global_atomic_add_u32 v5, v28, v5, s[12:13] offset:384 glc
.LBB13_573:                             ;   in Loop: Header=BB13_503 Depth=1
	s_or_b32 exec_lo, exec_lo, s7
	s_waitcnt vmcnt(0)
	v_readfirstlane_b32 s7, v5
	s_and_not1_b32 vcc_lo, exec_lo, s9
	s_cbranch_vccnz .LBB13_575
; %bb.574:                              ;   in Loop: Header=BB13_503 Depth=1
	v_ashrrev_i32_e32 v5, 31, v4
	s_delay_alu instid0(VALU_DEP_1) | instskip(NEXT) | instid1(VALU_DEP_1)
	v_lshlrev_b64 v[7:8], 2, v[4:5]
	v_add_co_u32 v7, vcc_lo, s33, v7
	s_delay_alu instid0(VALU_DEP_2)
	v_add_co_ci_u32_e32 v8, vcc_lo, s34, v8, vcc_lo
	global_load_b32 v5, v[7:8], off
	s_branch .LBB13_576
.LBB13_575:                             ;   in Loop: Header=BB13_503 Depth=1
	v_add_nc_u32_e32 v5, 2, v4
.LBB13_576:                             ;   in Loop: Header=BB13_503 Depth=1
	s_delay_alu instid0(VALU_DEP_2) | instskip(NEXT) | instid1(VALU_DEP_1)
	v_add_nc_u32_e32 v6, s7, v6
	v_ashrrev_i32_e32 v7, 31, v6
	s_delay_alu instid0(VALU_DEP_1) | instskip(NEXT) | instid1(VALU_DEP_1)
	v_lshlrev_b64 v[6:7], 2, v[6:7]
	v_add_co_u32 v6, vcc_lo, s23, v6
	s_delay_alu instid0(VALU_DEP_2)
	v_add_co_ci_u32_e32 v7, vcc_lo, s30, v7, vcc_lo
	s_waitcnt vmcnt(0)
	global_store_b32 v[6:7], v5, off
.LBB13_577:                             ;   in Loop: Header=BB13_503 Depth=1
	;; [unrolled: 52-line block ×3, first 2 shown]
	s_or_b32 exec_lo, exec_lo, s6
	s_waitcnt vmcnt(0)
	v_cmp_gt_i32_e32 vcc_lo, 0, v0
	s_mov_b32 s6, exec_lo
	v_cndmask_b32_e64 v4, 0x7fffffff, 0, vcc_lo
	s_delay_alu instid0(VALU_DEP_1) | instskip(SKIP_1) | instid1(VALU_DEP_2)
	v_xor_b32_e32 v0, v4, v0
	v_lshl_add_u32 v4, v25, 2, s18
	v_and_b32_e32 v0, s5, v0
	s_delay_alu instid0(VALU_DEP_1)
	v_cmpx_le_u32_e64 v0, v13
	s_cbranch_execz .LBB13_590
; %bb.585:                              ;   in Loop: Header=BB13_503 Depth=1
	s_mov_b32 s22, exec_lo
	s_mov_b32 s7, exec_lo
	v_mbcnt_lo_u32_b32 v0, s22, 0
                                        ; implicit-def: $vgpr5
	s_delay_alu instid0(VALU_DEP_1)
	v_cmpx_eq_u32_e32 0, v0
	s_cbranch_execz .LBB13_587
; %bb.586:                              ;   in Loop: Header=BB13_503 Depth=1
	s_bcnt1_i32_b32 s22, s22
	s_delay_alu instid0(SALU_CYCLE_1)
	v_mov_b32_e32 v5, s22
	global_atomic_add_u32 v5, v28, v5, s[12:13] offset:384 glc
.LBB13_587:                             ;   in Loop: Header=BB13_503 Depth=1
	s_or_b32 exec_lo, exec_lo, s7
	s_waitcnt vmcnt(0)
	v_readfirstlane_b32 s7, v5
	v_mov_b32_e32 v5, v4
	s_and_not1_b32 vcc_lo, exec_lo, s9
	s_cbranch_vccnz .LBB13_589
; %bb.588:                              ;   in Loop: Header=BB13_503 Depth=1
	v_ashrrev_i32_e32 v5, 31, v4
	s_delay_alu instid0(VALU_DEP_1) | instskip(NEXT) | instid1(VALU_DEP_1)
	v_lshlrev_b64 v[5:6], 2, v[4:5]
	v_add_co_u32 v5, vcc_lo, s10, v5
	s_delay_alu instid0(VALU_DEP_2)
	v_add_co_ci_u32_e32 v6, vcc_lo, s11, v6, vcc_lo
	global_load_b32 v5, v[5:6], off
.LBB13_589:                             ;   in Loop: Header=BB13_503 Depth=1
	s_delay_alu instid0(VALU_DEP_2) | instskip(NEXT) | instid1(VALU_DEP_1)
	v_add_nc_u32_e32 v6, s7, v0
	v_ashrrev_i32_e32 v7, 31, v6
	s_delay_alu instid0(VALU_DEP_1) | instskip(NEXT) | instid1(VALU_DEP_1)
	v_lshlrev_b64 v[6:7], 2, v[6:7]
	v_add_co_u32 v6, vcc_lo, s23, v6
	s_delay_alu instid0(VALU_DEP_2)
	v_add_co_ci_u32_e32 v7, vcc_lo, s30, v7, vcc_lo
	s_waitcnt vmcnt(0)
	global_store_b32 v[6:7], v5, off
.LBB13_590:                             ;   in Loop: Header=BB13_503 Depth=1
	s_or_b32 exec_lo, exec_lo, s6
	v_cmp_gt_i32_e32 vcc_lo, 0, v1
	s_mov_b32 s6, exec_lo
	v_cndmask_b32_e64 v0, 0x7fffffff, 0, vcc_lo
	s_delay_alu instid0(VALU_DEP_1) | instskip(NEXT) | instid1(VALU_DEP_1)
	v_xor_b32_e32 v0, v0, v1
	v_and_b32_e32 v0, s5, v0
	s_delay_alu instid0(VALU_DEP_1)
	v_cmpx_le_u32_e64 v0, v13
	s_cbranch_execz .LBB13_597
; %bb.591:                              ;   in Loop: Header=BB13_503 Depth=1
	s_mov_b32 s22, exec_lo
	s_mov_b32 s7, exec_lo
	v_mbcnt_lo_u32_b32 v0, s22, 0
                                        ; implicit-def: $vgpr1
	s_delay_alu instid0(VALU_DEP_1)
	v_cmpx_eq_u32_e32 0, v0
	s_cbranch_execz .LBB13_593
; %bb.592:                              ;   in Loop: Header=BB13_503 Depth=1
	s_bcnt1_i32_b32 s22, s22
	s_delay_alu instid0(SALU_CYCLE_1)
	v_mov_b32_e32 v1, s22
	global_atomic_add_u32 v1, v28, v1, s[12:13] offset:384 glc
.LBB13_593:                             ;   in Loop: Header=BB13_503 Depth=1
	s_or_b32 exec_lo, exec_lo, s7
	s_waitcnt vmcnt(0)
	v_readfirstlane_b32 s7, v1
	s_and_not1_b32 vcc_lo, exec_lo, s9
	s_cbranch_vccnz .LBB13_595
; %bb.594:                              ;   in Loop: Header=BB13_503 Depth=1
	v_ashrrev_i32_e32 v5, 31, v4
	s_delay_alu instid0(VALU_DEP_1) | instskip(NEXT) | instid1(VALU_DEP_1)
	v_lshlrev_b64 v[5:6], 2, v[4:5]
	v_add_co_u32 v5, vcc_lo, s14, v5
	s_delay_alu instid0(VALU_DEP_2)
	v_add_co_ci_u32_e32 v6, vcc_lo, s19, v6, vcc_lo
	global_load_b32 v1, v[5:6], off
	s_branch .LBB13_596
.LBB13_595:                             ;   in Loop: Header=BB13_503 Depth=1
	v_add_nc_u32_e32 v1, 1, v4
.LBB13_596:                             ;   in Loop: Header=BB13_503 Depth=1
	s_delay_alu instid0(VALU_DEP_2) | instskip(NEXT) | instid1(VALU_DEP_1)
	v_add_nc_u32_e32 v5, s7, v0
	v_ashrrev_i32_e32 v6, 31, v5
	s_delay_alu instid0(VALU_DEP_1) | instskip(NEXT) | instid1(VALU_DEP_1)
	v_lshlrev_b64 v[5:6], 2, v[5:6]
	v_add_co_u32 v5, vcc_lo, s23, v5
	s_delay_alu instid0(VALU_DEP_2)
	v_add_co_ci_u32_e32 v6, vcc_lo, s30, v6, vcc_lo
	s_waitcnt vmcnt(0)
	global_store_b32 v[5:6], v1, off
.LBB13_597:                             ;   in Loop: Header=BB13_503 Depth=1
	s_or_b32 exec_lo, exec_lo, s6
	v_cmp_gt_i32_e32 vcc_lo, 0, v2
	s_mov_b32 s6, exec_lo
	v_cndmask_b32_e64 v0, 0x7fffffff, 0, vcc_lo
	s_delay_alu instid0(VALU_DEP_1) | instskip(NEXT) | instid1(VALU_DEP_1)
	v_xor_b32_e32 v0, v0, v2
	v_and_b32_e32 v0, s5, v0
	s_delay_alu instid0(VALU_DEP_1)
	v_cmpx_le_u32_e64 v0, v13
	s_cbranch_execz .LBB13_604
; %bb.598:                              ;   in Loop: Header=BB13_503 Depth=1
	s_mov_b32 s22, exec_lo
	s_mov_b32 s7, exec_lo
	v_mbcnt_lo_u32_b32 v0, s22, 0
                                        ; implicit-def: $vgpr1
	s_delay_alu instid0(VALU_DEP_1)
	v_cmpx_eq_u32_e32 0, v0
	s_cbranch_execz .LBB13_600
; %bb.599:                              ;   in Loop: Header=BB13_503 Depth=1
	s_bcnt1_i32_b32 s22, s22
	s_delay_alu instid0(SALU_CYCLE_1)
	v_mov_b32_e32 v1, s22
	global_atomic_add_u32 v1, v28, v1, s[12:13] offset:384 glc
.LBB13_600:                             ;   in Loop: Header=BB13_503 Depth=1
	s_or_b32 exec_lo, exec_lo, s7
	s_waitcnt vmcnt(0)
	v_readfirstlane_b32 s7, v1
	s_and_not1_b32 vcc_lo, exec_lo, s9
	s_cbranch_vccnz .LBB13_602
; %bb.601:                              ;   in Loop: Header=BB13_503 Depth=1
	v_ashrrev_i32_e32 v5, 31, v4
	s_delay_alu instid0(VALU_DEP_1) | instskip(NEXT) | instid1(VALU_DEP_1)
	v_lshlrev_b64 v[1:2], 2, v[4:5]
	v_add_co_u32 v1, vcc_lo, s33, v1
	s_delay_alu instid0(VALU_DEP_2)
	v_add_co_ci_u32_e32 v2, vcc_lo, s34, v2, vcc_lo
	global_load_b32 v1, v[1:2], off
	s_branch .LBB13_603
.LBB13_602:                             ;   in Loop: Header=BB13_503 Depth=1
	v_add_nc_u32_e32 v1, 2, v4
.LBB13_603:                             ;   in Loop: Header=BB13_503 Depth=1
	s_delay_alu instid0(VALU_DEP_2) | instskip(NEXT) | instid1(VALU_DEP_1)
	v_add_nc_u32_e32 v5, s7, v0
	v_ashrrev_i32_e32 v6, 31, v5
	s_delay_alu instid0(VALU_DEP_1) | instskip(NEXT) | instid1(VALU_DEP_1)
	v_lshlrev_b64 v[5:6], 2, v[5:6]
	v_add_co_u32 v5, vcc_lo, s23, v5
	s_delay_alu instid0(VALU_DEP_2)
	v_add_co_ci_u32_e32 v6, vcc_lo, s30, v6, vcc_lo
	s_waitcnt vmcnt(0)
	global_store_b32 v[5:6], v1, off
.LBB13_604:                             ;   in Loop: Header=BB13_503 Depth=1
	s_or_b32 exec_lo, exec_lo, s6
	v_cmp_gt_i32_e32 vcc_lo, 0, v3
	s_mov_b32 s6, exec_lo
	v_cndmask_b32_e64 v0, 0x7fffffff, 0, vcc_lo
	s_delay_alu instid0(VALU_DEP_1) | instskip(NEXT) | instid1(VALU_DEP_1)
	v_xor_b32_e32 v0, v0, v3
	v_and_b32_e32 v0, s5, v0
	s_delay_alu instid0(VALU_DEP_1)
	v_cmpx_le_u32_e64 v0, v13
	s_cbranch_execz .LBB13_502
; %bb.605:                              ;   in Loop: Header=BB13_503 Depth=1
	s_mov_b32 s22, exec_lo
	s_mov_b32 s7, exec_lo
	v_mbcnt_lo_u32_b32 v0, s22, 0
                                        ; implicit-def: $vgpr1
	s_delay_alu instid0(VALU_DEP_1)
	v_cmpx_eq_u32_e32 0, v0
	s_cbranch_execz .LBB13_607
; %bb.606:                              ;   in Loop: Header=BB13_503 Depth=1
	s_bcnt1_i32_b32 s22, s22
	s_delay_alu instid0(SALU_CYCLE_1)
	v_mov_b32_e32 v1, s22
	global_atomic_add_u32 v1, v28, v1, s[12:13] offset:384 glc
.LBB13_607:                             ;   in Loop: Header=BB13_503 Depth=1
	s_or_b32 exec_lo, exec_lo, s7
	s_waitcnt vmcnt(0)
	v_readfirstlane_b32 s7, v1
	s_and_not1_b32 vcc_lo, exec_lo, s9
	s_cbranch_vccz .LBB13_500
; %bb.608:                              ;   in Loop: Header=BB13_503 Depth=1
	v_add_nc_u32_e32 v1, 3, v4
	s_branch .LBB13_501
.LBB13_609:
                                        ; implicit-def: $sgpr4_sgpr5
	s_branch .LBB13_2
.LBB13_610:
	s_or_b32 exec_lo, exec_lo, s4
	v_mov_b32_e32 v4, v23
.LBB13_611:
	s_or_b32 exec_lo, exec_lo, s3
	s_delay_alu instid0(SALU_CYCLE_1) | instskip(NEXT) | instid1(VALU_DEP_1)
	s_mov_b32 s3, exec_lo
	v_cmpx_gt_i32_e64 s16, v4
	s_cbranch_execz .LBB13_641
; %bb.612:
	v_lshl_add_u32 v6, v4, 2, s18
	v_mov_b32_e32 v8, 0
	s_lshl_b32 s4, -1, s2
	s_mov_b32 s5, 0
	s_branch .LBB13_616
.LBB13_613:                             ;   in Loop: Header=BB13_616 Depth=1
	v_ashrrev_i32_e32 v7, 31, v6
	s_delay_alu instid0(VALU_DEP_1) | instskip(NEXT) | instid1(VALU_DEP_1)
	v_lshlrev_b64 v[1:2], 2, v[6:7]
	v_add_co_u32 v1, vcc_lo, s35, v1
	s_delay_alu instid0(VALU_DEP_2)
	v_add_co_ci_u32_e32 v2, vcc_lo, s36, v2, vcc_lo
	global_load_b32 v1, v[1:2], off
.LBB13_614:                             ;   in Loop: Header=BB13_616 Depth=1
	v_add_nc_u32_e32 v2, s7, v0
	s_delay_alu instid0(VALU_DEP_1) | instskip(NEXT) | instid1(VALU_DEP_1)
	v_ashrrev_i32_e32 v3, 31, v2
	v_lshlrev_b64 v[2:3], 2, v[2:3]
	s_delay_alu instid0(VALU_DEP_1) | instskip(NEXT) | instid1(VALU_DEP_2)
	v_add_co_u32 v2, vcc_lo, s23, v2
	v_add_co_ci_u32_e32 v3, vcc_lo, s30, v3, vcc_lo
	s_waitcnt vmcnt(0)
	global_store_b32 v[2:3], v1, off
.LBB13_615:                             ;   in Loop: Header=BB13_616 Depth=1
	s_or_b32 exec_lo, exec_lo, s6
	v_add_nc_u32_e32 v4, s8, v4
	v_add_nc_u32_e32 v6, s31, v6
	s_delay_alu instid0(VALU_DEP_2) | instskip(SKIP_1) | instid1(SALU_CYCLE_1)
	v_cmp_le_i32_e32 vcc_lo, s16, v4
	s_or_b32 s5, vcc_lo, s5
	s_and_not1_b32 exec_lo, exec_lo, s5
	s_cbranch_execz .LBB13_641
.LBB13_616:                             ; =>This Inner Loop Header: Depth=1
	v_ashrrev_i32_e32 v5, 31, v4
	s_mov_b32 s6, exec_lo
	s_delay_alu instid0(VALU_DEP_1) | instskip(NEXT) | instid1(VALU_DEP_1)
	v_lshlrev_b64 v[0:1], 4, v[4:5]
	v_add_co_u32 v0, vcc_lo, s15, v0
	s_delay_alu instid0(VALU_DEP_2) | instskip(SKIP_4) | instid1(VALU_DEP_1)
	v_add_co_ci_u32_e32 v1, vcc_lo, s26, v1, vcc_lo
	global_load_b128 v[0:3], v[0:1], off
	s_waitcnt vmcnt(0)
	v_cmp_gt_i32_e32 vcc_lo, 0, v0
	v_cndmask_b32_e64 v5, 0x7fffffff, 0, vcc_lo
	v_xor_b32_e32 v0, v5, v0
	s_delay_alu instid0(VALU_DEP_1) | instskip(SKIP_1) | instid1(VALU_DEP_1)
	v_and_b32_e32 v0, s4, v0
	s_waitcnt lgkmcnt(0)
	v_cmpx_le_u32_e64 v0, v13
	s_cbranch_execz .LBB13_622
; %bb.617:                              ;   in Loop: Header=BB13_616 Depth=1
	s_mov_b32 s17, exec_lo
	s_mov_b32 s7, exec_lo
	v_mbcnt_lo_u32_b32 v0, s17, 0
                                        ; implicit-def: $vgpr5
	s_delay_alu instid0(VALU_DEP_1)
	v_cmpx_eq_u32_e32 0, v0
	s_cbranch_execz .LBB13_619
; %bb.618:                              ;   in Loop: Header=BB13_616 Depth=1
	s_bcnt1_i32_b32 s17, s17
	s_delay_alu instid0(SALU_CYCLE_1)
	v_mov_b32_e32 v5, s17
	global_atomic_add_u32 v5, v8, v5, s[12:13] offset:384 glc
.LBB13_619:                             ;   in Loop: Header=BB13_616 Depth=1
	s_or_b32 exec_lo, exec_lo, s7
	s_waitcnt vmcnt(0)
	v_readfirstlane_b32 s7, v5
	v_mov_b32_e32 v5, v6
	s_and_not1_b32 vcc_lo, exec_lo, s9
	s_cbranch_vccnz .LBB13_621
; %bb.620:                              ;   in Loop: Header=BB13_616 Depth=1
	v_ashrrev_i32_e32 v7, 31, v6
	s_delay_alu instid0(VALU_DEP_1) | instskip(NEXT) | instid1(VALU_DEP_1)
	v_lshlrev_b64 v[9:10], 2, v[6:7]
	v_add_co_u32 v9, vcc_lo, s10, v9
	s_delay_alu instid0(VALU_DEP_2)
	v_add_co_ci_u32_e32 v10, vcc_lo, s11, v10, vcc_lo
	global_load_b32 v5, v[9:10], off
.LBB13_621:                             ;   in Loop: Header=BB13_616 Depth=1
	s_delay_alu instid0(VALU_DEP_2) | instskip(NEXT) | instid1(VALU_DEP_1)
	v_add_nc_u32_e32 v9, s7, v0
	v_ashrrev_i32_e32 v10, 31, v9
	s_delay_alu instid0(VALU_DEP_1) | instskip(NEXT) | instid1(VALU_DEP_1)
	v_lshlrev_b64 v[9:10], 2, v[9:10]
	v_add_co_u32 v9, vcc_lo, s23, v9
	s_delay_alu instid0(VALU_DEP_2)
	v_add_co_ci_u32_e32 v10, vcc_lo, s30, v10, vcc_lo
	s_waitcnt vmcnt(0)
	global_store_b32 v[9:10], v5, off
.LBB13_622:                             ;   in Loop: Header=BB13_616 Depth=1
	s_or_b32 exec_lo, exec_lo, s6
	v_cmp_gt_i32_e32 vcc_lo, 0, v1
	s_mov_b32 s6, exec_lo
	v_cndmask_b32_e64 v0, 0x7fffffff, 0, vcc_lo
	s_delay_alu instid0(VALU_DEP_1) | instskip(NEXT) | instid1(VALU_DEP_1)
	v_xor_b32_e32 v0, v0, v1
	v_and_b32_e32 v0, s4, v0
	s_delay_alu instid0(VALU_DEP_1)
	v_cmpx_le_u32_e64 v0, v13
	s_cbranch_execz .LBB13_629
; %bb.623:                              ;   in Loop: Header=BB13_616 Depth=1
	s_mov_b32 s17, exec_lo
	s_mov_b32 s7, exec_lo
	v_mbcnt_lo_u32_b32 v0, s17, 0
                                        ; implicit-def: $vgpr1
	s_delay_alu instid0(VALU_DEP_1)
	v_cmpx_eq_u32_e32 0, v0
	s_cbranch_execz .LBB13_625
; %bb.624:                              ;   in Loop: Header=BB13_616 Depth=1
	s_bcnt1_i32_b32 s17, s17
	s_delay_alu instid0(SALU_CYCLE_1)
	v_mov_b32_e32 v1, s17
	global_atomic_add_u32 v1, v8, v1, s[12:13] offset:384 glc
.LBB13_625:                             ;   in Loop: Header=BB13_616 Depth=1
	s_or_b32 exec_lo, exec_lo, s7
	s_waitcnt vmcnt(0)
	v_readfirstlane_b32 s7, v1
	s_and_not1_b32 vcc_lo, exec_lo, s9
	s_cbranch_vccnz .LBB13_627
; %bb.626:                              ;   in Loop: Header=BB13_616 Depth=1
	v_ashrrev_i32_e32 v7, 31, v6
	s_delay_alu instid0(VALU_DEP_1) | instskip(NEXT) | instid1(VALU_DEP_1)
	v_lshlrev_b64 v[9:10], 2, v[6:7]
	v_add_co_u32 v9, vcc_lo, s14, v9
	s_delay_alu instid0(VALU_DEP_2)
	v_add_co_ci_u32_e32 v10, vcc_lo, s19, v10, vcc_lo
	global_load_b32 v1, v[9:10], off
	s_branch .LBB13_628
.LBB13_627:                             ;   in Loop: Header=BB13_616 Depth=1
	v_add_nc_u32_e32 v1, 1, v6
.LBB13_628:                             ;   in Loop: Header=BB13_616 Depth=1
	s_delay_alu instid0(VALU_DEP_2) | instskip(NEXT) | instid1(VALU_DEP_1)
	v_add_nc_u32_e32 v9, s7, v0
	v_ashrrev_i32_e32 v10, 31, v9
	s_delay_alu instid0(VALU_DEP_1) | instskip(NEXT) | instid1(VALU_DEP_1)
	v_lshlrev_b64 v[9:10], 2, v[9:10]
	v_add_co_u32 v9, vcc_lo, s23, v9
	s_delay_alu instid0(VALU_DEP_2)
	v_add_co_ci_u32_e32 v10, vcc_lo, s30, v10, vcc_lo
	s_waitcnt vmcnt(0)
	global_store_b32 v[9:10], v1, off
.LBB13_629:                             ;   in Loop: Header=BB13_616 Depth=1
	s_or_b32 exec_lo, exec_lo, s6
	v_cmp_gt_i32_e32 vcc_lo, 0, v2
	s_mov_b32 s6, exec_lo
	v_cndmask_b32_e64 v0, 0x7fffffff, 0, vcc_lo
	s_delay_alu instid0(VALU_DEP_1) | instskip(NEXT) | instid1(VALU_DEP_1)
	v_xor_b32_e32 v0, v0, v2
	v_and_b32_e32 v0, s4, v0
	s_delay_alu instid0(VALU_DEP_1)
	v_cmpx_le_u32_e64 v0, v13
	s_cbranch_execz .LBB13_636
; %bb.630:                              ;   in Loop: Header=BB13_616 Depth=1
	s_mov_b32 s17, exec_lo
	s_mov_b32 s7, exec_lo
	v_mbcnt_lo_u32_b32 v0, s17, 0
                                        ; implicit-def: $vgpr1
	s_delay_alu instid0(VALU_DEP_1)
	v_cmpx_eq_u32_e32 0, v0
	s_cbranch_execz .LBB13_632
; %bb.631:                              ;   in Loop: Header=BB13_616 Depth=1
	s_bcnt1_i32_b32 s17, s17
	s_delay_alu instid0(SALU_CYCLE_1)
	v_mov_b32_e32 v1, s17
	global_atomic_add_u32 v1, v8, v1, s[12:13] offset:384 glc
.LBB13_632:                             ;   in Loop: Header=BB13_616 Depth=1
	s_or_b32 exec_lo, exec_lo, s7
	s_waitcnt vmcnt(0)
	v_readfirstlane_b32 s7, v1
	s_and_not1_b32 vcc_lo, exec_lo, s9
	s_cbranch_vccnz .LBB13_634
; %bb.633:                              ;   in Loop: Header=BB13_616 Depth=1
	v_ashrrev_i32_e32 v7, 31, v6
	s_delay_alu instid0(VALU_DEP_1) | instskip(NEXT) | instid1(VALU_DEP_1)
	v_lshlrev_b64 v[1:2], 2, v[6:7]
	v_add_co_u32 v1, vcc_lo, s33, v1
	s_delay_alu instid0(VALU_DEP_2)
	v_add_co_ci_u32_e32 v2, vcc_lo, s34, v2, vcc_lo
	global_load_b32 v1, v[1:2], off
	s_branch .LBB13_635
.LBB13_634:                             ;   in Loop: Header=BB13_616 Depth=1
	v_add_nc_u32_e32 v1, 2, v6
.LBB13_635:                             ;   in Loop: Header=BB13_616 Depth=1
	s_delay_alu instid0(VALU_DEP_2) | instskip(NEXT) | instid1(VALU_DEP_1)
	v_add_nc_u32_e32 v9, s7, v0
	v_ashrrev_i32_e32 v10, 31, v9
	s_delay_alu instid0(VALU_DEP_1) | instskip(NEXT) | instid1(VALU_DEP_1)
	v_lshlrev_b64 v[9:10], 2, v[9:10]
	v_add_co_u32 v9, vcc_lo, s23, v9
	s_delay_alu instid0(VALU_DEP_2)
	v_add_co_ci_u32_e32 v10, vcc_lo, s30, v10, vcc_lo
	s_waitcnt vmcnt(0)
	global_store_b32 v[9:10], v1, off
.LBB13_636:                             ;   in Loop: Header=BB13_616 Depth=1
	s_or_b32 exec_lo, exec_lo, s6
	v_cmp_gt_i32_e32 vcc_lo, 0, v3
	s_mov_b32 s6, exec_lo
	v_cndmask_b32_e64 v0, 0x7fffffff, 0, vcc_lo
	s_delay_alu instid0(VALU_DEP_1) | instskip(NEXT) | instid1(VALU_DEP_1)
	v_xor_b32_e32 v0, v0, v3
	v_and_b32_e32 v0, s4, v0
	s_delay_alu instid0(VALU_DEP_1)
	v_cmpx_le_u32_e64 v0, v13
	s_cbranch_execz .LBB13_615
; %bb.637:                              ;   in Loop: Header=BB13_616 Depth=1
	s_mov_b32 s17, exec_lo
	s_mov_b32 s7, exec_lo
	v_mbcnt_lo_u32_b32 v0, s17, 0
                                        ; implicit-def: $vgpr1
	s_delay_alu instid0(VALU_DEP_1)
	v_cmpx_eq_u32_e32 0, v0
	s_cbranch_execz .LBB13_639
; %bb.638:                              ;   in Loop: Header=BB13_616 Depth=1
	s_bcnt1_i32_b32 s17, s17
	s_delay_alu instid0(SALU_CYCLE_1)
	v_mov_b32_e32 v1, s17
	global_atomic_add_u32 v1, v8, v1, s[12:13] offset:384 glc
.LBB13_639:                             ;   in Loop: Header=BB13_616 Depth=1
	s_or_b32 exec_lo, exec_lo, s7
	s_waitcnt vmcnt(0)
	v_readfirstlane_b32 s7, v1
	s_and_not1_b32 vcc_lo, exec_lo, s9
	s_cbranch_vccz .LBB13_613
; %bb.640:                              ;   in Loop: Header=BB13_616 Depth=1
	v_add_nc_u32_e32 v1, 3, v6
	s_branch .LBB13_614
.LBB13_641:
	s_or_b32 exec_lo, exec_lo, s3
	s_and_saveexec_b32 s3, s1
	s_cbranch_execz .LBB13_648
; %bb.642:
	global_load_b32 v0, v[19:20], off
	s_lshl_b32 s1, -1, s2
	s_waitcnt vmcnt(0)
	v_cmp_gt_i32_e32 vcc_lo, 0, v0
	v_cndmask_b32_e64 v1, 0x7fffffff, 0, vcc_lo
	s_delay_alu instid0(VALU_DEP_1) | instskip(NEXT) | instid1(VALU_DEP_1)
	v_xor_b32_e32 v0, v1, v0
	v_and_b32_e32 v0, s1, v0
	s_waitcnt lgkmcnt(0)
	s_delay_alu instid0(VALU_DEP_1)
	v_cmp_le_u32_e32 vcc_lo, v0, v13
	s_and_b32 exec_lo, exec_lo, vcc_lo
	s_cbranch_execz .LBB13_648
; %bb.643:
	s_mov_b32 s4, exec_lo
	s_mov_b32 s1, exec_lo
	v_mbcnt_lo_u32_b32 v0, s4, 0
                                        ; implicit-def: $vgpr1
	s_delay_alu instid0(VALU_DEP_1)
	v_cmpx_eq_u32_e32 0, v0
	s_cbranch_execz .LBB13_645
; %bb.644:
	s_bcnt1_i32_b32 s4, s4
	s_delay_alu instid0(SALU_CYCLE_1)
	v_dual_mov_b32 v1, 0 :: v_dual_mov_b32 v2, s4
	global_atomic_add_u32 v1, v1, v2, s[12:13] offset:384 glc
.LBB13_645:
	s_or_b32 exec_lo, exec_lo, s1
	s_waitcnt vmcnt(0)
	v_readfirstlane_b32 s1, v1
	s_and_not1_b32 vcc_lo, exec_lo, s9
	s_cbranch_vccnz .LBB13_647
; %bb.646:
	global_load_b32 v14, v[21:22], off
.LBB13_647:
	s_delay_alu instid0(VALU_DEP_1) | instskip(NEXT) | instid1(VALU_DEP_1)
	v_add_nc_u32_e32 v0, s1, v0
	v_ashrrev_i32_e32 v1, 31, v0
	s_delay_alu instid0(VALU_DEP_1) | instskip(NEXT) | instid1(VALU_DEP_1)
	v_lshlrev_b64 v[0:1], 2, v[0:1]
	v_add_co_u32 v0, vcc_lo, s23, v0
	s_delay_alu instid0(VALU_DEP_2)
	v_add_co_ci_u32_e32 v1, vcc_lo, s30, v1, vcc_lo
	s_waitcnt vmcnt(0)
	global_store_b32 v[0:1], v14, off
.LBB13_648:
	s_or_b32 exec_lo, exec_lo, s3
	s_and_saveexec_b32 s1, s0
	s_cbranch_execz .LBB13_655
; %bb.649:
	global_load_b32 v0, v[15:16], off
	s_lshl_b32 s0, -1, s2
	s_waitcnt vmcnt(0)
	v_cmp_gt_i32_e32 vcc_lo, 0, v0
	v_cndmask_b32_e64 v1, 0x7fffffff, 0, vcc_lo
	s_delay_alu instid0(VALU_DEP_1) | instskip(NEXT) | instid1(VALU_DEP_1)
	v_xor_b32_e32 v0, v1, v0
	v_and_b32_e32 v0, s0, v0
	s_waitcnt lgkmcnt(0)
	s_delay_alu instid0(VALU_DEP_1)
	v_cmp_le_u32_e32 vcc_lo, v0, v13
	s_and_b32 exec_lo, exec_lo, vcc_lo
	s_cbranch_execz .LBB13_655
; %bb.650:
	s_mov_b32 s1, exec_lo
	s_mov_b32 s0, exec_lo
	v_mbcnt_lo_u32_b32 v0, s1, 0
                                        ; implicit-def: $vgpr1
	s_delay_alu instid0(VALU_DEP_1)
	v_cmpx_eq_u32_e32 0, v0
	s_cbranch_execz .LBB13_652
; %bb.651:
	s_bcnt1_i32_b32 s1, s1
	s_delay_alu instid0(SALU_CYCLE_1)
	v_dual_mov_b32 v1, 0 :: v_dual_mov_b32 v2, s1
	global_atomic_add_u32 v1, v1, v2, s[12:13] offset:384 glc
.LBB13_652:
	s_or_b32 exec_lo, exec_lo, s0
	s_waitcnt vmcnt(0)
	v_readfirstlane_b32 s0, v1
	s_and_not1_b32 vcc_lo, exec_lo, s9
	s_cbranch_vccnz .LBB13_654
; %bb.653:
	global_load_b32 v12, v[17:18], off
.LBB13_654:
	s_delay_alu instid0(VALU_DEP_1) | instskip(NEXT) | instid1(VALU_DEP_1)
	v_add_nc_u32_e32 v0, s0, v0
	v_ashrrev_i32_e32 v1, 31, v0
	s_delay_alu instid0(VALU_DEP_1) | instskip(NEXT) | instid1(VALU_DEP_1)
	v_lshlrev_b64 v[0:1], 2, v[0:1]
	v_add_co_u32 v0, vcc_lo, s23, v0
	s_delay_alu instid0(VALU_DEP_2)
	v_add_co_ci_u32_e32 v1, vcc_lo, s30, v1, vcc_lo
	s_waitcnt vmcnt(0)
	global_store_b32 v[0:1], v12, off
.LBB13_655:
	s_nop 0
	s_sendmsg sendmsg(MSG_DEALLOC_VGPRS)
	s_endpgm
	.section	.rodata,"a",@progbits
	.p2align	6, 0x0
	.amdhsa_kernel _ZN5aiter2mb23radix_kernel_persistentIfiLi11ELi1024ELb0ELb0ELNS0_5PhaseE1EEEvPKT_PKT0_PS3_PS6_PNS0_7CounterIS3_S6_EESA_S6_S8_S8_S6_S6_b
		.amdhsa_group_segment_fixed_size 16912
		.amdhsa_private_segment_fixed_size 0
		.amdhsa_kernarg_size 344
		.amdhsa_user_sgpr_count 14
		.amdhsa_user_sgpr_dispatch_ptr 0
		.amdhsa_user_sgpr_queue_ptr 0
		.amdhsa_user_sgpr_kernarg_segment_ptr 1
		.amdhsa_user_sgpr_dispatch_id 0
		.amdhsa_user_sgpr_private_segment_size 0
		.amdhsa_wavefront_size32 1
		.amdhsa_uses_dynamic_stack 0
		.amdhsa_enable_private_segment 0
		.amdhsa_system_sgpr_workgroup_id_x 1
		.amdhsa_system_sgpr_workgroup_id_y 1
		.amdhsa_system_sgpr_workgroup_id_z 0
		.amdhsa_system_sgpr_workgroup_info 0
		.amdhsa_system_vgpr_workitem_id 2
		.amdhsa_next_free_vgpr 73
		.amdhsa_next_free_sgpr 53
		.amdhsa_reserve_vcc 1
		.amdhsa_float_round_mode_32 0
		.amdhsa_float_round_mode_16_64 0
		.amdhsa_float_denorm_mode_32 3
		.amdhsa_float_denorm_mode_16_64 3
		.amdhsa_dx10_clamp 1
		.amdhsa_ieee_mode 1
		.amdhsa_fp16_overflow 0
		.amdhsa_workgroup_processor_mode 1
		.amdhsa_memory_ordered 1
		.amdhsa_forward_progress 0
		.amdhsa_shared_vgpr_count 0
		.amdhsa_exception_fp_ieee_invalid_op 0
		.amdhsa_exception_fp_denorm_src 0
		.amdhsa_exception_fp_ieee_div_zero 0
		.amdhsa_exception_fp_ieee_overflow 0
		.amdhsa_exception_fp_ieee_underflow 0
		.amdhsa_exception_fp_ieee_inexact 0
		.amdhsa_exception_int_div_zero 0
	.end_amdhsa_kernel
	.section	.text._ZN5aiter2mb23radix_kernel_persistentIfiLi11ELi1024ELb0ELb0ELNS0_5PhaseE1EEEvPKT_PKT0_PS3_PS6_PNS0_7CounterIS3_S6_EESA_S6_S8_S8_S6_S6_b,"axG",@progbits,_ZN5aiter2mb23radix_kernel_persistentIfiLi11ELi1024ELb0ELb0ELNS0_5PhaseE1EEEvPKT_PKT0_PS3_PS6_PNS0_7CounterIS3_S6_EESA_S6_S8_S8_S6_S6_b,comdat
.Lfunc_end13:
	.size	_ZN5aiter2mb23radix_kernel_persistentIfiLi11ELi1024ELb0ELb0ELNS0_5PhaseE1EEEvPKT_PKT0_PS3_PS6_PNS0_7CounterIS3_S6_EESA_S6_S8_S8_S6_S6_b, .Lfunc_end13-_ZN5aiter2mb23radix_kernel_persistentIfiLi11ELi1024ELb0ELb0ELNS0_5PhaseE1EEEvPKT_PKT0_PS3_PS6_PNS0_7CounterIS3_S6_EESA_S6_S8_S8_S6_S6_b
                                        ; -- End function
	.section	.AMDGPU.csdata,"",@progbits
; Kernel info:
; codeLenInByte = 23592
; NumSgprs: 55
; NumVgprs: 73
; ScratchSize: 0
; MemoryBound: 0
; FloatMode: 240
; IeeeMode: 1
; LDSByteSize: 16912 bytes/workgroup (compile time only)
; SGPRBlocks: 6
; VGPRBlocks: 9
; NumSGPRsForWavesPerEU: 55
; NumVGPRsForWavesPerEU: 73
; Occupancy: 16
; WaveLimiterHint : 1
; COMPUTE_PGM_RSRC2:SCRATCH_EN: 0
; COMPUTE_PGM_RSRC2:USER_SGPR: 14
; COMPUTE_PGM_RSRC2:TRAP_HANDLER: 0
; COMPUTE_PGM_RSRC2:TGID_X_EN: 1
; COMPUTE_PGM_RSRC2:TGID_Y_EN: 1
; COMPUTE_PGM_RSRC2:TGID_Z_EN: 0
; COMPUTE_PGM_RSRC2:TIDIG_COMP_CNT: 2
	.section	.text._ZN5aiter2mb23radix_kernel_persistentIfiLi10ELi1024ELb0ELb0ELNS0_5PhaseE1EEEvPKT_PKT0_PS3_PS6_PNS0_7CounterIS3_S6_EESA_S6_S8_S8_S6_S6_b,"axG",@progbits,_ZN5aiter2mb23radix_kernel_persistentIfiLi10ELi1024ELb0ELb0ELNS0_5PhaseE1EEEvPKT_PKT0_PS3_PS6_PNS0_7CounterIS3_S6_EESA_S6_S8_S8_S6_S6_b,comdat
	.protected	_ZN5aiter2mb23radix_kernel_persistentIfiLi10ELi1024ELb0ELb0ELNS0_5PhaseE1EEEvPKT_PKT0_PS3_PS6_PNS0_7CounterIS3_S6_EESA_S6_S8_S8_S6_S6_b ; -- Begin function _ZN5aiter2mb23radix_kernel_persistentIfiLi10ELi1024ELb0ELb0ELNS0_5PhaseE1EEEvPKT_PKT0_PS3_PS6_PNS0_7CounterIS3_S6_EESA_S6_S8_S8_S6_S6_b
	.globl	_ZN5aiter2mb23radix_kernel_persistentIfiLi10ELi1024ELb0ELb0ELNS0_5PhaseE1EEEvPKT_PKT0_PS3_PS6_PNS0_7CounterIS3_S6_EESA_S6_S8_S8_S6_S6_b
	.p2align	8
	.type	_ZN5aiter2mb23radix_kernel_persistentIfiLi10ELi1024ELb0ELb0ELNS0_5PhaseE1EEEvPKT_PKT0_PS3_PS6_PNS0_7CounterIS3_S6_EESA_S6_S8_S8_S6_S6_b,@function
_ZN5aiter2mb23radix_kernel_persistentIfiLi10ELi1024ELb0ELb0ELNS0_5PhaseE1EEEvPKT_PKT0_PS3_PS6_PNS0_7CounterIS3_S6_EESA_S6_S8_S8_S6_S6_b: ; @_ZN5aiter2mb23radix_kernel_persistentIfiLi10ELi1024ELb0ELb0ELNS0_5PhaseE1EEEvPKT_PKT0_PS3_PS6_PNS0_7CounterIS3_S6_EESA_S6_S8_S8_S6_S6_b
; %bb.0:
	s_load_b64 s[22:23], s[0:1], 0x48
	s_mov_b32 s17, 0
	s_mov_b32 s16, s15
	;; [unrolled: 1-line block ×3, first 2 shown]
	s_waitcnt lgkmcnt(0)
	s_ashr_i32 s4, s23, 31
	s_mov_b32 s6, s23
	s_mov_b32 s3, s4
	s_delay_alu instid0(SALU_CYCLE_1)
	s_cmp_lg_u64 s[2:3], 0
	s_cbranch_scc0 .LBB14_607
; %bb.1:
	s_add_u32 s8, s6, s4
	s_mov_b32 s2, s4
	s_mov_b32 s3, s4
	s_addc_u32 s9, s4, s4
	s_delay_alu instid0(SALU_CYCLE_1) | instskip(NEXT) | instid1(SALU_CYCLE_1)
	s_xor_b64 s[4:5], s[8:9], s[2:3]
	v_cvt_f32_u32_e32 v1, s4
	v_cvt_f32_u32_e32 v2, s5
	s_sub_u32 s9, 0, s4
	s_subb_u32 s10, 0, s5
	s_delay_alu instid0(VALU_DEP_1) | instskip(NEXT) | instid1(VALU_DEP_1)
	v_fmamk_f32 v1, v2, 0x4f800000, v1
	v_rcp_f32_e32 v1, v1
	s_waitcnt_depctr 0xfff
	v_mul_f32_e32 v1, 0x5f7ffffc, v1
	s_delay_alu instid0(VALU_DEP_1) | instskip(NEXT) | instid1(VALU_DEP_1)
	v_mul_f32_e32 v2, 0x2f800000, v1
	v_trunc_f32_e32 v2, v2
	s_delay_alu instid0(VALU_DEP_1) | instskip(SKIP_1) | instid1(VALU_DEP_2)
	v_fmamk_f32 v1, v2, 0xcf800000, v1
	v_cvt_u32_f32_e32 v2, v2
	v_cvt_u32_f32_e32 v1, v1
	s_delay_alu instid0(VALU_DEP_2) | instskip(NEXT) | instid1(VALU_DEP_2)
	v_readfirstlane_b32 s7, v2
	v_readfirstlane_b32 s8, v1
	s_delay_alu instid0(VALU_DEP_2) | instskip(NEXT) | instid1(VALU_DEP_1)
	s_mul_i32 s11, s9, s7
	s_mul_hi_u32 s13, s9, s8
	s_mul_i32 s12, s10, s8
	s_add_i32 s11, s13, s11
	s_mul_i32 s15, s9, s8
	s_add_i32 s11, s11, s12
	s_mul_hi_u32 s13, s8, s15
	s_mul_hi_u32 s18, s7, s15
	s_mul_i32 s12, s7, s15
	s_mul_hi_u32 s15, s8, s11
	s_mul_i32 s8, s8, s11
	s_mul_hi_u32 s19, s7, s11
	s_add_u32 s8, s13, s8
	s_addc_u32 s13, 0, s15
	s_add_u32 s8, s8, s12
	s_mul_i32 s11, s7, s11
	s_addc_u32 s8, s13, s18
	s_addc_u32 s12, s19, 0
	s_add_u32 s8, s8, s11
	s_addc_u32 s11, 0, s12
	v_add_co_u32 v1, s8, v1, s8
	s_delay_alu instid0(VALU_DEP_1) | instskip(SKIP_1) | instid1(VALU_DEP_1)
	s_cmp_lg_u32 s8, 0
	s_addc_u32 s7, s7, s11
	v_readfirstlane_b32 s8, v1
	s_mul_i32 s11, s9, s7
	s_delay_alu instid0(VALU_DEP_1)
	s_mul_hi_u32 s12, s9, s8
	s_mul_i32 s10, s10, s8
	s_add_i32 s11, s12, s11
	s_mul_i32 s9, s9, s8
	s_add_i32 s11, s11, s10
	s_mul_hi_u32 s12, s7, s9
	s_mul_i32 s13, s7, s9
	s_mul_hi_u32 s9, s8, s9
	s_mul_hi_u32 s15, s8, s11
	s_mul_i32 s8, s8, s11
	s_mul_hi_u32 s10, s7, s11
	s_add_u32 s8, s9, s8
	s_addc_u32 s9, 0, s15
	s_add_u32 s8, s8, s13
	s_mul_i32 s11, s7, s11
	s_addc_u32 s8, s9, s12
	s_addc_u32 s9, s10, 0
	s_add_u32 s8, s8, s11
	s_addc_u32 s9, 0, s9
	v_add_co_u32 v1, s8, v1, s8
	s_delay_alu instid0(VALU_DEP_1) | instskip(SKIP_1) | instid1(VALU_DEP_1)
	s_cmp_lg_u32 s8, 0
	s_addc_u32 s7, s7, s9
	v_readfirstlane_b32 s8, v1
	s_mul_i32 s9, s16, s7
	s_mul_hi_u32 s7, s16, s7
	s_delay_alu instid0(VALU_DEP_1) | instskip(NEXT) | instid1(SALU_CYCLE_1)
	s_mul_hi_u32 s8, s16, s8
	s_add_u32 s8, s8, s9
	s_addc_u32 s7, 0, s7
	s_add_u32 s8, s8, 0
	s_addc_u32 s7, s7, 0
	s_addc_u32 s8, 0, 0
	s_add_u32 s7, s7, 0
	s_addc_u32 s8, 0, s8
	s_mul_hi_u32 s9, s4, s7
	s_mul_i32 s11, s4, s8
	s_mul_i32 s12, s4, s7
	s_add_i32 s9, s9, s11
	v_sub_co_u32 v1, s11, s16, s12
	s_mul_i32 s10, s5, s7
	s_delay_alu instid0(SALU_CYCLE_1) | instskip(NEXT) | instid1(VALU_DEP_1)
	s_add_i32 s9, s9, s10
	v_sub_co_u32 v2, s12, v1, s4
	s_sub_i32 s10, 0, s9
	s_cmp_lg_u32 s11, 0
	s_subb_u32 s10, s10, s5
	s_cmp_lg_u32 s12, 0
	v_readfirstlane_b32 s12, v2
	s_subb_u32 s10, s10, 0
	s_delay_alu instid0(SALU_CYCLE_1) | instskip(SKIP_1) | instid1(VALU_DEP_1)
	s_cmp_ge_u32 s10, s5
	s_cselect_b32 s13, -1, 0
	s_cmp_ge_u32 s12, s4
	s_cselect_b32 s12, -1, 0
	s_cmp_eq_u32 s10, s5
	s_cselect_b32 s10, s12, s13
	s_add_u32 s12, s7, 1
	s_addc_u32 s13, s8, 0
	s_add_u32 s15, s7, 2
	s_addc_u32 s18, s8, 0
	s_cmp_lg_u32 s10, 0
	s_cselect_b32 s10, s15, s12
	s_cselect_b32 s12, s18, s13
	s_cmp_lg_u32 s11, 0
	v_readfirstlane_b32 s11, v1
	s_subb_u32 s9, 0, s9
	s_delay_alu instid0(SALU_CYCLE_1) | instskip(SKIP_1) | instid1(VALU_DEP_1)
	s_cmp_ge_u32 s9, s5
	s_cselect_b32 s13, -1, 0
	s_cmp_ge_u32 s11, s4
	s_cselect_b32 s4, -1, 0
	s_cmp_eq_u32 s9, s5
	s_cselect_b32 s4, s4, s13
	s_delay_alu instid0(SALU_CYCLE_1) | instskip(SKIP_2) | instid1(SALU_CYCLE_1)
	s_cmp_lg_u32 s4, 0
	s_cselect_b32 s5, s12, s8
	s_cselect_b32 s4, s10, s7
	s_xor_b64 s[4:5], s[4:5], s[2:3]
	s_delay_alu instid0(SALU_CYCLE_1) | instskip(SKIP_2) | instid1(SALU_CYCLE_1)
	s_sub_u32 s2, s4, s2
	s_subb_u32 s3, s5, s3
	s_mov_b32 s4, s17
	s_and_not1_b32 vcc_lo, exec_lo, s4
	s_cbranch_vccnz .LBB14_3
.LBB14_2:
	v_cvt_f32_u32_e32 v1, s6
	s_sub_i32 s3, 0, s6
	s_delay_alu instid0(VALU_DEP_1) | instskip(SKIP_2) | instid1(VALU_DEP_1)
	v_rcp_iflag_f32_e32 v1, v1
	s_waitcnt_depctr 0xfff
	v_mul_f32_e32 v1, 0x4f7ffffe, v1
	v_cvt_u32_f32_e32 v1, v1
	s_delay_alu instid0(VALU_DEP_1) | instskip(NEXT) | instid1(VALU_DEP_1)
	v_readfirstlane_b32 s2, v1
	s_mul_i32 s3, s3, s2
	s_delay_alu instid0(SALU_CYCLE_1) | instskip(NEXT) | instid1(SALU_CYCLE_1)
	s_mul_hi_u32 s3, s2, s3
	s_add_i32 s2, s2, s3
	s_delay_alu instid0(SALU_CYCLE_1) | instskip(NEXT) | instid1(SALU_CYCLE_1)
	s_mul_hi_u32 s2, s16, s2
	s_mul_i32 s3, s2, s6
	s_add_i32 s4, s2, 1
	s_sub_i32 s3, s16, s3
	s_delay_alu instid0(SALU_CYCLE_1)
	s_sub_i32 s5, s3, s6
	s_cmp_ge_u32 s3, s6
	s_cselect_b32 s2, s4, s2
	s_cselect_b32 s3, s5, s3
	s_add_i32 s4, s2, 1
	s_cmp_ge_u32 s3, s6
	s_mov_b32 s3, 0
	s_cselect_b32 s2, s4, s2
.LBB14_3:
	s_load_b64 s[4:5], s[0:1], 0x40
	s_lshl_b64 s[8:9], s[2:3], 2
	s_load_b32 s3, s[0:1], 0x64
	s_mul_i32 s2, s2, s6
	v_and_b32_e32 v27, 0x3ff, v0
	s_waitcnt lgkmcnt(0)
	s_add_u32 s4, s4, s8
	s_addc_u32 s5, s5, s9
	s_sub_i32 s2, s16, s2
	s_load_b32 s4, s[4:5], 0x0
	s_waitcnt lgkmcnt(0)
	s_sub_i32 s4, s4, s6
	s_delay_alu instid0(SALU_CYCLE_1) | instskip(SKIP_4) | instid1(VALU_DEP_1)
	s_add_i32 s34, s4, s2
	v_cmp_eq_u32_e64 s2, 0, v27
	s_add_i32 s34, s34, 1
	s_add_u32 s24, s0, 0x58
	s_addc_u32 s25, s1, 0
	s_and_saveexec_b32 s4, s2
	s_cbranch_execz .LBB14_5
; %bb.4:
	v_dual_mov_b32 v1, 0 :: v_dual_mov_b32 v2, s22
	v_mov_b32_e32 v3, s34
	ds_store_b96 v1, v[1:3] offset:8576
.LBB14_5:
	s_or_b32 exec_lo, exec_lo, s4
	s_clause 0x3
	s_load_b32 s12, s[0:1], 0x30
	s_load_b128 s[4:7], s[0:1], 0x0
	s_load_b128 s[8:11], s[0:1], 0x18
	s_load_b32 s45, s[0:1], 0x58
	s_waitcnt lgkmcnt(0)
	s_barrier
	buffer_gl0_inv
	s_ashr_i32 s13, s12, 31
	s_mul_hi_u32 s15, s12, s16
	s_mul_i32 s13, s13, s16
	s_mul_i32 s12, s12, s16
	s_add_i32 s13, s15, s13
	s_delay_alu instid0(SALU_CYCLE_1) | instskip(NEXT) | instid1(SALU_CYCLE_1)
	s_lshl_b64 s[18:19], s[12:13], 2
	s_add_u32 s12, s6, s18
	s_addc_u32 s13, s7, s19
	s_cmp_lg_u64 s[6:7], 0
	s_mul_hi_u32 s7, s22, s16
	s_cselect_b32 s13, s13, 0
	s_cselect_b32 s12, s12, 0
	s_ashr_i32 s6, s22, 31
	s_delay_alu instid0(SALU_CYCLE_1) | instskip(SKIP_2) | instid1(SALU_CYCLE_1)
	s_mul_i32 s15, s6, s16
	s_mul_i32 s6, s22, s16
	s_add_i32 s7, s7, s15
	s_lshl_b64 s[6:7], s[6:7], 2
	s_delay_alu instid0(SALU_CYCLE_1)
	s_add_u32 s15, s8, s6
	s_addc_u32 s23, s9, s7
	s_and_b32 s40, 0xffff, s3
	s_cmp_le_i32 s34, s22
	s_mov_b32 s6, -1
	s_cbranch_scc0 .LBB14_14
; %bb.6:
	v_cmp_gt_i32_e32 vcc_lo, s22, v27
	s_cmp_eq_u32 s14, 0
	s_mov_b32 s6, 0
	s_cselect_b32 s3, -1, 0
	s_delay_alu instid0(SALU_CYCLE_1) | instskip(NEXT) | instid1(SALU_CYCLE_1)
	s_and_b32 s3, s3, vcc_lo
	s_and_saveexec_b32 s7, s3
	s_cbranch_execz .LBB14_13
; %bb.7:
	v_mov_b32_e32 v1, v27
	s_cmp_eq_u64 s[12:13], 0
	s_mov_b32 s8, 0
	s_cselect_b32 s9, -1, 0
	s_set_inst_prefetch_distance 0x1
	s_branch .LBB14_9
	.p2align	6
.LBB14_8:                               ;   in Loop: Header=BB14_9 Depth=1
	s_or_b32 exec_lo, exec_lo, s3
	s_delay_alu instid0(VALU_DEP_1) | instskip(SKIP_1) | instid1(VALU_DEP_1)
	v_lshlrev_b64 v[4:5], 2, v[1:2]
	v_add_nc_u32_e32 v1, s40, v1
	v_cmp_le_i32_e32 vcc_lo, s22, v1
	s_delay_alu instid0(VALU_DEP_3) | instskip(NEXT) | instid1(VALU_DEP_1)
	v_add_co_u32 v4, s3, s15, v4
	v_add_co_ci_u32_e64 v5, s3, s23, v5, s3
	s_or_b32 s8, vcc_lo, s8
	s_waitcnt vmcnt(0)
	global_store_b32 v[4:5], v3, off
	s_and_not1_b32 exec_lo, exec_lo, s8
	s_cbranch_execz .LBB14_13
.LBB14_9:                               ; =>This Inner Loop Header: Depth=1
	v_cmp_le_i32_e32 vcc_lo, s34, v1
                                        ; implicit-def: $vgpr3
	s_or_b32 s3, vcc_lo, s9
	s_delay_alu instid0(SALU_CYCLE_1) | instskip(NEXT) | instid1(SALU_CYCLE_1)
	s_xor_b32 s3, s3, -1
	s_and_saveexec_b32 s20, s3
	s_delay_alu instid0(SALU_CYCLE_1)
	s_xor_b32 s20, exec_lo, s20
	s_cbranch_execz .LBB14_11
; %bb.10:                               ;   in Loop: Header=BB14_9 Depth=1
	v_ashrrev_i32_e32 v2, 31, v1
	s_delay_alu instid0(VALU_DEP_1) | instskip(NEXT) | instid1(VALU_DEP_1)
	v_lshlrev_b64 v[3:4], 2, v[1:2]
	v_add_co_u32 v3, s3, s12, v3
	s_delay_alu instid0(VALU_DEP_1)
	v_add_co_ci_u32_e64 v4, s3, s13, v4, s3
	global_load_b32 v3, v[3:4], off
.LBB14_11:                              ;   in Loop: Header=BB14_9 Depth=1
	s_and_not1_saveexec_b32 s3, s20
	s_cbranch_execz .LBB14_8
; %bb.12:                               ;   in Loop: Header=BB14_9 Depth=1
	s_waitcnt vmcnt(0)
	v_cndmask_b32_e64 v3, v1, -1, vcc_lo
	v_ashrrev_i32_e32 v2, 31, v1
	s_branch .LBB14_8
.LBB14_13:
	s_set_inst_prefetch_distance 0x2
	s_or_b32 exec_lo, exec_lo, s7
.LBB14_14:
	s_delay_alu instid0(SALU_CYCLE_1)
	s_and_not1_b32 vcc_lo, exec_lo, s6
	s_cbranch_vccnz .LBB14_653
; %bb.15:
	s_mul_i32 s3, s16, 0x300
	s_mul_hi_u32 s6, s16, 0x300
	s_add_u32 s8, s10, s3
	s_addc_u32 s9, s11, s6
	s_lshl_b64 s[26:27], s[16:17], 14
	s_add_u32 s4, s4, s18
	s_addc_u32 s5, s5, s19
	s_and_b32 s6, s4, 15
	s_mov_b32 s7, 0
	s_sub_i32 s3, 16, s6
	s_load_b64 s[28:29], s[0:1], 0x28
	s_lshr_b32 s3, s3, 2
	s_cmp_lg_u64 s[6:7], 0
	v_mov_b32_e32 v28, 0
	s_cselect_b32 s3, s3, 0
	s_mul_hi_u32 s11, s40, s45
	s_min_i32 s18, s3, s34
	s_mul_i32 s10, s40, s45
	s_ashr_i32 s19, s18, 31
	s_mul_i32 s3, s11, 3
	s_lshl_b64 s[0:1], s[18:19], 2
	s_mul_hi_u32 s6, s10, 3
	s_add_u32 s30, s4, s0
	s_addc_u32 s31, s5, s1
	s_sub_i32 s0, s34, s18
	v_mad_u64_u32 v[14:15], null, s40, s14, v[27:28]
	s_ashr_i32 s1, s0, 31
	s_lshl_b64 s[20:21], s[10:11], 4
	s_lshr_b32 s1, s1, 30
	s_lshl_b32 s33, s10, 2
	s_add_i32 s0, s0, s1
	s_add_i32 s38, s6, s3
	s_delay_alu instid0(VALU_DEP_1)
	v_mov_b32_e32 v23, v14
	s_ashr_i32 s16, s0, 2
	v_ashrrev_i32_e32 v24, 31, v14
	s_ashr_i32 s17, s16, 31
	s_add_u32 s41, s30, s20
	s_addc_u32 s42, s31, s21
	s_add_u32 s43, s41, s20
	s_addc_u32 s44, s42, s21
	s_and_b32 s0, s0, -4
	v_lshlrev_b64 v[3:4], 2, v[14:15]
	v_add3_u32 v12, s0, s18, v14
	s_mul_i32 s39, s10, 3
	v_dual_mov_b32 v1, v28 :: v_dual_mov_b32 v2, v14
	v_add_co_u32 v25, vcc_lo, v23, s39
	s_delay_alu instid0(VALU_DEP_3) | instskip(SKIP_2) | instid1(VALU_DEP_3)
	v_ashrrev_i32_e32 v13, 31, v12
	v_add_co_ci_u32_e32 v26, vcc_lo, s38, v24, vcc_lo
	v_add_co_u32 v19, vcc_lo, s4, v3
	v_lshlrev_b64 v[5:6], 2, v[12:13]
	v_lshrrev_b32_e32 v3, 3, v27
	s_add_i32 s45, s45, -1
	s_lshl_b32 s46, s40, 8
	s_cmp_eq_u64 s[12:13], 0
	v_add_co_ci_u32_e32 v20, vcc_lo, s5, v4, vcc_lo
	v_cmp_gt_u64_e64 s1, s[18:19], v[14:15]
	v_add_co_u32 v15, vcc_lo, s4, v5
	s_cselect_b32 s47, -1, 0
	s_cmp_lg_u64 s[12:13], 0
	v_bfe_u32 v42, v0, 20, 10
	v_bfe_u32 v43, v0, 10, 10
	v_ashrrev_i64 v[0:1], 30, v[1:2]
	v_add_co_ci_u32_e32 v16, vcc_lo, s5, v6, vcc_lo
	v_and_b32_e32 v3, 0x7c, v3
	s_mov_b64 s[4:5], src_shared_base
	s_delay_alu instid0(SALU_CYCLE_1)
	v_dual_mov_b32 v30, s5 :: v_dual_lshlrev_b32 v13, 2, v27
	v_or_b32_e32 v4, s14, v27
	s_cselect_b32 s11, -1, 0
	s_add_u32 s14, s12, 4
	s_addc_u32 s19, s13, 0
	v_cmp_gt_i32_e64 s0, s34, v12
	s_add_u32 s34, s12, 8
	s_addc_u32 s35, s13, 0
	s_add_u32 s36, s12, 12
	v_dual_mov_b32 v47, 1 :: v_dual_add_nc_u32 v44, v13, v3
	v_dual_mov_b32 v46, 0x2184 :: v_dual_lshlrev_b32 v3, 7, v27
	v_add_co_u32 v21, vcc_lo, s12, v0
	s_addc_u32 s37, s13, 0
	s_lshl_b32 s48, s40, 2
	s_waitcnt lgkmcnt(0)
	s_add_u32 s6, s28, s26
	v_add_co_ci_u32_e32 v22, vcc_lo, s13, v1, vcc_lo
	v_add_co_u32 v17, vcc_lo, s12, v5
	s_addc_u32 s26, s29, s27
	v_add_co_u32 v31, s6, s6, v13
	v_cmp_gt_u64_e64 s3, s[16:17], v[25:26]
	v_add_nc_u32_e32 v29, 0x1080, v13
	v_cmp_gt_u32_e64 s4, 32, v27
	v_cmp_eq_u32_e64 s5, 0, v4
	v_add_co_ci_u32_e32 v18, vcc_lo, s13, v6, vcc_lo
	v_add_co_ci_u32_e64 v32, null, s26, 0, s6
	v_add_nc_u32_e32 v45, 0x107c, v13
	v_add_nc_u32_e32 v48, v13, v3
	v_mbcnt_lo_u32_b32 v49, -1, 0
	s_branch .LBB14_18
.LBB14_16:                              ;   in Loop: Header=BB14_18 Depth=1
	s_mov_b32 s6, -1
	s_mov_b32 s27, -1
                                        ; implicit-def: $sgpr7
                                        ; implicit-def: $vgpr31_vgpr32
                                        ; implicit-def: $sgpr26
.LBB14_17:                              ;   in Loop: Header=BB14_18 Depth=1
	s_delay_alu instid0(SALU_CYCLE_1)
	s_and_b32 vcc_lo, exec_lo, s27
	s_cbranch_vccnz .LBB14_495
.LBB14_18:                              ; =>This Loop Header: Depth=1
                                        ;     Child Loop BB14_20 Depth 2
                                        ;     Child Loop BB14_26 Depth 2
                                        ;     Child Loop BB14_64 Depth 2
                                        ;     Child Loop BB14_82 Depth 2
                                        ;     Child Loop BB14_86 Depth 2
                                        ;     Child Loop BB14_96 Depth 2
                                        ;     Child Loop BB14_105 Depth 2
                                        ;     Child Loop BB14_117 Depth 2
                                        ;     Child Loop BB14_120 Depth 2
                                        ;     Child Loop BB14_125 Depth 2
                                        ;     Child Loop BB14_136 Depth 2
                                        ;     Child Loop BB14_395 Depth 2
	s_waitcnt lgkmcnt(0)
	ds_load_2addr_b32 v[33:34], v46 offset1:1
	s_waitcnt lgkmcnt(0)
	v_cmp_eq_u32_e32 vcc_lo, 0, v34
	s_cbranch_vccnz .LBB14_16
; %bb.19:                               ;   in Loop: Header=BB14_18 Depth=1
	v_dual_mov_b32 v0, v29 :: v_dual_mov_b32 v1, v27
	s_mov_b32 s6, 0
.LBB14_20:                              ;   Parent Loop BB14_18 Depth=1
                                        ; =>  This Inner Loop Header: Depth=2
	s_delay_alu instid0(VALU_DEP_1) | instskip(SKIP_4) | instid1(SALU_CYCLE_1)
	v_add_nc_u32_e32 v1, s40, v1
	ds_store_b32 v0, v28
	v_add_nc_u32_e32 v0, s48, v0
	v_cmp_lt_u32_e32 vcc_lo, 0x3ff, v1
	s_or_b32 s6, vcc_lo, s6
	s_and_not1_b32 exec_lo, exec_lo, s6
	s_cbranch_execnz .LBB14_20
; %bb.21:                               ;   in Loop: Header=BB14_18 Depth=1
	s_or_b32 exec_lo, exec_lo, s6
	v_cmp_ne_u32_e32 vcc_lo, v34, v33
	s_mul_i32 s26, s7, -10
	s_waitcnt vmcnt(0) lgkmcnt(0)
	s_waitcnt_vscnt null, 0x0
	s_barrier
	buffer_gl0_inv
	s_cbranch_vccz .LBB14_58
; %bb.22:                               ;   in Loop: Header=BB14_18 Depth=1
	s_max_i32 s27, s26, 0xffffffea
	s_delay_alu instid0(SALU_CYCLE_1)
	s_add_i32 s27, s27, 22
	s_cmp_lg_u32 s7, 0
	s_cbranch_scc0 .LBB14_59
; %bb.23:                               ;   in Loop: Header=BB14_18 Depth=1
	ds_load_b32 v36, v28 offset:8576
	v_mov_b32_e32 v34, v14
	s_add_i32 s6, s26, 32
	s_and_saveexec_b32 s28, s3
	s_cbranch_execz .LBB14_61
; %bb.24:                               ;   in Loop: Header=BB14_18 Depth=1
	v_dual_mov_b32 v8, v25 :: v_dual_mov_b32 v9, v26
	v_dual_mov_b32 v35, v24 :: v_dual_mov_b32 v34, v23
	s_lshl_b32 s49, -1, s6
	s_mov_b32 s29, 0
	s_branch .LBB14_26
.LBB14_25:                              ;   in Loop: Header=BB14_26 Depth=2
	s_or_b32 exec_lo, exec_lo, s50
	v_add_nc_u32_e32 v34, s33, v34
	s_delay_alu instid0(VALU_DEP_1) | instskip(SKIP_1) | instid1(VALU_DEP_2)
	v_ashrrev_i32_e32 v35, 31, v34
	v_add_co_u32 v8, vcc_lo, s39, v34
	v_add_co_ci_u32_e32 v9, vcc_lo, s38, v35, vcc_lo
	s_delay_alu instid0(VALU_DEP_1) | instskip(SKIP_1) | instid1(SALU_CYCLE_1)
	v_cmp_le_u64_e32 vcc_lo, s[16:17], v[8:9]
	s_or_b32 s29, vcc_lo, s29
	s_and_not1_b32 exec_lo, exec_lo, s29
	s_cbranch_execz .LBB14_60
.LBB14_26:                              ;   Parent Loop BB14_18 Depth=1
                                        ; =>  This Inner Loop Header: Depth=2
	s_delay_alu instid0(VALU_DEP_1) | instskip(SKIP_1) | instid1(VALU_DEP_1)
	v_lshlrev_b64 v[10:11], 4, v[34:35]
	s_mov_b32 s50, exec_lo
	v_add_co_u32 v0, vcc_lo, s30, v10
	s_delay_alu instid0(VALU_DEP_2)
	v_add_co_ci_u32_e32 v1, vcc_lo, s31, v11, vcc_lo
	v_add_co_u32 v4, vcc_lo, s41, v10
	v_add_co_ci_u32_e32 v5, vcc_lo, s42, v11, vcc_lo
	s_clause 0x1
	global_load_b128 v[0:3], v[0:1], off
	global_load_b128 v[4:7], v[4:5], off
	s_waitcnt vmcnt(1)
	v_cmp_gt_i32_e32 vcc_lo, 0, v0
	v_cndmask_b32_e64 v35, 0x7fffffff, 0, vcc_lo
	s_delay_alu instid0(VALU_DEP_1) | instskip(NEXT) | instid1(VALU_DEP_1)
	v_xor_b32_e32 v0, v35, v0
	v_and_b32_e32 v35, s49, v0
	s_waitcnt lgkmcnt(0)
	s_delay_alu instid0(VALU_DEP_1)
	v_cmpx_eq_u32_e64 v35, v36
	s_cbranch_execz .LBB14_28
; %bb.27:                               ;   in Loop: Header=BB14_26 Depth=2
	v_bfe_u32 v0, v0, s27, 10
	s_delay_alu instid0(VALU_DEP_1)
	v_lshlrev_b32_e32 v0, 2, v0
	ds_add_u32 v0, v47 offset:4224
.LBB14_28:                              ;   in Loop: Header=BB14_26 Depth=2
	s_or_b32 exec_lo, exec_lo, s50
	v_cmp_gt_i32_e32 vcc_lo, 0, v1
	s_mov_b32 s50, exec_lo
	v_cndmask_b32_e64 v0, 0x7fffffff, 0, vcc_lo
	s_delay_alu instid0(VALU_DEP_1) | instskip(NEXT) | instid1(VALU_DEP_1)
	v_xor_b32_e32 v0, v0, v1
	v_and_b32_e32 v1, s49, v0
	s_delay_alu instid0(VALU_DEP_1)
	v_cmpx_eq_u32_e64 v1, v36
	s_cbranch_execz .LBB14_30
; %bb.29:                               ;   in Loop: Header=BB14_26 Depth=2
	v_bfe_u32 v0, v0, s27, 10
	s_delay_alu instid0(VALU_DEP_1)
	v_lshlrev_b32_e32 v0, 2, v0
	ds_add_u32 v0, v47 offset:4224
.LBB14_30:                              ;   in Loop: Header=BB14_26 Depth=2
	s_or_b32 exec_lo, exec_lo, s50
	v_cmp_gt_i32_e32 vcc_lo, 0, v2
	s_mov_b32 s50, exec_lo
	v_cndmask_b32_e64 v0, 0x7fffffff, 0, vcc_lo
	s_delay_alu instid0(VALU_DEP_1) | instskip(NEXT) | instid1(VALU_DEP_1)
	v_xor_b32_e32 v0, v0, v2
	v_and_b32_e32 v1, s49, v0
	;; [unrolled: 16-line block ×3, first 2 shown]
	s_delay_alu instid0(VALU_DEP_1)
	v_cmpx_eq_u32_e64 v1, v36
	s_cbranch_execz .LBB14_34
; %bb.33:                               ;   in Loop: Header=BB14_26 Depth=2
	v_bfe_u32 v0, v0, s27, 10
	s_delay_alu instid0(VALU_DEP_1)
	v_lshlrev_b32_e32 v0, 2, v0
	ds_add_u32 v0, v47 offset:4224
.LBB14_34:                              ;   in Loop: Header=BB14_26 Depth=2
	s_or_b32 exec_lo, exec_lo, s50
	v_lshlrev_b64 v[0:1], 4, v[8:9]
	v_add_co_u32 v2, vcc_lo, s43, v10
	v_add_co_ci_u32_e32 v3, vcc_lo, s44, v11, vcc_lo
	s_mov_b32 s50, exec_lo
	s_delay_alu instid0(VALU_DEP_3) | instskip(NEXT) | instid1(VALU_DEP_4)
	v_add_co_u32 v0, vcc_lo, s30, v0
	v_add_co_ci_u32_e32 v1, vcc_lo, s31, v1, vcc_lo
	s_waitcnt vmcnt(0)
	v_cmp_gt_i32_e32 vcc_lo, 0, v4
	s_clause 0x1
	global_load_b128 v[8:11], v[2:3], off
	global_load_b128 v[0:3], v[0:1], off
	v_cndmask_b32_e64 v35, 0x7fffffff, 0, vcc_lo
	s_delay_alu instid0(VALU_DEP_1) | instskip(NEXT) | instid1(VALU_DEP_1)
	v_xor_b32_e32 v4, v35, v4
	v_and_b32_e32 v35, s49, v4
	s_delay_alu instid0(VALU_DEP_1)
	v_cmpx_eq_u32_e64 v35, v36
	s_cbranch_execz .LBB14_36
; %bb.35:                               ;   in Loop: Header=BB14_26 Depth=2
	v_bfe_u32 v4, v4, s27, 10
	s_delay_alu instid0(VALU_DEP_1)
	v_lshlrev_b32_e32 v4, 2, v4
	ds_add_u32 v4, v47 offset:4224
.LBB14_36:                              ;   in Loop: Header=BB14_26 Depth=2
	s_or_b32 exec_lo, exec_lo, s50
	v_cmp_gt_i32_e32 vcc_lo, 0, v5
	s_mov_b32 s50, exec_lo
	v_cndmask_b32_e64 v4, 0x7fffffff, 0, vcc_lo
	s_delay_alu instid0(VALU_DEP_1) | instskip(NEXT) | instid1(VALU_DEP_1)
	v_xor_b32_e32 v4, v4, v5
	v_and_b32_e32 v5, s49, v4
	s_delay_alu instid0(VALU_DEP_1)
	v_cmpx_eq_u32_e64 v5, v36
	s_cbranch_execz .LBB14_38
; %bb.37:                               ;   in Loop: Header=BB14_26 Depth=2
	v_bfe_u32 v4, v4, s27, 10
	s_delay_alu instid0(VALU_DEP_1)
	v_lshlrev_b32_e32 v4, 2, v4
	ds_add_u32 v4, v47 offset:4224
.LBB14_38:                              ;   in Loop: Header=BB14_26 Depth=2
	s_or_b32 exec_lo, exec_lo, s50
	v_cmp_gt_i32_e32 vcc_lo, 0, v6
	s_mov_b32 s50, exec_lo
	;; [unrolled: 16-line block ×3, first 2 shown]
	v_cndmask_b32_e64 v4, 0x7fffffff, 0, vcc_lo
	s_delay_alu instid0(VALU_DEP_1) | instskip(NEXT) | instid1(VALU_DEP_1)
	v_xor_b32_e32 v4, v4, v7
	v_and_b32_e32 v5, s49, v4
	s_delay_alu instid0(VALU_DEP_1)
	v_cmpx_eq_u32_e64 v5, v36
	s_cbranch_execz .LBB14_42
; %bb.41:                               ;   in Loop: Header=BB14_26 Depth=2
	v_bfe_u32 v4, v4, s27, 10
	s_delay_alu instid0(VALU_DEP_1)
	v_lshlrev_b32_e32 v4, 2, v4
	ds_add_u32 v4, v47 offset:4224
.LBB14_42:                              ;   in Loop: Header=BB14_26 Depth=2
	s_or_b32 exec_lo, exec_lo, s50
	s_waitcnt vmcnt(1)
	v_cmp_gt_i32_e32 vcc_lo, 0, v8
	s_mov_b32 s50, exec_lo
	v_cndmask_b32_e64 v4, 0x7fffffff, 0, vcc_lo
	s_delay_alu instid0(VALU_DEP_1) | instskip(NEXT) | instid1(VALU_DEP_1)
	v_xor_b32_e32 v4, v4, v8
	v_and_b32_e32 v5, s49, v4
	s_delay_alu instid0(VALU_DEP_1)
	v_cmpx_eq_u32_e64 v5, v36
	s_cbranch_execz .LBB14_44
; %bb.43:                               ;   in Loop: Header=BB14_26 Depth=2
	v_bfe_u32 v4, v4, s27, 10
	s_delay_alu instid0(VALU_DEP_1)
	v_lshlrev_b32_e32 v4, 2, v4
	ds_add_u32 v4, v47 offset:4224
.LBB14_44:                              ;   in Loop: Header=BB14_26 Depth=2
	s_or_b32 exec_lo, exec_lo, s50
	v_cmp_gt_i32_e32 vcc_lo, 0, v9
	s_mov_b32 s50, exec_lo
	v_cndmask_b32_e64 v4, 0x7fffffff, 0, vcc_lo
	s_delay_alu instid0(VALU_DEP_1) | instskip(NEXT) | instid1(VALU_DEP_1)
	v_xor_b32_e32 v4, v4, v9
	v_and_b32_e32 v5, s49, v4
	s_delay_alu instid0(VALU_DEP_1)
	v_cmpx_eq_u32_e64 v5, v36
	s_cbranch_execz .LBB14_46
; %bb.45:                               ;   in Loop: Header=BB14_26 Depth=2
	v_bfe_u32 v4, v4, s27, 10
	s_delay_alu instid0(VALU_DEP_1)
	v_lshlrev_b32_e32 v4, 2, v4
	ds_add_u32 v4, v47 offset:4224
.LBB14_46:                              ;   in Loop: Header=BB14_26 Depth=2
	s_or_b32 exec_lo, exec_lo, s50
	;; [unrolled: 16-line block ×4, first 2 shown]
	s_waitcnt vmcnt(0)
	v_cmp_gt_i32_e32 vcc_lo, 0, v0
	s_mov_b32 s50, exec_lo
	v_cndmask_b32_e64 v4, 0x7fffffff, 0, vcc_lo
	s_delay_alu instid0(VALU_DEP_1) | instskip(NEXT) | instid1(VALU_DEP_1)
	v_xor_b32_e32 v0, v4, v0
	v_and_b32_e32 v4, s49, v0
	s_delay_alu instid0(VALU_DEP_1)
	v_cmpx_eq_u32_e64 v4, v36
	s_cbranch_execz .LBB14_52
; %bb.51:                               ;   in Loop: Header=BB14_26 Depth=2
	v_bfe_u32 v0, v0, s27, 10
	s_delay_alu instid0(VALU_DEP_1)
	v_lshlrev_b32_e32 v0, 2, v0
	ds_add_u32 v0, v47 offset:4224
.LBB14_52:                              ;   in Loop: Header=BB14_26 Depth=2
	s_or_b32 exec_lo, exec_lo, s50
	v_cmp_gt_i32_e32 vcc_lo, 0, v1
	s_mov_b32 s50, exec_lo
	v_cndmask_b32_e64 v0, 0x7fffffff, 0, vcc_lo
	s_delay_alu instid0(VALU_DEP_1) | instskip(NEXT) | instid1(VALU_DEP_1)
	v_xor_b32_e32 v0, v0, v1
	v_and_b32_e32 v1, s49, v0
	s_delay_alu instid0(VALU_DEP_1)
	v_cmpx_eq_u32_e64 v1, v36
	s_cbranch_execz .LBB14_54
; %bb.53:                               ;   in Loop: Header=BB14_26 Depth=2
	v_bfe_u32 v0, v0, s27, 10
	s_delay_alu instid0(VALU_DEP_1)
	v_lshlrev_b32_e32 v0, 2, v0
	ds_add_u32 v0, v47 offset:4224
.LBB14_54:                              ;   in Loop: Header=BB14_26 Depth=2
	s_or_b32 exec_lo, exec_lo, s50
	;; [unrolled: 16-line block ×3, first 2 shown]
	v_cmp_gt_i32_e32 vcc_lo, 0, v3
	s_mov_b32 s50, exec_lo
	v_cndmask_b32_e64 v0, 0x7fffffff, 0, vcc_lo
	s_delay_alu instid0(VALU_DEP_1) | instskip(NEXT) | instid1(VALU_DEP_1)
	v_xor_b32_e32 v0, v0, v3
	v_and_b32_e32 v1, s49, v0
	s_delay_alu instid0(VALU_DEP_1)
	v_cmpx_eq_u32_e64 v1, v36
	s_cbranch_execz .LBB14_25
; %bb.57:                               ;   in Loop: Header=BB14_26 Depth=2
	v_bfe_u32 v0, v0, s27, 10
	s_delay_alu instid0(VALU_DEP_1)
	v_lshlrev_b32_e32 v0, 2, v0
	ds_add_u32 v0, v47 offset:4224
	s_branch .LBB14_25
.LBB14_58:                              ;   in Loop: Header=BB14_18 Depth=1
	s_mov_b32 s27, -1
	s_mov_b32 s6, 0
                                        ; implicit-def: $sgpr7
                                        ; implicit-def: $vgpr31_vgpr32
	s_branch .LBB14_17
.LBB14_59:                              ;   in Loop: Header=BB14_18 Depth=1
	s_mov_b32 s28, 0
                                        ; implicit-def: $vgpr0
	s_cbranch_execnz .LBB14_80
	s_branch .LBB14_92
.LBB14_60:                              ;   in Loop: Header=BB14_18 Depth=1
	s_or_b32 exec_lo, exec_lo, s29
.LBB14_61:                              ;   in Loop: Header=BB14_18 Depth=1
	s_delay_alu instid0(SALU_CYCLE_1) | instskip(NEXT) | instid1(SALU_CYCLE_1)
	s_or_b32 exec_lo, exec_lo, s28
	s_mov_b32 s28, exec_lo
	v_cmpx_gt_i32_e64 s16, v34
	s_cbranch_execz .LBB14_72
; %bb.62:                               ;   in Loop: Header=BB14_18 Depth=1
	s_lshl_b32 s29, -1, s6
	s_mov_b32 s49, 0
	s_branch .LBB14_64
.LBB14_63:                              ;   in Loop: Header=BB14_64 Depth=2
	s_or_b32 exec_lo, exec_lo, s50
	v_add_nc_u32_e32 v34, s10, v34
	s_delay_alu instid0(VALU_DEP_1) | instskip(SKIP_1) | instid1(SALU_CYCLE_1)
	v_cmp_le_i32_e32 vcc_lo, s16, v34
	s_or_b32 s49, vcc_lo, s49
	s_and_not1_b32 exec_lo, exec_lo, s49
	s_cbranch_execz .LBB14_72
.LBB14_64:                              ;   Parent Loop BB14_18 Depth=1
                                        ; =>  This Inner Loop Header: Depth=2
	v_ashrrev_i32_e32 v35, 31, v34
	s_mov_b32 s50, exec_lo
	s_delay_alu instid0(VALU_DEP_1) | instskip(NEXT) | instid1(VALU_DEP_1)
	v_lshlrev_b64 v[0:1], 4, v[34:35]
	v_add_co_u32 v0, vcc_lo, s30, v0
	s_delay_alu instid0(VALU_DEP_2) | instskip(SKIP_4) | instid1(VALU_DEP_1)
	v_add_co_ci_u32_e32 v1, vcc_lo, s31, v1, vcc_lo
	global_load_b128 v[0:3], v[0:1], off
	s_waitcnt vmcnt(0)
	v_cmp_gt_i32_e32 vcc_lo, 0, v0
	v_cndmask_b32_e64 v4, 0x7fffffff, 0, vcc_lo
	v_xor_b32_e32 v0, v4, v0
	s_delay_alu instid0(VALU_DEP_1) | instskip(SKIP_1) | instid1(VALU_DEP_1)
	v_and_b32_e32 v4, s29, v0
	s_waitcnt lgkmcnt(0)
	v_cmpx_eq_u32_e64 v4, v36
	s_cbranch_execz .LBB14_66
; %bb.65:                               ;   in Loop: Header=BB14_64 Depth=2
	v_bfe_u32 v0, v0, s27, 10
	s_delay_alu instid0(VALU_DEP_1)
	v_lshlrev_b32_e32 v0, 2, v0
	ds_add_u32 v0, v47 offset:4224
.LBB14_66:                              ;   in Loop: Header=BB14_64 Depth=2
	s_or_b32 exec_lo, exec_lo, s50
	v_cmp_gt_i32_e32 vcc_lo, 0, v1
	s_mov_b32 s50, exec_lo
	v_cndmask_b32_e64 v0, 0x7fffffff, 0, vcc_lo
	s_delay_alu instid0(VALU_DEP_1) | instskip(NEXT) | instid1(VALU_DEP_1)
	v_xor_b32_e32 v0, v0, v1
	v_and_b32_e32 v1, s29, v0
	s_delay_alu instid0(VALU_DEP_1)
	v_cmpx_eq_u32_e64 v1, v36
	s_cbranch_execz .LBB14_68
; %bb.67:                               ;   in Loop: Header=BB14_64 Depth=2
	v_bfe_u32 v0, v0, s27, 10
	s_delay_alu instid0(VALU_DEP_1)
	v_lshlrev_b32_e32 v0, 2, v0
	ds_add_u32 v0, v47 offset:4224
.LBB14_68:                              ;   in Loop: Header=BB14_64 Depth=2
	s_or_b32 exec_lo, exec_lo, s50
	v_cmp_gt_i32_e32 vcc_lo, 0, v2
	s_mov_b32 s50, exec_lo
	v_cndmask_b32_e64 v0, 0x7fffffff, 0, vcc_lo
	s_delay_alu instid0(VALU_DEP_1) | instskip(NEXT) | instid1(VALU_DEP_1)
	v_xor_b32_e32 v0, v0, v2
	v_and_b32_e32 v1, s29, v0
	s_delay_alu instid0(VALU_DEP_1)
	;; [unrolled: 16-line block ×3, first 2 shown]
	v_cmpx_eq_u32_e64 v1, v36
	s_cbranch_execz .LBB14_63
; %bb.71:                               ;   in Loop: Header=BB14_64 Depth=2
	v_bfe_u32 v0, v0, s27, 10
	s_delay_alu instid0(VALU_DEP_1)
	v_lshlrev_b32_e32 v0, 2, v0
	ds_add_u32 v0, v47 offset:4224
	s_branch .LBB14_63
.LBB14_72:                              ;   in Loop: Header=BB14_18 Depth=1
	s_or_b32 exec_lo, exec_lo, s28
	s_and_saveexec_b32 s28, s1
	s_cbranch_execz .LBB14_75
; %bb.73:                               ;   in Loop: Header=BB14_18 Depth=1
	global_load_b32 v0, v[19:20], off
	s_lshl_b32 s29, -1, s6
	s_waitcnt vmcnt(0)
	v_cmp_gt_i32_e32 vcc_lo, 0, v0
	v_cndmask_b32_e64 v1, 0x7fffffff, 0, vcc_lo
	s_delay_alu instid0(VALU_DEP_1) | instskip(NEXT) | instid1(VALU_DEP_1)
	v_xor_b32_e32 v0, v1, v0
	v_and_b32_e32 v1, s29, v0
	s_waitcnt lgkmcnt(0)
	s_delay_alu instid0(VALU_DEP_1)
	v_cmp_eq_u32_e32 vcc_lo, v1, v36
	s_and_b32 exec_lo, exec_lo, vcc_lo
	s_cbranch_execz .LBB14_75
; %bb.74:                               ;   in Loop: Header=BB14_18 Depth=1
	v_bfe_u32 v0, v0, s27, 10
	s_delay_alu instid0(VALU_DEP_1)
	v_lshlrev_b32_e32 v0, 2, v0
	ds_add_u32 v0, v47 offset:4224
.LBB14_75:                              ;   in Loop: Header=BB14_18 Depth=1
	s_or_b32 exec_lo, exec_lo, s28
	s_mov_b32 s29, 0
	s_mov_b32 s28, 0
                                        ; implicit-def: $vgpr0
	s_and_saveexec_b32 s49, s0
	s_cbranch_execz .LBB14_79
; %bb.76:                               ;   in Loop: Header=BB14_18 Depth=1
	global_load_b32 v0, v[15:16], off
	s_lshl_b32 s6, -1, s6
	s_waitcnt vmcnt(0)
	v_cmp_gt_i32_e32 vcc_lo, 0, v0
	v_cndmask_b32_e64 v1, 0x7fffffff, 0, vcc_lo
	s_delay_alu instid0(VALU_DEP_1) | instskip(NEXT) | instid1(VALU_DEP_1)
	v_xor_b32_e32 v1, v1, v0
	v_and_b32_e32 v0, s6, v1
	s_mov_b32 s6, 0
	s_waitcnt lgkmcnt(0)
	s_delay_alu instid0(VALU_DEP_1) | instskip(SKIP_1) | instid1(SALU_CYCLE_1)
	v_cmp_eq_u32_e32 vcc_lo, v0, v36
                                        ; implicit-def: $vgpr0
	s_and_saveexec_b32 s28, vcc_lo
	s_xor_b32 s28, exec_lo, s28
; %bb.77:                               ;   in Loop: Header=BB14_18 Depth=1
	s_mov_b32 s6, exec_lo
	v_bfe_u32 v0, v1, s27, 10
; %bb.78:                               ;   in Loop: Header=BB14_18 Depth=1
	s_or_b32 exec_lo, exec_lo, s28
	s_delay_alu instid0(SALU_CYCLE_1)
	s_and_b32 s28, s6, exec_lo
.LBB14_79:                              ;   in Loop: Header=BB14_18 Depth=1
	s_or_b32 exec_lo, exec_lo, s49
	s_delay_alu instid0(SALU_CYCLE_1)
	s_and_b32 vcc_lo, exec_lo, s29
	s_cbranch_vccz .LBB14_92
.LBB14_80:                              ;   in Loop: Header=BB14_18 Depth=1
	v_mov_b32_e32 v0, v14
	s_and_saveexec_b32 s6, s3
	s_cbranch_execz .LBB14_84
; %bb.81:                               ;   in Loop: Header=BB14_18 Depth=1
	v_dual_mov_b32 v2, v25 :: v_dual_mov_b32 v3, v26
	v_dual_mov_b32 v0, v23 :: v_dual_mov_b32 v1, v24
	s_mov_b32 s29, 0
.LBB14_82:                              ;   Parent Loop BB14_18 Depth=1
                                        ; =>  This Inner Loop Header: Depth=2
	s_delay_alu instid0(VALU_DEP_1) | instskip(NEXT) | instid1(VALU_DEP_3)
	v_lshlrev_b64 v[8:9], 4, v[0:1]
	v_lshlrev_b64 v[1:2], 4, v[2:3]
	v_add_nc_u32_e32 v0, s33, v0
	s_delay_alu instid0(VALU_DEP_3) | instskip(NEXT) | instid1(VALU_DEP_4)
	v_add_co_u32 v4, vcc_lo, s30, v8
	v_add_co_ci_u32_e32 v5, vcc_lo, s31, v9, vcc_lo
	v_add_co_u32 v10, vcc_lo, s41, v8
	v_add_co_ci_u32_e32 v11, vcc_lo, s42, v9, vcc_lo
	global_load_b128 v[4:7], v[4:5], off
	v_add_co_u32 v34, vcc_lo, s43, v8
	v_add_co_ci_u32_e32 v35, vcc_lo, s44, v9, vcc_lo
	global_load_b128 v[8:11], v[10:11], off
	s_waitcnt lgkmcnt(0)
	v_add_co_u32 v36, vcc_lo, s30, v1
	v_add_co_ci_u32_e32 v37, vcc_lo, s31, v2, vcc_lo
	s_waitcnt vmcnt(1)
	v_cmp_gt_i32_e32 vcc_lo, 0, v4
	v_cndmask_b32_e64 v1, 0x7fffffff, 0, vcc_lo
	v_cmp_gt_i32_e32 vcc_lo, 0, v5
	s_delay_alu instid0(VALU_DEP_2) | instskip(SKIP_2) | instid1(VALU_DEP_3)
	v_xor_b32_e32 v1, v1, v4
	v_cndmask_b32_e64 v2, 0x7fffffff, 0, vcc_lo
	v_cmp_gt_i32_e32 vcc_lo, 0, v6
	v_bfe_u32 v1, v1, s27, 10
	s_delay_alu instid0(VALU_DEP_3) | instskip(SKIP_2) | instid1(VALU_DEP_4)
	v_xor_b32_e32 v2, v2, v5
	v_cndmask_b32_e64 v3, 0x7fffffff, 0, vcc_lo
	v_cmp_gt_i32_e32 vcc_lo, 0, v7
	v_lshlrev_b32_e32 v1, 2, v1
	s_delay_alu instid0(VALU_DEP_4) | instskip(NEXT) | instid1(VALU_DEP_4)
	v_bfe_u32 v2, v2, s27, 10
	v_xor_b32_e32 v3, v3, v6
	v_cndmask_b32_e64 v38, 0x7fffffff, 0, vcc_lo
	s_waitcnt vmcnt(0)
	v_cmp_gt_i32_e32 vcc_lo, 0, v8
	v_lshlrev_b32_e32 v2, 2, v2
	v_bfe_u32 v3, v3, s27, 10
	v_xor_b32_e32 v4, v38, v7
	v_cndmask_b32_e64 v5, 0x7fffffff, 0, vcc_lo
	v_cmp_gt_i32_e32 vcc_lo, 0, v9
	s_delay_alu instid0(VALU_DEP_4) | instskip(NEXT) | instid1(VALU_DEP_4)
	v_lshlrev_b32_e32 v3, 2, v3
	v_bfe_u32 v4, v4, s27, 10
	s_delay_alu instid0(VALU_DEP_4) | instskip(SKIP_2) | instid1(VALU_DEP_4)
	v_xor_b32_e32 v5, v5, v8
	v_cndmask_b32_e64 v6, 0x7fffffff, 0, vcc_lo
	v_cmp_gt_i32_e32 vcc_lo, 0, v10
	v_lshlrev_b32_e32 v4, 2, v4
	ds_add_u32 v1, v47 offset:4224
	ds_add_u32 v2, v47 offset:4224
	;; [unrolled: 1-line block ×4, first 2 shown]
	s_clause 0x1
	global_load_b128 v[1:4], v[34:35], off
	global_load_b128 v[34:37], v[36:37], off
	v_cndmask_b32_e64 v7, 0x7fffffff, 0, vcc_lo
	v_cmp_gt_i32_e32 vcc_lo, 0, v11
	v_xor_b32_e32 v6, v6, v9
	v_bfe_u32 v5, v5, s27, 10
	s_delay_alu instid0(VALU_DEP_4) | instskip(SKIP_1) | instid1(VALU_DEP_4)
	v_xor_b32_e32 v7, v7, v10
	v_cndmask_b32_e64 v38, 0x7fffffff, 0, vcc_lo
	v_bfe_u32 v6, v6, s27, 10
	s_delay_alu instid0(VALU_DEP_4) | instskip(NEXT) | instid1(VALU_DEP_4)
	v_lshlrev_b32_e32 v5, 2, v5
	v_bfe_u32 v7, v7, s27, 10
	s_delay_alu instid0(VALU_DEP_4) | instskip(NEXT) | instid1(VALU_DEP_4)
	v_xor_b32_e32 v8, v38, v11
	v_lshlrev_b32_e32 v6, 2, v6
	s_delay_alu instid0(VALU_DEP_3) | instskip(NEXT) | instid1(VALU_DEP_3)
	v_lshlrev_b32_e32 v7, 2, v7
	v_bfe_u32 v8, v8, s27, 10
	s_delay_alu instid0(VALU_DEP_1)
	v_lshlrev_b32_e32 v8, 2, v8
	ds_add_u32 v5, v47 offset:4224
	ds_add_u32 v6, v47 offset:4224
	;; [unrolled: 1-line block ×4, first 2 shown]
	s_waitcnt vmcnt(1)
	v_cmp_gt_i32_e32 vcc_lo, 0, v1
	v_cndmask_b32_e64 v5, 0x7fffffff, 0, vcc_lo
	v_cmp_gt_i32_e32 vcc_lo, 0, v2
	s_delay_alu instid0(VALU_DEP_2) | instskip(SKIP_2) | instid1(VALU_DEP_3)
	v_xor_b32_e32 v1, v5, v1
	v_cndmask_b32_e64 v6, 0x7fffffff, 0, vcc_lo
	v_cmp_gt_i32_e32 vcc_lo, 0, v3
	v_bfe_u32 v1, v1, s27, 10
	s_delay_alu instid0(VALU_DEP_3) | instskip(SKIP_2) | instid1(VALU_DEP_4)
	v_xor_b32_e32 v2, v6, v2
	v_cndmask_b32_e64 v7, 0x7fffffff, 0, vcc_lo
	v_cmp_gt_i32_e32 vcc_lo, 0, v4
	v_lshlrev_b32_e32 v1, 2, v1
	s_delay_alu instid0(VALU_DEP_4) | instskip(NEXT) | instid1(VALU_DEP_4)
	v_bfe_u32 v2, v2, s27, 10
	v_xor_b32_e32 v3, v7, v3
	v_cndmask_b32_e64 v8, 0x7fffffff, 0, vcc_lo
	s_waitcnt vmcnt(0)
	v_cmp_gt_i32_e32 vcc_lo, 0, v34
	v_lshlrev_b32_e32 v2, 2, v2
	v_bfe_u32 v3, v3, s27, 10
	v_xor_b32_e32 v4, v8, v4
	v_cndmask_b32_e64 v9, 0x7fffffff, 0, vcc_lo
	v_cmp_gt_i32_e32 vcc_lo, 0, v35
	s_delay_alu instid0(VALU_DEP_4) | instskip(NEXT) | instid1(VALU_DEP_4)
	v_lshlrev_b32_e32 v3, 2, v3
	v_bfe_u32 v4, v4, s27, 10
	s_delay_alu instid0(VALU_DEP_4) | instskip(SKIP_2) | instid1(VALU_DEP_4)
	v_xor_b32_e32 v5, v9, v34
	v_cndmask_b32_e64 v10, 0x7fffffff, 0, vcc_lo
	v_cmp_gt_i32_e32 vcc_lo, 0, v36
	v_lshlrev_b32_e32 v4, 2, v4
	s_delay_alu instid0(VALU_DEP_4) | instskip(NEXT) | instid1(VALU_DEP_4)
	v_bfe_u32 v5, v5, s27, 10
	v_xor_b32_e32 v6, v10, v35
	v_cndmask_b32_e64 v11, 0x7fffffff, 0, vcc_lo
	v_cmp_gt_i32_e32 vcc_lo, 0, v37
	s_delay_alu instid0(VALU_DEP_4) | instskip(NEXT) | instid1(VALU_DEP_4)
	v_lshlrev_b32_e32 v5, 2, v5
	v_bfe_u32 v6, v6, s27, 10
	s_delay_alu instid0(VALU_DEP_4) | instskip(SKIP_1) | instid1(VALU_DEP_3)
	v_xor_b32_e32 v7, v11, v36
	v_cndmask_b32_e64 v38, 0x7fffffff, 0, vcc_lo
	v_lshlrev_b32_e32 v6, 2, v6
	s_delay_alu instid0(VALU_DEP_3) | instskip(NEXT) | instid1(VALU_DEP_3)
	v_bfe_u32 v7, v7, s27, 10
	v_xor_b32_e32 v8, v38, v37
	s_delay_alu instid0(VALU_DEP_2) | instskip(NEXT) | instid1(VALU_DEP_2)
	v_lshlrev_b32_e32 v7, 2, v7
	v_bfe_u32 v8, v8, s27, 10
	s_delay_alu instid0(VALU_DEP_1)
	v_lshlrev_b32_e32 v8, 2, v8
	ds_add_u32 v1, v47 offset:4224
	ds_add_u32 v2, v47 offset:4224
	;; [unrolled: 1-line block ×8, first 2 shown]
	v_ashrrev_i32_e32 v1, 31, v0
	v_add_co_u32 v2, vcc_lo, s39, v0
	s_delay_alu instid0(VALU_DEP_2) | instskip(NEXT) | instid1(VALU_DEP_1)
	v_add_co_ci_u32_e32 v3, vcc_lo, s38, v1, vcc_lo
	v_cmp_le_u64_e32 vcc_lo, s[16:17], v[2:3]
	s_or_b32 s29, vcc_lo, s29
	s_delay_alu instid0(SALU_CYCLE_1)
	s_and_not1_b32 exec_lo, exec_lo, s29
	s_cbranch_execnz .LBB14_82
; %bb.83:                               ;   in Loop: Header=BB14_18 Depth=1
	s_or_b32 exec_lo, exec_lo, s29
.LBB14_84:                              ;   in Loop: Header=BB14_18 Depth=1
	s_delay_alu instid0(SALU_CYCLE_1) | instskip(NEXT) | instid1(SALU_CYCLE_1)
	s_or_b32 exec_lo, exec_lo, s6
	s_mov_b32 s6, exec_lo
	v_cmpx_gt_i32_e64 s16, v0
	s_cbranch_execz .LBB14_87
; %bb.85:                               ;   in Loop: Header=BB14_18 Depth=1
	s_mov_b32 s29, 0
.LBB14_86:                              ;   Parent Loop BB14_18 Depth=1
                                        ; =>  This Inner Loop Header: Depth=2
	v_ashrrev_i32_e32 v1, 31, v0
	s_delay_alu instid0(VALU_DEP_1) | instskip(SKIP_1) | instid1(VALU_DEP_2)
	v_lshlrev_b64 v[1:2], 4, v[0:1]
	v_add_nc_u32_e32 v0, s10, v0
	v_add_co_u32 v1, vcc_lo, s30, v1
	s_delay_alu instid0(VALU_DEP_3)
	v_add_co_ci_u32_e32 v2, vcc_lo, s31, v2, vcc_lo
	global_load_b128 v[1:4], v[1:2], off
	s_waitcnt vmcnt(0)
	v_cmp_gt_i32_e32 vcc_lo, 0, v1
	v_cndmask_b32_e64 v5, 0x7fffffff, 0, vcc_lo
	v_cmp_gt_i32_e32 vcc_lo, 0, v2
	s_delay_alu instid0(VALU_DEP_2) | instskip(SKIP_2) | instid1(VALU_DEP_3)
	v_xor_b32_e32 v1, v5, v1
	v_cndmask_b32_e64 v6, 0x7fffffff, 0, vcc_lo
	v_cmp_gt_i32_e32 vcc_lo, 0, v3
	v_bfe_u32 v1, v1, s27, 10
	s_delay_alu instid0(VALU_DEP_3) | instskip(SKIP_2) | instid1(VALU_DEP_4)
	v_xor_b32_e32 v2, v6, v2
	v_cndmask_b32_e64 v7, 0x7fffffff, 0, vcc_lo
	v_cmp_gt_i32_e32 vcc_lo, 0, v4
	v_lshlrev_b32_e32 v1, 2, v1
	s_delay_alu instid0(VALU_DEP_4) | instskip(NEXT) | instid1(VALU_DEP_4)
	v_bfe_u32 v2, v2, s27, 10
	v_xor_b32_e32 v3, v7, v3
	v_cndmask_b32_e64 v8, 0x7fffffff, 0, vcc_lo
	v_cmp_le_i32_e32 vcc_lo, s16, v0
	s_delay_alu instid0(VALU_DEP_4) | instskip(NEXT) | instid1(VALU_DEP_4)
	v_lshlrev_b32_e32 v2, 2, v2
	v_bfe_u32 v3, v3, s27, 10
	s_delay_alu instid0(VALU_DEP_4) | instskip(SKIP_1) | instid1(VALU_DEP_2)
	v_xor_b32_e32 v4, v8, v4
	s_or_b32 s29, vcc_lo, s29
	v_lshlrev_b32_e32 v3, 2, v3
	s_delay_alu instid0(VALU_DEP_2) | instskip(NEXT) | instid1(VALU_DEP_1)
	v_bfe_u32 v4, v4, s27, 10
	v_lshlrev_b32_e32 v4, 2, v4
	ds_add_u32 v1, v47 offset:4224
	ds_add_u32 v2, v47 offset:4224
	;; [unrolled: 1-line block ×4, first 2 shown]
	s_and_not1_b32 exec_lo, exec_lo, s29
	s_cbranch_execnz .LBB14_86
.LBB14_87:                              ;   in Loop: Header=BB14_18 Depth=1
	s_or_b32 exec_lo, exec_lo, s6
	s_and_saveexec_b32 s6, s1
	s_cbranch_execz .LBB14_89
; %bb.88:                               ;   in Loop: Header=BB14_18 Depth=1
	global_load_b32 v0, v[19:20], off
	s_waitcnt vmcnt(0)
	v_cmp_gt_i32_e32 vcc_lo, 0, v0
	v_cndmask_b32_e64 v1, 0x7fffffff, 0, vcc_lo
	s_delay_alu instid0(VALU_DEP_1) | instskip(NEXT) | instid1(VALU_DEP_1)
	v_xor_b32_e32 v0, v1, v0
	v_bfe_u32 v0, v0, s27, 10
	s_delay_alu instid0(VALU_DEP_1)
	v_lshlrev_b32_e32 v0, 2, v0
	ds_add_u32 v0, v47 offset:4224
.LBB14_89:                              ;   in Loop: Header=BB14_18 Depth=1
	s_or_b32 exec_lo, exec_lo, s6
                                        ; implicit-def: $vgpr0
	s_and_saveexec_b32 s6, s0
	s_cbranch_execz .LBB14_91
; %bb.90:                               ;   in Loop: Header=BB14_18 Depth=1
	global_load_b32 v0, v[15:16], off
	s_or_b32 s28, s28, exec_lo
	s_waitcnt vmcnt(0)
	v_cmp_gt_i32_e32 vcc_lo, 0, v0
	v_cndmask_b32_e64 v1, 0x7fffffff, 0, vcc_lo
	s_delay_alu instid0(VALU_DEP_1) | instskip(NEXT) | instid1(VALU_DEP_1)
	v_xor_b32_e32 v0, v1, v0
	v_bfe_u32 v0, v0, s27, 10
.LBB14_91:                              ;   in Loop: Header=BB14_18 Depth=1
	s_or_b32 exec_lo, exec_lo, s6
.LBB14_92:                              ;   in Loop: Header=BB14_18 Depth=1
	s_and_saveexec_b32 s6, s28
	s_cbranch_execz .LBB14_94
; %bb.93:                               ;   in Loop: Header=BB14_18 Depth=1
	s_delay_alu instid0(VALU_DEP_1)
	v_lshlrev_b32_e32 v0, 2, v0
	ds_add_u32 v0, v47 offset:4224
.LBB14_94:                              ;   in Loop: Header=BB14_18 Depth=1
	s_or_b32 exec_lo, exec_lo, s6
	v_mov_b32_e32 v0, v31
	v_dual_mov_b32 v2, v29 :: v_dual_mov_b32 v1, v32
	v_mov_b32_e32 v3, v27
	s_mov_b32 s28, 0
	s_waitcnt lgkmcnt(0)
	s_barrier
	buffer_gl0_inv
	s_branch .LBB14_96
	.p2align	6
.LBB14_95:                              ;   in Loop: Header=BB14_96 Depth=2
	s_or_b32 exec_lo, exec_lo, s6
	v_add_nc_u32_e32 v3, s40, v3
	v_add_co_u32 v0, s6, v0, s48
	s_delay_alu instid0(VALU_DEP_1) | instskip(NEXT) | instid1(VALU_DEP_3)
	v_add_co_ci_u32_e64 v1, s6, 0, v1, s6
	v_cmp_lt_u32_e32 vcc_lo, 0x3ff, v3
	v_add_nc_u32_e32 v2, s48, v2
	s_or_b32 s28, vcc_lo, s28
	s_delay_alu instid0(SALU_CYCLE_1)
	s_and_not1_b32 exec_lo, exec_lo, s28
	s_cbranch_execz .LBB14_98
.LBB14_96:                              ;   Parent Loop BB14_18 Depth=1
                                        ; =>  This Inner Loop Header: Depth=2
	ds_load_b32 v4, v2
	s_mov_b32 s6, exec_lo
	s_waitcnt lgkmcnt(0)
	v_cmpx_ne_u32_e32 0, v4
	s_cbranch_execz .LBB14_95
; %bb.97:                               ;   in Loop: Header=BB14_96 Depth=2
	global_atomic_add_u32 v[0:1], v4, off
	s_branch .LBB14_95
.LBB14_98:                              ;   in Loop: Header=BB14_18 Depth=1
	s_or_b32 exec_lo, exec_lo, s28
	s_mov_b32 s6, 0
	s_waitcnt_vscnt null, 0x0
	s_barrier
	buffer_gl0_inv
	s_and_saveexec_b32 s28, s2
	s_cbranch_execz .LBB14_100
; %bb.99:                               ;   in Loop: Header=BB14_18 Depth=1
	v_mov_b32_e32 v0, s45
	global_atomic_inc_u32 v0, v28, v0, s[8:9] offset:256 glc
	s_waitcnt vmcnt(0)
	v_cmp_eq_u32_e32 vcc_lo, s45, v0
	s_and_b32 s6, vcc_lo, exec_lo
.LBB14_100:                             ;   in Loop: Header=BB14_18 Depth=1
	s_or_b32 exec_lo, exec_lo, s28
	global_load_b32 v0, v28, s[24:25] offset:14
	v_cndmask_b32_e64 v1, 0, 1, s6
	s_delay_alu instid0(VALU_DEP_1) | instskip(NEXT) | instid1(VALU_DEP_1)
	v_or_b32_dpp v1, v1, v1 row_shl:1 row_mask:0xf bank_mask:0xf bound_ctrl:1
	v_or_b32_dpp v1, v1, v1 row_shl:2 row_mask:0xf bank_mask:0xf bound_ctrl:1
	s_delay_alu instid0(VALU_DEP_1) | instskip(NEXT) | instid1(VALU_DEP_1)
	v_or_b32_dpp v1, v1, v1 row_shl:4 row_mask:0xf bank_mask:0xf bound_ctrl:1
	v_or_b32_dpp v1, v1, v1 row_shl:8 row_mask:0xf bank_mask:0xf bound_ctrl:1
	s_waitcnt vmcnt(0)
	v_readfirstlane_b32 s28, v0
	s_delay_alu instid0(VALU_DEP_2) | instskip(NEXT) | instid1(VALU_DEP_2)
	v_mov_b32_dpp v0, v1 row_share:0 row_mask:0xf bank_mask:0xf bound_ctrl:1
	s_and_b32 s6, s28, 0xffff
	s_lshr_b32 s28, s28, 16
	s_mul_i32 s29, s46, s6
	s_delay_alu instid0(VALU_DEP_1) | instskip(SKIP_1) | instid1(SALU_CYCLE_1)
	v_permlanex16_b32 v1, v0, 0, 0 op_sel:[0,1]
	s_ashr_i32 s29, s29, 8
	s_mul_i32 s28, s29, s28
	s_delay_alu instid0(VALU_DEP_1) | instskip(SKIP_1) | instid1(SALU_CYCLE_1)
	v_or_b32_e32 v2, v1, v0
	s_add_i32 s28, s28, 31
	s_and_not1_b32 s28, s28, 31
	s_delay_alu instid0(SALU_CYCLE_1)
	s_cmp_eq_u32 s28, 32
	s_cbranch_scc1 .LBB14_109
; %bb.101:                              ;   in Loop: Header=BB14_18 Depth=1
	v_mad_u32_u24 v3, v42, s6, v43
	s_mov_b32 s6, exec_lo
	s_delay_alu instid0(VALU_DEP_1) | instskip(NEXT) | instid1(VALU_DEP_1)
	v_mad_u64_u32 v[0:1], null, v3, s40, v[27:28]
	v_lshrrev_b32_e32 v1, 5, v0
	s_delay_alu instid0(VALU_DEP_1) | instskip(NEXT) | instid1(VALU_DEP_1)
	v_or_b32_e32 v1, v49, v1
	v_cmpx_eq_u32_e32 0, v1
	s_cbranch_execz .LBB14_103
; %bb.102:                              ;   in Loop: Header=BB14_18 Depth=1
	ds_store_b32 v28, v2 offset:8320
.LBB14_103:                             ;   in Loop: Header=BB14_18 Depth=1
	s_or_b32 exec_lo, exec_lo, s6
	v_cmp_eq_u32_e32 vcc_lo, 0, v49
	v_cmp_lt_u32_e64 s6, 31, v0
	s_waitcnt lgkmcnt(0)
	s_barrier
	buffer_gl0_inv
	s_and_b32 s28, s6, vcc_lo
	s_delay_alu instid0(SALU_CYCLE_1)
	s_and_saveexec_b32 s6, s28
	s_cbranch_execz .LBB14_108
; %bb.104:                              ;   in Loop: Header=BB14_18 Depth=1
	s_mov_b32 s29, exec_lo
	s_mov_b32 s28, 0
.LBB14_105:                             ;   Parent Loop BB14_18 Depth=1
                                        ; =>  This Inner Loop Header: Depth=2
	s_ctz_i32_b32 s49, s29
	s_delay_alu instid0(SALU_CYCLE_1) | instskip(SKIP_1) | instid1(SALU_CYCLE_1)
	v_readlane_b32 s50, v2, s49
	s_lshl_b32 s49, 1, s49
	s_and_not1_b32 s29, s29, s49
	s_delay_alu instid0(VALU_DEP_1)
	s_or_b32 s28, s28, s50
	s_cmp_lg_u32 s29, 0
	s_cbranch_scc1 .LBB14_105
; %bb.106:                              ;   in Loop: Header=BB14_18 Depth=1
	v_mbcnt_lo_u32_b32 v0, exec_lo, 0
	s_mov_b32 s29, exec_lo
	s_delay_alu instid0(VALU_DEP_1)
	v_cmpx_eq_u32_e32 0, v0
	s_xor_b32 s29, exec_lo, s29
	s_cbranch_execz .LBB14_108
; %bb.107:                              ;   in Loop: Header=BB14_18 Depth=1
	v_mov_b32_e32 v0, s28
	ds_or_b32 v28, v0 offset:8320
.LBB14_108:                             ;   in Loop: Header=BB14_18 Depth=1
	s_or_b32 exec_lo, exec_lo, s6
	s_waitcnt lgkmcnt(0)
	s_barrier
	buffer_gl0_inv
	ds_load_b32 v2, v28 offset:8320
	s_waitcnt lgkmcnt(0)
	s_barrier
	buffer_gl0_inv
.LBB14_109:                             ;   in Loop: Header=BB14_18 Depth=1
	s_mov_b32 s6, exec_lo
	v_cmpx_ne_u32_e32 0, v2
	s_xor_b32 s6, exec_lo, s6
	s_cbranch_execz .LBB14_113
; %bb.110:                              ;   in Loop: Header=BB14_18 Depth=1
	s_and_saveexec_b32 s28, s2
	s_cbranch_execz .LBB14_112
; %bb.111:                              ;   in Loop: Header=BB14_18 Depth=1
	s_add_i32 s29, s7, 1
	v_dual_mov_b32 v0, s8 :: v_dual_mov_b32 v1, s9
	v_mov_b32_e32 v2, s29
	flat_store_b32 v[0:1], v2 offset:640
.LBB14_112:                             ;   in Loop: Header=BB14_18 Depth=1
	s_or_b32 exec_lo, exec_lo, s28
.LBB14_113:                             ;   in Loop: Header=BB14_18 Depth=1
	s_and_not1_saveexec_b32 s6, s6
	s_cbranch_execz .LBB14_119
; %bb.114:                              ;   in Loop: Header=BB14_18 Depth=1
	s_and_saveexec_b32 s28, s2
	s_cbranch_execz .LBB14_118
; %bb.115:                              ;   in Loop: Header=BB14_18 Depth=1
	v_dual_mov_b32 v0, s8 :: v_dual_mov_b32 v1, s9
	flat_load_b32 v0, v[0:1] offset:640 glc
	s_waitcnt vmcnt(0) lgkmcnt(0)
	buffer_gl1_inv
	buffer_gl0_inv
	v_cmp_ge_u32_e32 vcc_lo, s7, v0
	s_and_b32 exec_lo, exec_lo, vcc_lo
	s_cbranch_execz .LBB14_118
; %bb.116:                              ;   in Loop: Header=BB14_18 Depth=1
	s_mov_b32 s29, 0
.LBB14_117:                             ;   Parent Loop BB14_18 Depth=1
                                        ; =>  This Inner Loop Header: Depth=2
	v_dual_mov_b32 v0, s8 :: v_dual_mov_b32 v1, s9
	s_sleep 1
	flat_load_b32 v0, v[0:1] offset:640 glc
	s_waitcnt vmcnt(0) lgkmcnt(0)
	buffer_gl1_inv
	buffer_gl0_inv
	v_readfirstlane_b32 s49, v0
	s_delay_alu instid0(VALU_DEP_1) | instskip(SKIP_1) | instid1(SALU_CYCLE_1)
	s_cmp_gt_u32 s49, s7
	s_cselect_b32 s49, -1, 0
	s_and_b32 s49, exec_lo, s49
	s_delay_alu instid0(SALU_CYCLE_1) | instskip(NEXT) | instid1(SALU_CYCLE_1)
	s_or_b32 s29, s49, s29
	s_and_not1_b32 exec_lo, exec_lo, s29
	s_cbranch_execnz .LBB14_117
.LBB14_118:                             ;   in Loop: Header=BB14_18 Depth=1
	s_or_b32 exec_lo, exec_lo, s28
	s_waitcnt lgkmcnt(0)
	s_waitcnt_vscnt null, 0x0
	s_barrier
	buffer_gl0_inv
.LBB14_119:                             ;   in Loop: Header=BB14_18 Depth=1
	s_or_b32 exec_lo, exec_lo, s6
	v_mov_b32_e32 v0, v31
	v_dual_mov_b32 v2, v29 :: v_dual_mov_b32 v1, v32
	v_mov_b32_e32 v3, v27
	s_mov_b32 s28, 0
.LBB14_120:                             ;   Parent Loop BB14_18 Depth=1
                                        ; =>  This Inner Loop Header: Depth=2
	global_load_b32 v4, v[0:1], off
	v_add_nc_u32_e32 v3, s40, v3
	v_add_co_u32 v0, vcc_lo, v0, s48
	v_add_co_ci_u32_e32 v1, vcc_lo, 0, v1, vcc_lo
	s_delay_alu instid0(VALU_DEP_3) | instskip(NEXT) | instid1(VALU_DEP_1)
	v_cmp_lt_u32_e64 s6, 0x3ff, v3
	s_or_b32 s28, s6, s28
	s_waitcnt vmcnt(0)
	ds_store_b32 v2, v4
	v_add_nc_u32_e32 v2, s48, v2
	s_and_not1_b32 exec_lo, exec_lo, s28
	s_cbranch_execnz .LBB14_120
; %bb.121:                              ;   in Loop: Header=BB14_18 Depth=1
	s_or_b32 exec_lo, exec_lo, s28
	s_waitcnt lgkmcnt(0)
	s_waitcnt_vscnt null, 0x0
	s_barrier
	buffer_gl0_inv
	flat_load_b32 v0, v[29:30] glc dlc
	s_waitcnt vmcnt(0) lgkmcnt(0)
	ds_store_b32 v13, v0
	s_waitcnt lgkmcnt(0)
	s_barrier
	buffer_gl0_inv
	ds_load_b32 v0, v13
	s_waitcnt lgkmcnt(0)
	s_barrier
	buffer_gl0_inv
	ds_store_b32 v44, v0
	s_waitcnt lgkmcnt(0)
	s_barrier
	buffer_gl0_inv
	s_and_saveexec_b32 s6, s4
	s_cbranch_execz .LBB14_123
; %bb.122:                              ;   in Loop: Header=BB14_18 Depth=1
	ds_load_2addr_b32 v[1:2], v48 offset1:1
	ds_load_2addr_b32 v[3:4], v48 offset0:2 offset1:3
	ds_load_2addr_b32 v[5:6], v48 offset0:4 offset1:5
	;; [unrolled: 1-line block ×15, first 2 shown]
	v_and_b32_e32 v64, 15, v49
	v_bfe_i32 v66, v49, 4, 1
	s_delay_alu instid0(VALU_DEP_2) | instskip(SKIP_3) | instid1(VALU_DEP_1)
	v_cmp_ne_u32_e32 vcc_lo, 0, v64
	s_waitcnt lgkmcnt(15)
	v_add_nc_u32_e32 v11, v2, v1
	s_waitcnt lgkmcnt(14)
	v_add3_u32 v11, v11, v3, v4
	s_waitcnt lgkmcnt(13)
	s_delay_alu instid0(VALU_DEP_1) | instskip(SKIP_1) | instid1(VALU_DEP_1)
	v_add3_u32 v11, v11, v5, v6
	s_waitcnt lgkmcnt(12)
	v_add3_u32 v11, v11, v7, v8
	s_waitcnt lgkmcnt(11)
	s_delay_alu instid0(VALU_DEP_1) | instskip(SKIP_1) | instid1(VALU_DEP_1)
	v_add3_u32 v11, v11, v9, v10
	;; [unrolled: 5-line block ×7, first 2 shown]
	s_waitcnt lgkmcnt(0)
	v_add3_u32 v11, v11, v62, v63
	s_delay_alu instid0(VALU_DEP_1) | instskip(NEXT) | instid1(VALU_DEP_1)
	v_mov_b32_dpp v65, v11 row_shr:1 row_mask:0xf bank_mask:0xf
	v_cndmask_b32_e32 v65, 0, v65, vcc_lo
	v_cmp_lt_u32_e32 vcc_lo, 1, v64
	s_delay_alu instid0(VALU_DEP_2) | instskip(NEXT) | instid1(VALU_DEP_1)
	v_add_nc_u32_e32 v11, v65, v11
	v_mov_b32_dpp v65, v11 row_shr:2 row_mask:0xf bank_mask:0xf
	s_delay_alu instid0(VALU_DEP_1) | instskip(SKIP_1) | instid1(VALU_DEP_2)
	v_cndmask_b32_e32 v65, 0, v65, vcc_lo
	v_cmp_lt_u32_e32 vcc_lo, 3, v64
	v_add_nc_u32_e32 v11, v11, v65
	s_delay_alu instid0(VALU_DEP_1) | instskip(NEXT) | instid1(VALU_DEP_1)
	v_mov_b32_dpp v65, v11 row_shr:4 row_mask:0xf bank_mask:0xf
	v_cndmask_b32_e32 v65, 0, v65, vcc_lo
	v_cmp_lt_u32_e32 vcc_lo, 7, v64
	s_delay_alu instid0(VALU_DEP_2) | instskip(NEXT) | instid1(VALU_DEP_1)
	v_add_nc_u32_e32 v11, v11, v65
	v_mov_b32_dpp v65, v11 row_shr:8 row_mask:0xf bank_mask:0xf
	s_delay_alu instid0(VALU_DEP_1) | instskip(SKIP_1) | instid1(VALU_DEP_2)
	v_cndmask_b32_e32 v64, 0, v65, vcc_lo
	v_add_nc_u32_e32 v65, -1, v49
	v_add_nc_u32_e32 v11, v11, v64
	s_delay_alu instid0(VALU_DEP_2) | instskip(SKIP_2) | instid1(VALU_DEP_1)
	v_cmp_gt_i32_e32 vcc_lo, 0, v65
	ds_swizzle_b32 v64, v11 offset:swizzle(BROADCAST,32,15)
	v_cndmask_b32_e32 v65, v65, v49, vcc_lo
	v_lshlrev_b32_e32 v65, 2, v65
	s_waitcnt lgkmcnt(0)
	v_and_b32_e32 v64, v66, v64
	s_delay_alu instid0(VALU_DEP_1) | instskip(SKIP_3) | instid1(VALU_DEP_1)
	v_add_nc_u32_e32 v11, v11, v64
	ds_bpermute_b32 v11, v65, v11
	s_waitcnt lgkmcnt(0)
	v_add_nc_u32_e32 v1, v11, v1
	v_cndmask_b32_e64 v0, v1, v0, s2
	s_delay_alu instid0(VALU_DEP_1) | instskip(NEXT) | instid1(VALU_DEP_1)
	v_add_nc_u32_e32 v1, v0, v2
	v_add_nc_u32_e32 v2, v1, v3
	s_delay_alu instid0(VALU_DEP_1) | instskip(NEXT) | instid1(VALU_DEP_1)
	v_add_nc_u32_e32 v3, v2, v4
	v_add_nc_u32_e32 v4, v3, v5
	;; [unrolled: 3-line block ×3, first 2 shown]
	s_delay_alu instid0(VALU_DEP_1)
	v_add_nc_u32_e32 v7, v6, v8
	ds_store_2addr_b32 v48, v0, v1 offset1:1
	ds_store_2addr_b32 v48, v2, v3 offset0:2 offset1:3
	ds_store_2addr_b32 v48, v4, v5 offset0:4 offset1:5
	;; [unrolled: 1-line block ×3, first 2 shown]
	v_add_nc_u32_e32 v8, v7, v9
	s_delay_alu instid0(VALU_DEP_1) | instskip(NEXT) | instid1(VALU_DEP_1)
	v_add_nc_u32_e32 v9, v8, v10
	v_add_nc_u32_e32 v10, v9, v34
	s_delay_alu instid0(VALU_DEP_1) | instskip(NEXT) | instid1(VALU_DEP_1)
	v_add_nc_u32_e32 v11, v10, v35
	;; [unrolled: 3-line block ×3, first 2 shown]
	v_add_nc_u32_e32 v36, v35, v38
	s_delay_alu instid0(VALU_DEP_1)
	v_add_nc_u32_e32 v37, v36, v39
	ds_store_2addr_b32 v48, v8, v9 offset0:8 offset1:9
	ds_store_2addr_b32 v48, v10, v11 offset0:10 offset1:11
	;; [unrolled: 1-line block ×4, first 2 shown]
	v_add_nc_u32_e32 v38, v37, v40
	s_delay_alu instid0(VALU_DEP_1) | instskip(NEXT) | instid1(VALU_DEP_1)
	v_add_nc_u32_e32 v39, v38, v41
	v_add_nc_u32_e32 v40, v39, v50
	s_delay_alu instid0(VALU_DEP_1) | instskip(NEXT) | instid1(VALU_DEP_1)
	v_add_nc_u32_e32 v41, v40, v51
	;; [unrolled: 3-line block ×7, first 2 shown]
	v_add_nc_u32_e32 v0, v59, v62
	s_delay_alu instid0(VALU_DEP_1)
	v_add_nc_u32_e32 v1, v0, v63
	ds_store_2addr_b32 v48, v38, v39 offset0:16 offset1:17
	ds_store_2addr_b32 v48, v40, v41 offset0:18 offset1:19
	;; [unrolled: 1-line block ×8, first 2 shown]
.LBB14_123:                             ;   in Loop: Header=BB14_18 Depth=1
	s_or_b32 exec_lo, exec_lo, s6
	s_waitcnt lgkmcnt(0)
	s_barrier
	buffer_gl0_inv
	ds_load_b32 v0, v44
	s_waitcnt lgkmcnt(0)
	s_barrier
	buffer_gl0_inv
	v_dual_mov_b32 v3, v45 :: v_dual_mov_b32 v4, v27
	s_mov_b32 s28, 0
	ds_store_b32 v13, v0
	s_waitcnt lgkmcnt(0)
	s_barrier
	buffer_gl0_inv
	ds_load_b32 v0, v13
	s_waitcnt lgkmcnt(0)
	flat_store_b32 v[29:30], v0 dlc
	s_waitcnt_vscnt null, 0x0
	s_waitcnt lgkmcnt(0)
	s_barrier
	buffer_gl0_inv
	ds_load_b32 v0, v28 offset:8576
	s_set_inst_prefetch_distance 0x1
	s_branch .LBB14_125
	.p2align	6
.LBB14_124:                             ;   in Loop: Header=BB14_125 Depth=2
	s_or_b32 exec_lo, exec_lo, s6
	v_add_nc_u32_e32 v4, s40, v4
	v_add_nc_u32_e32 v3, s48, v3
	s_delay_alu instid0(VALU_DEP_2) | instskip(SKIP_1) | instid1(SALU_CYCLE_1)
	v_cmp_lt_u32_e32 vcc_lo, 0x3ff, v4
	s_or_b32 s28, vcc_lo, s28
	s_and_not1_b32 exec_lo, exec_lo, s28
	s_cbranch_execz .LBB14_129
.LBB14_125:                             ;   Parent Loop BB14_18 Depth=1
                                        ; =>  This Inner Loop Header: Depth=2
	v_mov_b32_e32 v2, 0
	s_mov_b32 s6, exec_lo
	v_cmpx_ne_u32_e32 0, v4
	s_cbranch_execz .LBB14_127
; %bb.126:                              ;   in Loop: Header=BB14_125 Depth=2
	ds_load_b32 v2, v3
.LBB14_127:                             ;   in Loop: Header=BB14_125 Depth=2
	s_or_b32 exec_lo, exec_lo, s6
	ds_load_b32 v5, v3 offset:4
	s_waitcnt lgkmcnt(1)
	v_cmp_gt_i32_e32 vcc_lo, v33, v2
	s_waitcnt lgkmcnt(0)
	v_cmp_ge_i32_e64 s6, v5, v33
	s_delay_alu instid0(VALU_DEP_1) | instskip(NEXT) | instid1(SALU_CYCLE_1)
	s_and_b32 s29, vcc_lo, s6
	s_and_saveexec_b32 s6, s29
	s_cbranch_execz .LBB14_124
; %bb.128:                              ;   in Loop: Header=BB14_125 Depth=2
	v_sub_nc_u32_e32 v1, v33, v2
	v_sub_nc_u32_e32 v2, v5, v2
	v_lshl_or_b32 v0, v4, s27, v0
	ds_store_b96 v28, v[0:2] offset:8576
	s_branch .LBB14_124
.LBB14_129:                             ;   in Loop: Header=BB14_18 Depth=1
	s_set_inst_prefetch_distance 0x2
	s_or_b32 exec_lo, exec_lo, s28
	s_cmp_eq_u32 s7, 3
	s_waitcnt lgkmcnt(0)
	s_barrier
	buffer_gl0_inv
	s_cbranch_scc0 .LBB14_494
; %bb.130:                              ;   in Loop: Header=BB14_18 Depth=1
	ds_load_b64 v[33:34], v28 offset:8576
	s_and_saveexec_b32 s6, s5
	s_cbranch_execz .LBB14_133
; %bb.131:                              ;   in Loop: Header=BB14_18 Depth=1
	s_waitcnt lgkmcnt(0)
	s_clause 0x1
	global_store_b32 v28, v34, s[8:9]
	global_store_b32 v28, v33, s[8:9] offset:12
	s_or_b32 exec_lo, exec_lo, s6
	v_mov_b32_e32 v35, v14
	s_and_saveexec_b32 s6, s3
	s_cbranch_execnz .LBB14_134
.LBB14_132:                             ;   in Loop: Header=BB14_18 Depth=1
	s_or_b32 exec_lo, exec_lo, s6
	s_delay_alu instid0(SALU_CYCLE_1)
	s_mov_b32 s6, exec_lo
	v_cmpx_gt_i32_e64 s16, v35
	s_cbranch_execnz .LBB14_393
	s_branch .LBB14_459
.LBB14_133:                             ;   in Loop: Header=BB14_18 Depth=1
	s_or_b32 exec_lo, exec_lo, s6
	v_mov_b32_e32 v35, v14
	s_and_saveexec_b32 s6, s3
	s_cbranch_execz .LBB14_132
.LBB14_134:                             ;   in Loop: Header=BB14_18 Depth=1
	v_dual_mov_b32 v38, v26 :: v_dual_mov_b32 v37, v25
	v_dual_mov_b32 v36, v24 :: v_dual_mov_b32 v35, v23
	s_mov_b32 s27, 0
	s_branch .LBB14_136
.LBB14_135:                             ;   in Loop: Header=BB14_136 Depth=2
	s_or_b32 exec_lo, exec_lo, s29
	v_add_nc_u32_e32 v35, s33, v35
	s_delay_alu instid0(VALU_DEP_1) | instskip(SKIP_1) | instid1(VALU_DEP_2)
	v_ashrrev_i32_e32 v36, 31, v35
	v_add_co_u32 v37, vcc_lo, s39, v35
	v_add_co_ci_u32_e32 v38, vcc_lo, s38, v36, vcc_lo
	s_delay_alu instid0(VALU_DEP_1) | instskip(SKIP_1) | instid1(SALU_CYCLE_1)
	v_cmp_le_u64_e32 vcc_lo, s[16:17], v[37:38]
	s_or_b32 s27, vcc_lo, s27
	s_and_not1_b32 exec_lo, exec_lo, s27
	s_cbranch_execz .LBB14_392
.LBB14_136:                             ;   Parent Loop BB14_18 Depth=1
                                        ; =>  This Inner Loop Header: Depth=2
	s_delay_alu instid0(VALU_DEP_1) | instskip(SKIP_3) | instid1(VALU_DEP_1)
	v_lshlrev_b64 v[0:1], 4, v[35:36]
	s_mov_b32 s49, 0
	s_mov_b32 s29, 0
	s_mov_b32 s28, exec_lo
                                        ; implicit-def: $vgpr39
	v_add_co_u32 v4, vcc_lo, s30, v0
	s_delay_alu instid0(VALU_DEP_2) | instskip(NEXT) | instid1(VALU_DEP_2)
	v_add_co_ci_u32_e32 v5, vcc_lo, s31, v1, vcc_lo
	v_add_co_u32 v8, vcc_lo, v4, s20
	global_load_b128 v[0:3], v[4:5], off
	v_add_co_ci_u32_e32 v9, vcc_lo, s21, v5, vcc_lo
	global_load_b128 v[4:7], v[8:9], off
	s_waitcnt vmcnt(1)
	v_cmp_gt_i32_e32 vcc_lo, 0, v0
	v_cndmask_b32_e64 v10, 0x7fffffff, 0, vcc_lo
	s_delay_alu instid0(VALU_DEP_1) | instskip(SKIP_2) | instid1(VALU_DEP_2)
	v_xor_b32_e32 v11, v10, v0
	v_lshl_add_u32 v10, v35, 2, s18
                                        ; implicit-def: $vgpr0
	s_waitcnt lgkmcnt(0)
	v_cmpx_ge_u32_e64 v11, v33
	s_xor_b32 s28, exec_lo, s28
	s_cbranch_execz .LBB14_146
; %bb.137:                              ;   in Loop: Header=BB14_136 Depth=2
	s_mov_b32 s50, 0
	s_mov_b32 s29, exec_lo
                                        ; implicit-def: $vgpr39
	v_cmpx_eq_u32_e64 v11, v33
	s_cbranch_execz .LBB14_143
; %bb.138:                              ;   in Loop: Header=BB14_136 Depth=2
	s_mov_b32 s50, exec_lo
	s_mov_b32 s49, exec_lo
	v_mbcnt_lo_u32_b32 v0, s50, 0
                                        ; implicit-def: $vgpr11
	s_delay_alu instid0(VALU_DEP_1)
	v_cmpx_eq_u32_e32 0, v0
	s_cbranch_execz .LBB14_140
; %bb.139:                              ;   in Loop: Header=BB14_136 Depth=2
	s_bcnt1_i32_b32 s50, s50
	s_delay_alu instid0(SALU_CYCLE_1)
	v_mov_b32_e32 v11, s50
	global_atomic_add_u32 v11, v28, v11, s[8:9] offset:512 glc
.LBB14_140:                             ;   in Loop: Header=BB14_136 Depth=2
	s_or_b32 exec_lo, exec_lo, s49
	s_waitcnt vmcnt(0)
	v_readfirstlane_b32 s49, v11
	s_mov_b32 s50, 0
	s_mov_b32 s51, exec_lo
                                        ; implicit-def: $vgpr39
	s_delay_alu instid0(VALU_DEP_1) | instskip(SKIP_1) | instid1(VALU_DEP_1)
	v_add_nc_u32_e32 v0, s49, v0
	s_mov_b32 s49, 0
	v_cmpx_lt_i32_e64 v0, v34
	s_xor_b32 s51, exec_lo, s51
; %bb.141:                              ;   in Loop: Header=BB14_136 Depth=2
	v_xad_u32 v39, v0, -1, s22
	s_and_b32 s50, s47, exec_lo
	s_and_b32 s49, s11, exec_lo
; %bb.142:                              ;   in Loop: Header=BB14_136 Depth=2
	s_or_b32 exec_lo, exec_lo, s51
	s_delay_alu instid0(SALU_CYCLE_1)
	s_and_b32 s50, s50, exec_lo
	s_and_b32 s49, s49, exec_lo
.LBB14_143:                             ;   in Loop: Header=BB14_136 Depth=2
	s_or_b32 exec_lo, exec_lo, s29
	v_mov_b32_e32 v0, v10
	s_and_b32 s29, s50, exec_lo
	s_and_b32 s49, s49, exec_lo
	s_and_not1_saveexec_b32 s28, s28
	s_cbranch_execnz .LBB14_147
.LBB14_144:                             ;   in Loop: Header=BB14_136 Depth=2
	s_or_b32 exec_lo, exec_lo, s28
	v_ashrrev_i32_e32 v11, 31, v10
	s_and_saveexec_b32 s28, s49
	s_cbranch_execz .LBB14_150
.LBB14_145:                             ;   in Loop: Header=BB14_136 Depth=2
	s_delay_alu instid0(VALU_DEP_1) | instskip(SKIP_1) | instid1(VALU_DEP_1)
	v_lshlrev_b64 v[40:41], 2, v[10:11]
	s_or_b32 s29, s29, exec_lo
	v_add_co_u32 v40, vcc_lo, s12, v40
	s_delay_alu instid0(VALU_DEP_2)
	v_add_co_ci_u32_e32 v41, vcc_lo, s13, v41, vcc_lo
	global_load_b32 v0, v[40:41], off
	s_or_b32 exec_lo, exec_lo, s28
	s_and_saveexec_b32 s28, s29
	s_cbranch_execnz .LBB14_151
	s_branch .LBB14_152
.LBB14_146:                             ;   in Loop: Header=BB14_136 Depth=2
	s_and_not1_saveexec_b32 s28, s28
	s_cbranch_execz .LBB14_144
.LBB14_147:                             ;   in Loop: Header=BB14_136 Depth=2
	s_mov_b32 s51, exec_lo
	s_mov_b32 s50, exec_lo
	v_mbcnt_lo_u32_b32 v0, s51, 0
                                        ; implicit-def: $vgpr11
	s_delay_alu instid0(VALU_DEP_1)
	v_cmpx_eq_u32_e32 0, v0
	s_cbranch_execz .LBB14_149
; %bb.148:                              ;   in Loop: Header=BB14_136 Depth=2
	s_bcnt1_i32_b32 s51, s51
	s_delay_alu instid0(SALU_CYCLE_1)
	v_mov_b32_e32 v11, s51
	global_atomic_add_u32 v11, v28, v11, s[8:9] offset:384 glc
.LBB14_149:                             ;   in Loop: Header=BB14_136 Depth=2
	s_or_b32 exec_lo, exec_lo, s50
	s_waitcnt vmcnt(0)
	v_readfirstlane_b32 s50, v11
	s_and_not1_b32 s29, s29, exec_lo
	s_and_b32 s51, s47, exec_lo
	s_and_not1_b32 s49, s49, exec_lo
	s_or_b32 s29, s29, s51
	v_dual_mov_b32 v0, v10 :: v_dual_add_nc_u32 v39, s50, v0
	s_and_b32 s50, s11, exec_lo
	s_delay_alu instid0(SALU_CYCLE_1)
	s_or_b32 s49, s49, s50
	s_or_b32 exec_lo, exec_lo, s28
	v_ashrrev_i32_e32 v11, 31, v10
	s_and_saveexec_b32 s28, s49
	s_cbranch_execnz .LBB14_145
.LBB14_150:                             ;   in Loop: Header=BB14_136 Depth=2
	s_or_b32 exec_lo, exec_lo, s28
	s_and_saveexec_b32 s28, s29
	s_cbranch_execz .LBB14_152
.LBB14_151:                             ;   in Loop: Header=BB14_136 Depth=2
	v_ashrrev_i32_e32 v40, 31, v39
	s_delay_alu instid0(VALU_DEP_1) | instskip(NEXT) | instid1(VALU_DEP_1)
	v_lshlrev_b64 v[39:40], 2, v[39:40]
	v_add_co_u32 v39, vcc_lo, s15, v39
	s_delay_alu instid0(VALU_DEP_2)
	v_add_co_ci_u32_e32 v40, vcc_lo, s23, v40, vcc_lo
	s_waitcnt vmcnt(0)
	global_store_b32 v[39:40], v0, off
.LBB14_152:                             ;   in Loop: Header=BB14_136 Depth=2
	s_or_b32 exec_lo, exec_lo, s28
	v_cmp_gt_i32_e32 vcc_lo, 0, v1
	v_add_nc_u32_e32 v36, 1, v10
	s_mov_b32 s49, 0
	s_mov_b32 s28, 0
	s_mov_b32 s29, exec_lo
	s_waitcnt vmcnt(0)
	v_cndmask_b32_e64 v0, 0x7fffffff, 0, vcc_lo
	s_delay_alu instid0(VALU_DEP_1) | instskip(NEXT) | instid1(VALU_DEP_1)
	v_xor_b32_e32 v1, v0, v1
                                        ; implicit-def: $vgpr0
	v_cmpx_ge_u32_e64 v1, v33
	s_xor_b32 s29, exec_lo, s29
	s_cbranch_execz .LBB14_162
; %bb.153:                              ;   in Loop: Header=BB14_136 Depth=2
	s_mov_b32 s50, 0
	s_mov_b32 s28, exec_lo
                                        ; implicit-def: $vgpr0
	v_cmpx_eq_u32_e64 v1, v33
	s_cbranch_execz .LBB14_159
; %bb.154:                              ;   in Loop: Header=BB14_136 Depth=2
	s_mov_b32 s50, exec_lo
	s_mov_b32 s49, exec_lo
	v_mbcnt_lo_u32_b32 v0, s50, 0
                                        ; implicit-def: $vgpr1
	s_delay_alu instid0(VALU_DEP_1)
	v_cmpx_eq_u32_e32 0, v0
	s_cbranch_execz .LBB14_156
; %bb.155:                              ;   in Loop: Header=BB14_136 Depth=2
	s_bcnt1_i32_b32 s50, s50
	s_delay_alu instid0(SALU_CYCLE_1)
	v_mov_b32_e32 v1, s50
	global_atomic_add_u32 v1, v28, v1, s[8:9] offset:512 glc
.LBB14_156:                             ;   in Loop: Header=BB14_136 Depth=2
	s_or_b32 exec_lo, exec_lo, s49
	s_waitcnt vmcnt(0)
	v_readfirstlane_b32 s49, v1
	s_mov_b32 s50, 0
	s_mov_b32 s51, exec_lo
	s_delay_alu instid0(VALU_DEP_1) | instskip(SKIP_1) | instid1(VALU_DEP_1)
	v_add_nc_u32_e32 v1, s49, v0
	s_mov_b32 s49, 0
                                        ; implicit-def: $vgpr0
	v_cmpx_lt_i32_e64 v1, v34
; %bb.157:                              ;   in Loop: Header=BB14_136 Depth=2
	v_xad_u32 v0, v1, -1, s22
	s_and_b32 s50, s47, exec_lo
	s_and_b32 s49, s11, exec_lo
; %bb.158:                              ;   in Loop: Header=BB14_136 Depth=2
	s_or_b32 exec_lo, exec_lo, s51
	s_delay_alu instid0(SALU_CYCLE_1)
	s_and_b32 s50, s50, exec_lo
	s_and_b32 s49, s49, exec_lo
.LBB14_159:                             ;   in Loop: Header=BB14_136 Depth=2
	s_or_b32 exec_lo, exec_lo, s28
	s_delay_alu instid0(SALU_CYCLE_1)
	s_and_b32 s28, s50, exec_lo
	s_and_b32 s49, s49, exec_lo
	s_and_not1_saveexec_b32 s29, s29
	s_cbranch_execnz .LBB14_163
.LBB14_160:                             ;   in Loop: Header=BB14_136 Depth=2
	s_or_b32 exec_lo, exec_lo, s29
	s_and_saveexec_b32 s29, s49
	s_cbranch_execz .LBB14_166
.LBB14_161:                             ;   in Loop: Header=BB14_136 Depth=2
	v_lshlrev_b64 v[39:40], 2, v[10:11]
	s_or_b32 s28, s28, exec_lo
	s_delay_alu instid0(VALU_DEP_1) | instskip(NEXT) | instid1(VALU_DEP_2)
	v_add_co_u32 v39, vcc_lo, s14, v39
	v_add_co_ci_u32_e32 v40, vcc_lo, s19, v40, vcc_lo
	global_load_b32 v36, v[39:40], off
	s_or_b32 exec_lo, exec_lo, s29
	s_and_saveexec_b32 s29, s28
	s_cbranch_execnz .LBB14_167
	s_branch .LBB14_168
.LBB14_162:                             ;   in Loop: Header=BB14_136 Depth=2
	s_and_not1_saveexec_b32 s29, s29
	s_cbranch_execz .LBB14_160
.LBB14_163:                             ;   in Loop: Header=BB14_136 Depth=2
	s_mov_b32 s51, exec_lo
	s_mov_b32 s50, exec_lo
	v_mbcnt_lo_u32_b32 v0, s51, 0
                                        ; implicit-def: $vgpr1
	s_delay_alu instid0(VALU_DEP_1)
	v_cmpx_eq_u32_e32 0, v0
	s_cbranch_execz .LBB14_165
; %bb.164:                              ;   in Loop: Header=BB14_136 Depth=2
	s_bcnt1_i32_b32 s51, s51
	s_delay_alu instid0(SALU_CYCLE_1)
	v_mov_b32_e32 v1, s51
	global_atomic_add_u32 v1, v28, v1, s[8:9] offset:384 glc
.LBB14_165:                             ;   in Loop: Header=BB14_136 Depth=2
	s_or_b32 exec_lo, exec_lo, s50
	s_waitcnt vmcnt(0)
	v_readfirstlane_b32 s50, v1
	s_and_not1_b32 s28, s28, exec_lo
	s_and_b32 s51, s47, exec_lo
	s_and_not1_b32 s49, s49, exec_lo
	s_or_b32 s28, s28, s51
	v_add_nc_u32_e32 v0, s50, v0
	s_and_b32 s50, s11, exec_lo
	s_delay_alu instid0(SALU_CYCLE_1)
	s_or_b32 s49, s49, s50
	s_or_b32 exec_lo, exec_lo, s29
	s_and_saveexec_b32 s29, s49
	s_cbranch_execnz .LBB14_161
.LBB14_166:                             ;   in Loop: Header=BB14_136 Depth=2
	s_or_b32 exec_lo, exec_lo, s29
	s_and_saveexec_b32 s29, s28
	s_cbranch_execz .LBB14_168
.LBB14_167:                             ;   in Loop: Header=BB14_136 Depth=2
	v_ashrrev_i32_e32 v1, 31, v0
	s_delay_alu instid0(VALU_DEP_1) | instskip(NEXT) | instid1(VALU_DEP_1)
	v_lshlrev_b64 v[0:1], 2, v[0:1]
	v_add_co_u32 v0, vcc_lo, s15, v0
	s_delay_alu instid0(VALU_DEP_2)
	v_add_co_ci_u32_e32 v1, vcc_lo, s23, v1, vcc_lo
	s_waitcnt vmcnt(0)
	global_store_b32 v[0:1], v36, off
.LBB14_168:                             ;   in Loop: Header=BB14_136 Depth=2
	s_or_b32 exec_lo, exec_lo, s29
	v_cmp_gt_i32_e32 vcc_lo, 0, v2
	s_mov_b32 s49, 0
	s_mov_b32 s28, 0
	s_mov_b32 s29, exec_lo
	v_cndmask_b32_e64 v0, 0x7fffffff, 0, vcc_lo
	s_delay_alu instid0(VALU_DEP_1) | instskip(SKIP_1) | instid1(VALU_DEP_2)
	v_xor_b32_e32 v1, v0, v2
	v_add_nc_u32_e32 v2, 2, v10
                                        ; implicit-def: $vgpr0
	v_cmpx_ge_u32_e64 v1, v33
	s_xor_b32 s29, exec_lo, s29
	s_cbranch_execz .LBB14_178
; %bb.169:                              ;   in Loop: Header=BB14_136 Depth=2
	s_mov_b32 s50, 0
	s_mov_b32 s28, exec_lo
                                        ; implicit-def: $vgpr0
	v_cmpx_eq_u32_e64 v1, v33
	s_cbranch_execz .LBB14_175
; %bb.170:                              ;   in Loop: Header=BB14_136 Depth=2
	s_mov_b32 s50, exec_lo
	s_mov_b32 s49, exec_lo
	v_mbcnt_lo_u32_b32 v0, s50, 0
                                        ; implicit-def: $vgpr1
	s_delay_alu instid0(VALU_DEP_1)
	v_cmpx_eq_u32_e32 0, v0
	s_cbranch_execz .LBB14_172
; %bb.171:                              ;   in Loop: Header=BB14_136 Depth=2
	s_bcnt1_i32_b32 s50, s50
	s_delay_alu instid0(SALU_CYCLE_1)
	v_mov_b32_e32 v1, s50
	global_atomic_add_u32 v1, v28, v1, s[8:9] offset:512 glc
.LBB14_172:                             ;   in Loop: Header=BB14_136 Depth=2
	s_or_b32 exec_lo, exec_lo, s49
	s_waitcnt vmcnt(0)
	v_readfirstlane_b32 s49, v1
	s_mov_b32 s50, 0
	s_mov_b32 s51, exec_lo
	s_delay_alu instid0(VALU_DEP_1) | instskip(SKIP_1) | instid1(VALU_DEP_1)
	v_add_nc_u32_e32 v1, s49, v0
	s_mov_b32 s49, 0
                                        ; implicit-def: $vgpr0
	v_cmpx_lt_i32_e64 v1, v34
; %bb.173:                              ;   in Loop: Header=BB14_136 Depth=2
	v_xad_u32 v0, v1, -1, s22
	s_and_b32 s50, s47, exec_lo
	s_and_b32 s49, s11, exec_lo
; %bb.174:                              ;   in Loop: Header=BB14_136 Depth=2
	s_or_b32 exec_lo, exec_lo, s51
	s_delay_alu instid0(SALU_CYCLE_1)
	s_and_b32 s50, s50, exec_lo
	s_and_b32 s49, s49, exec_lo
.LBB14_175:                             ;   in Loop: Header=BB14_136 Depth=2
	s_or_b32 exec_lo, exec_lo, s28
	s_delay_alu instid0(SALU_CYCLE_1)
	s_and_b32 s28, s50, exec_lo
	s_and_b32 s49, s49, exec_lo
	s_and_not1_saveexec_b32 s29, s29
	s_cbranch_execnz .LBB14_179
.LBB14_176:                             ;   in Loop: Header=BB14_136 Depth=2
	s_or_b32 exec_lo, exec_lo, s29
	s_and_saveexec_b32 s29, s49
	s_cbranch_execz .LBB14_182
.LBB14_177:                             ;   in Loop: Header=BB14_136 Depth=2
	v_lshlrev_b64 v[1:2], 2, v[10:11]
	s_or_b32 s28, s28, exec_lo
	s_delay_alu instid0(VALU_DEP_1) | instskip(NEXT) | instid1(VALU_DEP_2)
	v_add_co_u32 v1, vcc_lo, s34, v1
	v_add_co_ci_u32_e32 v2, vcc_lo, s35, v2, vcc_lo
	global_load_b32 v2, v[1:2], off
	s_or_b32 exec_lo, exec_lo, s29
	s_and_saveexec_b32 s29, s28
	s_cbranch_execnz .LBB14_183
	s_branch .LBB14_184
.LBB14_178:                             ;   in Loop: Header=BB14_136 Depth=2
	s_and_not1_saveexec_b32 s29, s29
	s_cbranch_execz .LBB14_176
.LBB14_179:                             ;   in Loop: Header=BB14_136 Depth=2
	s_mov_b32 s51, exec_lo
	s_mov_b32 s50, exec_lo
	v_mbcnt_lo_u32_b32 v0, s51, 0
                                        ; implicit-def: $vgpr1
	s_delay_alu instid0(VALU_DEP_1)
	v_cmpx_eq_u32_e32 0, v0
	s_cbranch_execz .LBB14_181
; %bb.180:                              ;   in Loop: Header=BB14_136 Depth=2
	s_bcnt1_i32_b32 s51, s51
	s_delay_alu instid0(SALU_CYCLE_1)
	v_mov_b32_e32 v1, s51
	global_atomic_add_u32 v1, v28, v1, s[8:9] offset:384 glc
.LBB14_181:                             ;   in Loop: Header=BB14_136 Depth=2
	s_or_b32 exec_lo, exec_lo, s50
	s_waitcnt vmcnt(0)
	v_readfirstlane_b32 s50, v1
	s_and_not1_b32 s28, s28, exec_lo
	s_and_b32 s51, s47, exec_lo
	s_and_not1_b32 s49, s49, exec_lo
	s_or_b32 s28, s28, s51
	v_add_nc_u32_e32 v0, s50, v0
	s_and_b32 s50, s11, exec_lo
	s_delay_alu instid0(SALU_CYCLE_1)
	s_or_b32 s49, s49, s50
	s_or_b32 exec_lo, exec_lo, s29
	s_and_saveexec_b32 s29, s49
	s_cbranch_execnz .LBB14_177
.LBB14_182:                             ;   in Loop: Header=BB14_136 Depth=2
	s_or_b32 exec_lo, exec_lo, s29
	s_and_saveexec_b32 s29, s28
	s_cbranch_execz .LBB14_184
.LBB14_183:                             ;   in Loop: Header=BB14_136 Depth=2
	v_ashrrev_i32_e32 v1, 31, v0
	s_delay_alu instid0(VALU_DEP_1) | instskip(NEXT) | instid1(VALU_DEP_1)
	v_lshlrev_b64 v[0:1], 2, v[0:1]
	v_add_co_u32 v0, vcc_lo, s15, v0
	s_delay_alu instid0(VALU_DEP_2)
	v_add_co_ci_u32_e32 v1, vcc_lo, s23, v1, vcc_lo
	s_waitcnt vmcnt(0)
	global_store_b32 v[0:1], v2, off
.LBB14_184:                             ;   in Loop: Header=BB14_136 Depth=2
	s_or_b32 exec_lo, exec_lo, s29
	v_cmp_gt_i32_e32 vcc_lo, 0, v3
	s_waitcnt vmcnt(0)
	v_add_nc_u32_e32 v2, 3, v10
	s_mov_b32 s49, 0
	s_mov_b32 s28, 0
	s_mov_b32 s29, exec_lo
	v_cndmask_b32_e64 v0, 0x7fffffff, 0, vcc_lo
	s_delay_alu instid0(VALU_DEP_1) | instskip(NEXT) | instid1(VALU_DEP_1)
	v_xor_b32_e32 v1, v0, v3
                                        ; implicit-def: $vgpr0
	v_cmpx_ge_u32_e64 v1, v33
	s_xor_b32 s29, exec_lo, s29
	s_cbranch_execz .LBB14_194
; %bb.185:                              ;   in Loop: Header=BB14_136 Depth=2
	s_mov_b32 s50, 0
	s_mov_b32 s28, exec_lo
                                        ; implicit-def: $vgpr0
	v_cmpx_eq_u32_e64 v1, v33
	s_cbranch_execz .LBB14_191
; %bb.186:                              ;   in Loop: Header=BB14_136 Depth=2
	s_mov_b32 s50, exec_lo
	s_mov_b32 s49, exec_lo
	v_mbcnt_lo_u32_b32 v0, s50, 0
                                        ; implicit-def: $vgpr1
	s_delay_alu instid0(VALU_DEP_1)
	v_cmpx_eq_u32_e32 0, v0
	s_cbranch_execz .LBB14_188
; %bb.187:                              ;   in Loop: Header=BB14_136 Depth=2
	s_bcnt1_i32_b32 s50, s50
	s_delay_alu instid0(SALU_CYCLE_1)
	v_mov_b32_e32 v1, s50
	global_atomic_add_u32 v1, v28, v1, s[8:9] offset:512 glc
.LBB14_188:                             ;   in Loop: Header=BB14_136 Depth=2
	s_or_b32 exec_lo, exec_lo, s49
	s_waitcnt vmcnt(0)
	v_readfirstlane_b32 s49, v1
	s_mov_b32 s50, 0
	s_mov_b32 s51, exec_lo
	s_delay_alu instid0(VALU_DEP_1) | instskip(SKIP_1) | instid1(VALU_DEP_1)
	v_add_nc_u32_e32 v1, s49, v0
	s_mov_b32 s49, 0
                                        ; implicit-def: $vgpr0
	v_cmpx_lt_i32_e64 v1, v34
; %bb.189:                              ;   in Loop: Header=BB14_136 Depth=2
	v_xad_u32 v0, v1, -1, s22
	s_and_b32 s50, s47, exec_lo
	s_and_b32 s49, s11, exec_lo
; %bb.190:                              ;   in Loop: Header=BB14_136 Depth=2
	s_or_b32 exec_lo, exec_lo, s51
	s_delay_alu instid0(SALU_CYCLE_1)
	s_and_b32 s50, s50, exec_lo
	s_and_b32 s49, s49, exec_lo
.LBB14_191:                             ;   in Loop: Header=BB14_136 Depth=2
	s_or_b32 exec_lo, exec_lo, s28
	s_delay_alu instid0(SALU_CYCLE_1)
	s_and_b32 s28, s50, exec_lo
	s_and_b32 s49, s49, exec_lo
	s_and_not1_saveexec_b32 s29, s29
	s_cbranch_execnz .LBB14_195
.LBB14_192:                             ;   in Loop: Header=BB14_136 Depth=2
	s_or_b32 exec_lo, exec_lo, s29
	s_and_saveexec_b32 s29, s49
	s_cbranch_execz .LBB14_198
.LBB14_193:                             ;   in Loop: Header=BB14_136 Depth=2
	v_lshlrev_b64 v[1:2], 2, v[10:11]
	s_or_b32 s28, s28, exec_lo
	s_delay_alu instid0(VALU_DEP_1) | instskip(NEXT) | instid1(VALU_DEP_2)
	v_add_co_u32 v1, vcc_lo, s36, v1
	v_add_co_ci_u32_e32 v2, vcc_lo, s37, v2, vcc_lo
	global_load_b32 v2, v[1:2], off
	s_or_b32 exec_lo, exec_lo, s29
	s_and_saveexec_b32 s29, s28
	s_cbranch_execnz .LBB14_199
	s_branch .LBB14_200
.LBB14_194:                             ;   in Loop: Header=BB14_136 Depth=2
	s_and_not1_saveexec_b32 s29, s29
	s_cbranch_execz .LBB14_192
.LBB14_195:                             ;   in Loop: Header=BB14_136 Depth=2
	s_mov_b32 s51, exec_lo
	s_mov_b32 s50, exec_lo
	v_mbcnt_lo_u32_b32 v0, s51, 0
                                        ; implicit-def: $vgpr1
	s_delay_alu instid0(VALU_DEP_1)
	v_cmpx_eq_u32_e32 0, v0
	s_cbranch_execz .LBB14_197
; %bb.196:                              ;   in Loop: Header=BB14_136 Depth=2
	s_bcnt1_i32_b32 s51, s51
	s_delay_alu instid0(SALU_CYCLE_1)
	v_mov_b32_e32 v1, s51
	global_atomic_add_u32 v1, v28, v1, s[8:9] offset:384 glc
.LBB14_197:                             ;   in Loop: Header=BB14_136 Depth=2
	s_or_b32 exec_lo, exec_lo, s50
	s_waitcnt vmcnt(0)
	v_readfirstlane_b32 s50, v1
	s_and_not1_b32 s28, s28, exec_lo
	s_and_b32 s51, s47, exec_lo
	s_and_not1_b32 s49, s49, exec_lo
	s_or_b32 s28, s28, s51
	v_add_nc_u32_e32 v0, s50, v0
	s_and_b32 s50, s11, exec_lo
	s_delay_alu instid0(SALU_CYCLE_1)
	s_or_b32 s49, s49, s50
	s_or_b32 exec_lo, exec_lo, s29
	s_and_saveexec_b32 s29, s49
	s_cbranch_execnz .LBB14_193
.LBB14_198:                             ;   in Loop: Header=BB14_136 Depth=2
	s_or_b32 exec_lo, exec_lo, s29
	s_and_saveexec_b32 s29, s28
	s_cbranch_execz .LBB14_200
.LBB14_199:                             ;   in Loop: Header=BB14_136 Depth=2
	v_ashrrev_i32_e32 v1, 31, v0
	s_delay_alu instid0(VALU_DEP_1) | instskip(NEXT) | instid1(VALU_DEP_1)
	v_lshlrev_b64 v[0:1], 2, v[0:1]
	v_add_co_u32 v0, vcc_lo, s15, v0
	s_delay_alu instid0(VALU_DEP_2)
	v_add_co_ci_u32_e32 v1, vcc_lo, s23, v1, vcc_lo
	s_waitcnt vmcnt(0)
	global_store_b32 v[0:1], v2, off
.LBB14_200:                             ;   in Loop: Header=BB14_136 Depth=2
	s_or_b32 exec_lo, exec_lo, s29
	v_lshlrev_b64 v[0:1], 4, v[37:38]
	s_waitcnt vmcnt(0)
	v_add_co_u32 v2, vcc_lo, v8, s20
	v_add_co_ci_u32_e32 v3, vcc_lo, s21, v9, vcc_lo
	v_add_co_u32 v36, null, v35, s10
	s_delay_alu instid0(VALU_DEP_4)
	v_add_co_u32 v0, vcc_lo, s30, v0
	v_add_co_ci_u32_e32 v1, vcc_lo, s31, v1, vcc_lo
	v_cmp_gt_i32_e32 vcc_lo, 0, v4
	s_clause 0x1
	global_load_b128 v[8:11], v[2:3], off
	global_load_b128 v[0:3], v[0:1], off
	s_mov_b32 s49, 0
	s_mov_b32 s29, 0
	v_cndmask_b32_e64 v38, 0x7fffffff, 0, vcc_lo
	s_mov_b32 s28, exec_lo
                                        ; implicit-def: $vgpr40
	s_delay_alu instid0(VALU_DEP_1) | instskip(SKIP_1) | instid1(VALU_DEP_2)
	v_xor_b32_e32 v39, v38, v4
	v_lshl_add_u32 v38, v36, 2, s18
                                        ; implicit-def: $vgpr4
	v_cmpx_ge_u32_e64 v39, v33
	s_xor_b32 s28, exec_lo, s28
	s_cbranch_execz .LBB14_210
; %bb.201:                              ;   in Loop: Header=BB14_136 Depth=2
	s_mov_b32 s50, 0
	s_mov_b32 s29, exec_lo
                                        ; implicit-def: $vgpr40
	v_cmpx_eq_u32_e64 v39, v33
	s_cbranch_execz .LBB14_207
; %bb.202:                              ;   in Loop: Header=BB14_136 Depth=2
	s_mov_b32 s50, exec_lo
	s_mov_b32 s49, exec_lo
	v_mbcnt_lo_u32_b32 v4, s50, 0
                                        ; implicit-def: $vgpr39
	s_delay_alu instid0(VALU_DEP_1)
	v_cmpx_eq_u32_e32 0, v4
	s_cbranch_execz .LBB14_204
; %bb.203:                              ;   in Loop: Header=BB14_136 Depth=2
	s_bcnt1_i32_b32 s50, s50
	s_delay_alu instid0(SALU_CYCLE_1)
	v_mov_b32_e32 v39, s50
	global_atomic_add_u32 v39, v28, v39, s[8:9] offset:512 glc
.LBB14_204:                             ;   in Loop: Header=BB14_136 Depth=2
	s_or_b32 exec_lo, exec_lo, s49
	s_waitcnt vmcnt(0)
	v_readfirstlane_b32 s49, v39
	s_mov_b32 s50, 0
	s_mov_b32 s51, exec_lo
                                        ; implicit-def: $vgpr40
	s_delay_alu instid0(VALU_DEP_1) | instskip(SKIP_1) | instid1(VALU_DEP_1)
	v_add_nc_u32_e32 v4, s49, v4
	s_mov_b32 s49, 0
	v_cmpx_lt_i32_e64 v4, v34
	s_xor_b32 s51, exec_lo, s51
; %bb.205:                              ;   in Loop: Header=BB14_136 Depth=2
	v_xad_u32 v40, v4, -1, s22
	s_and_b32 s50, s47, exec_lo
	s_and_b32 s49, s11, exec_lo
; %bb.206:                              ;   in Loop: Header=BB14_136 Depth=2
	s_or_b32 exec_lo, exec_lo, s51
	s_delay_alu instid0(SALU_CYCLE_1)
	s_and_b32 s50, s50, exec_lo
	s_and_b32 s49, s49, exec_lo
.LBB14_207:                             ;   in Loop: Header=BB14_136 Depth=2
	s_or_b32 exec_lo, exec_lo, s29
	v_mov_b32_e32 v4, v38
	s_and_b32 s29, s50, exec_lo
	s_and_b32 s49, s49, exec_lo
	s_and_not1_saveexec_b32 s28, s28
	s_cbranch_execnz .LBB14_211
.LBB14_208:                             ;   in Loop: Header=BB14_136 Depth=2
	s_or_b32 exec_lo, exec_lo, s28
	v_ashrrev_i32_e32 v39, 31, v38
	s_and_saveexec_b32 s28, s49
	s_cbranch_execz .LBB14_214
.LBB14_209:                             ;   in Loop: Header=BB14_136 Depth=2
	s_delay_alu instid0(VALU_DEP_1) | instskip(SKIP_1) | instid1(VALU_DEP_1)
	v_lshlrev_b64 v[50:51], 2, v[38:39]
	s_or_b32 s29, s29, exec_lo
	v_add_co_u32 v50, vcc_lo, s12, v50
	s_delay_alu instid0(VALU_DEP_2)
	v_add_co_ci_u32_e32 v51, vcc_lo, s13, v51, vcc_lo
	global_load_b32 v4, v[50:51], off
	s_or_b32 exec_lo, exec_lo, s28
	s_and_saveexec_b32 s28, s29
	s_cbranch_execnz .LBB14_215
	s_branch .LBB14_216
.LBB14_210:                             ;   in Loop: Header=BB14_136 Depth=2
	s_and_not1_saveexec_b32 s28, s28
	s_cbranch_execz .LBB14_208
.LBB14_211:                             ;   in Loop: Header=BB14_136 Depth=2
	s_mov_b32 s51, exec_lo
	s_mov_b32 s50, exec_lo
	v_mbcnt_lo_u32_b32 v4, s51, 0
                                        ; implicit-def: $vgpr39
	s_delay_alu instid0(VALU_DEP_1)
	v_cmpx_eq_u32_e32 0, v4
	s_cbranch_execz .LBB14_213
; %bb.212:                              ;   in Loop: Header=BB14_136 Depth=2
	s_bcnt1_i32_b32 s51, s51
	s_delay_alu instid0(SALU_CYCLE_1)
	v_mov_b32_e32 v39, s51
	global_atomic_add_u32 v39, v28, v39, s[8:9] offset:384 glc
.LBB14_213:                             ;   in Loop: Header=BB14_136 Depth=2
	s_or_b32 exec_lo, exec_lo, s50
	s_waitcnt vmcnt(0)
	v_readfirstlane_b32 s50, v39
	s_and_not1_b32 s29, s29, exec_lo
	s_and_b32 s51, s47, exec_lo
	s_and_not1_b32 s49, s49, exec_lo
	s_or_b32 s29, s29, s51
	v_add_nc_u32_e32 v40, s50, v4
	v_mov_b32_e32 v4, v38
	s_and_b32 s50, s11, exec_lo
	s_delay_alu instid0(SALU_CYCLE_1)
	s_or_b32 s49, s49, s50
	s_or_b32 exec_lo, exec_lo, s28
	v_ashrrev_i32_e32 v39, 31, v38
	s_and_saveexec_b32 s28, s49
	s_cbranch_execnz .LBB14_209
.LBB14_214:                             ;   in Loop: Header=BB14_136 Depth=2
	s_or_b32 exec_lo, exec_lo, s28
	s_and_saveexec_b32 s28, s29
	s_cbranch_execz .LBB14_216
.LBB14_215:                             ;   in Loop: Header=BB14_136 Depth=2
	v_ashrrev_i32_e32 v41, 31, v40
	s_delay_alu instid0(VALU_DEP_1) | instskip(NEXT) | instid1(VALU_DEP_1)
	v_lshlrev_b64 v[40:41], 2, v[40:41]
	v_add_co_u32 v40, vcc_lo, s15, v40
	s_delay_alu instid0(VALU_DEP_2)
	v_add_co_ci_u32_e32 v41, vcc_lo, s23, v41, vcc_lo
	s_waitcnt vmcnt(0)
	global_store_b32 v[40:41], v4, off
.LBB14_216:                             ;   in Loop: Header=BB14_136 Depth=2
	s_or_b32 exec_lo, exec_lo, s28
	v_cmp_gt_i32_e32 vcc_lo, 0, v5
	v_add_nc_u32_e32 v40, 1, v38
	s_mov_b32 s49, 0
	s_mov_b32 s28, 0
	s_mov_b32 s29, exec_lo
	s_waitcnt vmcnt(0)
	v_cndmask_b32_e64 v4, 0x7fffffff, 0, vcc_lo
	s_delay_alu instid0(VALU_DEP_1) | instskip(NEXT) | instid1(VALU_DEP_1)
	v_xor_b32_e32 v5, v4, v5
                                        ; implicit-def: $vgpr4
	v_cmpx_ge_u32_e64 v5, v33
	s_xor_b32 s29, exec_lo, s29
	s_cbranch_execz .LBB14_226
; %bb.217:                              ;   in Loop: Header=BB14_136 Depth=2
	s_mov_b32 s50, 0
	s_mov_b32 s28, exec_lo
                                        ; implicit-def: $vgpr4
	v_cmpx_eq_u32_e64 v5, v33
	s_cbranch_execz .LBB14_223
; %bb.218:                              ;   in Loop: Header=BB14_136 Depth=2
	s_mov_b32 s50, exec_lo
	s_mov_b32 s49, exec_lo
	v_mbcnt_lo_u32_b32 v4, s50, 0
                                        ; implicit-def: $vgpr5
	s_delay_alu instid0(VALU_DEP_1)
	v_cmpx_eq_u32_e32 0, v4
	s_cbranch_execz .LBB14_220
; %bb.219:                              ;   in Loop: Header=BB14_136 Depth=2
	s_bcnt1_i32_b32 s50, s50
	s_delay_alu instid0(SALU_CYCLE_1)
	v_mov_b32_e32 v5, s50
	global_atomic_add_u32 v5, v28, v5, s[8:9] offset:512 glc
.LBB14_220:                             ;   in Loop: Header=BB14_136 Depth=2
	s_or_b32 exec_lo, exec_lo, s49
	s_waitcnt vmcnt(0)
	v_readfirstlane_b32 s49, v5
	s_mov_b32 s50, 0
	s_mov_b32 s51, exec_lo
	s_delay_alu instid0(VALU_DEP_1) | instskip(SKIP_1) | instid1(VALU_DEP_1)
	v_add_nc_u32_e32 v5, s49, v4
	s_mov_b32 s49, 0
                                        ; implicit-def: $vgpr4
	v_cmpx_lt_i32_e64 v5, v34
; %bb.221:                              ;   in Loop: Header=BB14_136 Depth=2
	v_xad_u32 v4, v5, -1, s22
	s_and_b32 s50, s47, exec_lo
	s_and_b32 s49, s11, exec_lo
; %bb.222:                              ;   in Loop: Header=BB14_136 Depth=2
	s_or_b32 exec_lo, exec_lo, s51
	s_delay_alu instid0(SALU_CYCLE_1)
	s_and_b32 s50, s50, exec_lo
	s_and_b32 s49, s49, exec_lo
.LBB14_223:                             ;   in Loop: Header=BB14_136 Depth=2
	s_or_b32 exec_lo, exec_lo, s28
	s_delay_alu instid0(SALU_CYCLE_1)
	s_and_b32 s28, s50, exec_lo
	s_and_b32 s49, s49, exec_lo
	s_and_not1_saveexec_b32 s29, s29
	s_cbranch_execnz .LBB14_227
.LBB14_224:                             ;   in Loop: Header=BB14_136 Depth=2
	s_or_b32 exec_lo, exec_lo, s29
	s_and_saveexec_b32 s29, s49
	s_cbranch_execz .LBB14_230
.LBB14_225:                             ;   in Loop: Header=BB14_136 Depth=2
	v_lshlrev_b64 v[40:41], 2, v[38:39]
	s_or_b32 s28, s28, exec_lo
	s_delay_alu instid0(VALU_DEP_1) | instskip(NEXT) | instid1(VALU_DEP_2)
	v_add_co_u32 v40, vcc_lo, s14, v40
	v_add_co_ci_u32_e32 v41, vcc_lo, s19, v41, vcc_lo
	global_load_b32 v40, v[40:41], off
	s_or_b32 exec_lo, exec_lo, s29
	s_and_saveexec_b32 s29, s28
	s_cbranch_execnz .LBB14_231
	s_branch .LBB14_232
.LBB14_226:                             ;   in Loop: Header=BB14_136 Depth=2
	s_and_not1_saveexec_b32 s29, s29
	s_cbranch_execz .LBB14_224
.LBB14_227:                             ;   in Loop: Header=BB14_136 Depth=2
	s_mov_b32 s51, exec_lo
	s_mov_b32 s50, exec_lo
	v_mbcnt_lo_u32_b32 v4, s51, 0
                                        ; implicit-def: $vgpr5
	s_delay_alu instid0(VALU_DEP_1)
	v_cmpx_eq_u32_e32 0, v4
	s_cbranch_execz .LBB14_229
; %bb.228:                              ;   in Loop: Header=BB14_136 Depth=2
	s_bcnt1_i32_b32 s51, s51
	s_delay_alu instid0(SALU_CYCLE_1)
	v_mov_b32_e32 v5, s51
	global_atomic_add_u32 v5, v28, v5, s[8:9] offset:384 glc
.LBB14_229:                             ;   in Loop: Header=BB14_136 Depth=2
	s_or_b32 exec_lo, exec_lo, s50
	s_waitcnt vmcnt(0)
	v_readfirstlane_b32 s50, v5
	s_and_not1_b32 s28, s28, exec_lo
	s_and_b32 s51, s47, exec_lo
	s_and_not1_b32 s49, s49, exec_lo
	s_or_b32 s28, s28, s51
	v_add_nc_u32_e32 v4, s50, v4
	s_and_b32 s50, s11, exec_lo
	s_delay_alu instid0(SALU_CYCLE_1)
	s_or_b32 s49, s49, s50
	s_or_b32 exec_lo, exec_lo, s29
	s_and_saveexec_b32 s29, s49
	s_cbranch_execnz .LBB14_225
.LBB14_230:                             ;   in Loop: Header=BB14_136 Depth=2
	s_or_b32 exec_lo, exec_lo, s29
	s_and_saveexec_b32 s29, s28
	s_cbranch_execz .LBB14_232
.LBB14_231:                             ;   in Loop: Header=BB14_136 Depth=2
	v_ashrrev_i32_e32 v5, 31, v4
	s_delay_alu instid0(VALU_DEP_1) | instskip(NEXT) | instid1(VALU_DEP_1)
	v_lshlrev_b64 v[4:5], 2, v[4:5]
	v_add_co_u32 v4, vcc_lo, s15, v4
	s_delay_alu instid0(VALU_DEP_2)
	v_add_co_ci_u32_e32 v5, vcc_lo, s23, v5, vcc_lo
	s_waitcnt vmcnt(0)
	global_store_b32 v[4:5], v40, off
.LBB14_232:                             ;   in Loop: Header=BB14_136 Depth=2
	s_or_b32 exec_lo, exec_lo, s29
	v_cmp_gt_i32_e32 vcc_lo, 0, v6
	s_mov_b32 s49, 0
	s_mov_b32 s28, 0
	s_mov_b32 s29, exec_lo
	v_cndmask_b32_e64 v4, 0x7fffffff, 0, vcc_lo
	s_delay_alu instid0(VALU_DEP_1) | instskip(SKIP_1) | instid1(VALU_DEP_2)
	v_xor_b32_e32 v5, v4, v6
	v_add_nc_u32_e32 v6, 2, v38
                                        ; implicit-def: $vgpr4
	v_cmpx_ge_u32_e64 v5, v33
	s_xor_b32 s29, exec_lo, s29
	s_cbranch_execz .LBB14_242
; %bb.233:                              ;   in Loop: Header=BB14_136 Depth=2
	s_mov_b32 s50, 0
	s_mov_b32 s28, exec_lo
                                        ; implicit-def: $vgpr4
	v_cmpx_eq_u32_e64 v5, v33
	s_cbranch_execz .LBB14_239
; %bb.234:                              ;   in Loop: Header=BB14_136 Depth=2
	s_mov_b32 s50, exec_lo
	s_mov_b32 s49, exec_lo
	v_mbcnt_lo_u32_b32 v4, s50, 0
                                        ; implicit-def: $vgpr5
	s_delay_alu instid0(VALU_DEP_1)
	v_cmpx_eq_u32_e32 0, v4
	s_cbranch_execz .LBB14_236
; %bb.235:                              ;   in Loop: Header=BB14_136 Depth=2
	s_bcnt1_i32_b32 s50, s50
	s_delay_alu instid0(SALU_CYCLE_1)
	v_mov_b32_e32 v5, s50
	global_atomic_add_u32 v5, v28, v5, s[8:9] offset:512 glc
.LBB14_236:                             ;   in Loop: Header=BB14_136 Depth=2
	s_or_b32 exec_lo, exec_lo, s49
	s_waitcnt vmcnt(0)
	v_readfirstlane_b32 s49, v5
	s_mov_b32 s50, 0
	s_mov_b32 s51, exec_lo
	s_delay_alu instid0(VALU_DEP_1) | instskip(SKIP_1) | instid1(VALU_DEP_1)
	v_add_nc_u32_e32 v5, s49, v4
	s_mov_b32 s49, 0
                                        ; implicit-def: $vgpr4
	v_cmpx_lt_i32_e64 v5, v34
; %bb.237:                              ;   in Loop: Header=BB14_136 Depth=2
	v_xad_u32 v4, v5, -1, s22
	s_and_b32 s50, s47, exec_lo
	s_and_b32 s49, s11, exec_lo
; %bb.238:                              ;   in Loop: Header=BB14_136 Depth=2
	s_or_b32 exec_lo, exec_lo, s51
	s_delay_alu instid0(SALU_CYCLE_1)
	s_and_b32 s50, s50, exec_lo
	s_and_b32 s49, s49, exec_lo
.LBB14_239:                             ;   in Loop: Header=BB14_136 Depth=2
	s_or_b32 exec_lo, exec_lo, s28
	s_delay_alu instid0(SALU_CYCLE_1)
	s_and_b32 s28, s50, exec_lo
	s_and_b32 s49, s49, exec_lo
	s_and_not1_saveexec_b32 s29, s29
	s_cbranch_execnz .LBB14_243
.LBB14_240:                             ;   in Loop: Header=BB14_136 Depth=2
	s_or_b32 exec_lo, exec_lo, s29
	s_and_saveexec_b32 s29, s49
	s_cbranch_execz .LBB14_246
.LBB14_241:                             ;   in Loop: Header=BB14_136 Depth=2
	v_lshlrev_b64 v[5:6], 2, v[38:39]
	s_or_b32 s28, s28, exec_lo
	s_delay_alu instid0(VALU_DEP_1) | instskip(NEXT) | instid1(VALU_DEP_2)
	v_add_co_u32 v5, vcc_lo, s34, v5
	v_add_co_ci_u32_e32 v6, vcc_lo, s35, v6, vcc_lo
	global_load_b32 v6, v[5:6], off
	s_or_b32 exec_lo, exec_lo, s29
	s_and_saveexec_b32 s29, s28
	s_cbranch_execnz .LBB14_247
	s_branch .LBB14_248
.LBB14_242:                             ;   in Loop: Header=BB14_136 Depth=2
	s_and_not1_saveexec_b32 s29, s29
	s_cbranch_execz .LBB14_240
.LBB14_243:                             ;   in Loop: Header=BB14_136 Depth=2
	s_mov_b32 s51, exec_lo
	s_mov_b32 s50, exec_lo
	v_mbcnt_lo_u32_b32 v4, s51, 0
                                        ; implicit-def: $vgpr5
	s_delay_alu instid0(VALU_DEP_1)
	v_cmpx_eq_u32_e32 0, v4
	s_cbranch_execz .LBB14_245
; %bb.244:                              ;   in Loop: Header=BB14_136 Depth=2
	s_bcnt1_i32_b32 s51, s51
	s_delay_alu instid0(SALU_CYCLE_1)
	v_mov_b32_e32 v5, s51
	global_atomic_add_u32 v5, v28, v5, s[8:9] offset:384 glc
.LBB14_245:                             ;   in Loop: Header=BB14_136 Depth=2
	s_or_b32 exec_lo, exec_lo, s50
	s_waitcnt vmcnt(0)
	v_readfirstlane_b32 s50, v5
	s_and_not1_b32 s28, s28, exec_lo
	s_and_b32 s51, s47, exec_lo
	s_and_not1_b32 s49, s49, exec_lo
	s_or_b32 s28, s28, s51
	v_add_nc_u32_e32 v4, s50, v4
	s_and_b32 s50, s11, exec_lo
	s_delay_alu instid0(SALU_CYCLE_1)
	s_or_b32 s49, s49, s50
	s_or_b32 exec_lo, exec_lo, s29
	s_and_saveexec_b32 s29, s49
	s_cbranch_execnz .LBB14_241
.LBB14_246:                             ;   in Loop: Header=BB14_136 Depth=2
	s_or_b32 exec_lo, exec_lo, s29
	s_and_saveexec_b32 s29, s28
	s_cbranch_execz .LBB14_248
.LBB14_247:                             ;   in Loop: Header=BB14_136 Depth=2
	v_ashrrev_i32_e32 v5, 31, v4
	s_delay_alu instid0(VALU_DEP_1) | instskip(NEXT) | instid1(VALU_DEP_1)
	v_lshlrev_b64 v[4:5], 2, v[4:5]
	v_add_co_u32 v4, vcc_lo, s15, v4
	s_delay_alu instid0(VALU_DEP_2)
	v_add_co_ci_u32_e32 v5, vcc_lo, s23, v5, vcc_lo
	s_waitcnt vmcnt(0)
	global_store_b32 v[4:5], v6, off
.LBB14_248:                             ;   in Loop: Header=BB14_136 Depth=2
	s_or_b32 exec_lo, exec_lo, s29
	v_cmp_gt_i32_e32 vcc_lo, 0, v7
	s_waitcnt vmcnt(0)
	v_add_nc_u32_e32 v6, 3, v38
	s_mov_b32 s49, 0
	s_mov_b32 s28, 0
	s_mov_b32 s29, exec_lo
	v_cndmask_b32_e64 v4, 0x7fffffff, 0, vcc_lo
	s_delay_alu instid0(VALU_DEP_1) | instskip(NEXT) | instid1(VALU_DEP_1)
	v_xor_b32_e32 v5, v4, v7
                                        ; implicit-def: $vgpr4
	v_cmpx_ge_u32_e64 v5, v33
	s_xor_b32 s29, exec_lo, s29
	s_cbranch_execz .LBB14_258
; %bb.249:                              ;   in Loop: Header=BB14_136 Depth=2
	s_mov_b32 s50, 0
	s_mov_b32 s28, exec_lo
                                        ; implicit-def: $vgpr4
	v_cmpx_eq_u32_e64 v5, v33
	s_cbranch_execz .LBB14_255
; %bb.250:                              ;   in Loop: Header=BB14_136 Depth=2
	s_mov_b32 s50, exec_lo
	s_mov_b32 s49, exec_lo
	v_mbcnt_lo_u32_b32 v4, s50, 0
                                        ; implicit-def: $vgpr5
	s_delay_alu instid0(VALU_DEP_1)
	v_cmpx_eq_u32_e32 0, v4
	s_cbranch_execz .LBB14_252
; %bb.251:                              ;   in Loop: Header=BB14_136 Depth=2
	s_bcnt1_i32_b32 s50, s50
	s_delay_alu instid0(SALU_CYCLE_1)
	v_mov_b32_e32 v5, s50
	global_atomic_add_u32 v5, v28, v5, s[8:9] offset:512 glc
.LBB14_252:                             ;   in Loop: Header=BB14_136 Depth=2
	s_or_b32 exec_lo, exec_lo, s49
	s_waitcnt vmcnt(0)
	v_readfirstlane_b32 s49, v5
	s_mov_b32 s50, 0
	s_mov_b32 s51, exec_lo
	s_delay_alu instid0(VALU_DEP_1) | instskip(SKIP_1) | instid1(VALU_DEP_1)
	v_add_nc_u32_e32 v5, s49, v4
	s_mov_b32 s49, 0
                                        ; implicit-def: $vgpr4
	v_cmpx_lt_i32_e64 v5, v34
; %bb.253:                              ;   in Loop: Header=BB14_136 Depth=2
	v_xad_u32 v4, v5, -1, s22
	s_and_b32 s50, s47, exec_lo
	s_and_b32 s49, s11, exec_lo
; %bb.254:                              ;   in Loop: Header=BB14_136 Depth=2
	s_or_b32 exec_lo, exec_lo, s51
	s_delay_alu instid0(SALU_CYCLE_1)
	s_and_b32 s50, s50, exec_lo
	s_and_b32 s49, s49, exec_lo
.LBB14_255:                             ;   in Loop: Header=BB14_136 Depth=2
	s_or_b32 exec_lo, exec_lo, s28
	s_delay_alu instid0(SALU_CYCLE_1)
	s_and_b32 s28, s50, exec_lo
	s_and_b32 s49, s49, exec_lo
	s_and_not1_saveexec_b32 s29, s29
	s_cbranch_execnz .LBB14_259
.LBB14_256:                             ;   in Loop: Header=BB14_136 Depth=2
	s_or_b32 exec_lo, exec_lo, s29
	s_and_saveexec_b32 s29, s49
	s_cbranch_execz .LBB14_262
.LBB14_257:                             ;   in Loop: Header=BB14_136 Depth=2
	v_lshlrev_b64 v[5:6], 2, v[38:39]
	s_or_b32 s28, s28, exec_lo
	s_delay_alu instid0(VALU_DEP_1) | instskip(NEXT) | instid1(VALU_DEP_2)
	v_add_co_u32 v5, vcc_lo, s36, v5
	v_add_co_ci_u32_e32 v6, vcc_lo, s37, v6, vcc_lo
	global_load_b32 v6, v[5:6], off
	s_or_b32 exec_lo, exec_lo, s29
	s_and_saveexec_b32 s29, s28
	s_cbranch_execnz .LBB14_263
	s_branch .LBB14_264
.LBB14_258:                             ;   in Loop: Header=BB14_136 Depth=2
	s_and_not1_saveexec_b32 s29, s29
	s_cbranch_execz .LBB14_256
.LBB14_259:                             ;   in Loop: Header=BB14_136 Depth=2
	s_mov_b32 s51, exec_lo
	s_mov_b32 s50, exec_lo
	v_mbcnt_lo_u32_b32 v4, s51, 0
                                        ; implicit-def: $vgpr5
	s_delay_alu instid0(VALU_DEP_1)
	v_cmpx_eq_u32_e32 0, v4
	s_cbranch_execz .LBB14_261
; %bb.260:                              ;   in Loop: Header=BB14_136 Depth=2
	s_bcnt1_i32_b32 s51, s51
	s_delay_alu instid0(SALU_CYCLE_1)
	v_mov_b32_e32 v5, s51
	global_atomic_add_u32 v5, v28, v5, s[8:9] offset:384 glc
.LBB14_261:                             ;   in Loop: Header=BB14_136 Depth=2
	s_or_b32 exec_lo, exec_lo, s50
	s_waitcnt vmcnt(0)
	v_readfirstlane_b32 s50, v5
	s_and_not1_b32 s28, s28, exec_lo
	s_and_b32 s51, s47, exec_lo
	s_and_not1_b32 s49, s49, exec_lo
	s_or_b32 s28, s28, s51
	v_add_nc_u32_e32 v4, s50, v4
	s_and_b32 s50, s11, exec_lo
	s_delay_alu instid0(SALU_CYCLE_1)
	s_or_b32 s49, s49, s50
	s_or_b32 exec_lo, exec_lo, s29
	s_and_saveexec_b32 s29, s49
	s_cbranch_execnz .LBB14_257
.LBB14_262:                             ;   in Loop: Header=BB14_136 Depth=2
	s_or_b32 exec_lo, exec_lo, s29
	s_and_saveexec_b32 s29, s28
	s_cbranch_execz .LBB14_264
.LBB14_263:                             ;   in Loop: Header=BB14_136 Depth=2
	v_ashrrev_i32_e32 v5, 31, v4
	s_delay_alu instid0(VALU_DEP_1) | instskip(NEXT) | instid1(VALU_DEP_1)
	v_lshlrev_b64 v[4:5], 2, v[4:5]
	v_add_co_u32 v4, vcc_lo, s15, v4
	s_delay_alu instid0(VALU_DEP_2)
	v_add_co_ci_u32_e32 v5, vcc_lo, s23, v5, vcc_lo
	s_waitcnt vmcnt(0)
	global_store_b32 v[4:5], v6, off
.LBB14_264:                             ;   in Loop: Header=BB14_136 Depth=2
	s_or_b32 exec_lo, exec_lo, s29
	v_cmp_gt_i32_e32 vcc_lo, 0, v8
	s_waitcnt vmcnt(0)
	v_add_nc_u32_e32 v6, s10, v36
	s_mov_b32 s49, 0
	s_mov_b32 s29, 0
	s_mov_b32 s28, exec_lo
	v_cndmask_b32_e64 v4, 0x7fffffff, 0, vcc_lo
	s_delay_alu instid0(VALU_DEP_1) | instskip(SKIP_1) | instid1(VALU_DEP_2)
	v_xor_b32_e32 v5, v4, v8
	v_lshl_add_u32 v4, v6, 2, s18
                                        ; implicit-def: $vgpr8
                                        ; implicit-def: $vgpr6
	v_cmpx_ge_u32_e64 v5, v33
	s_xor_b32 s28, exec_lo, s28
	s_cbranch_execz .LBB14_274
; %bb.265:                              ;   in Loop: Header=BB14_136 Depth=2
	s_mov_b32 s50, 0
	s_mov_b32 s29, exec_lo
                                        ; implicit-def: $vgpr6
	v_cmpx_eq_u32_e64 v5, v33
	s_cbranch_execz .LBB14_271
; %bb.266:                              ;   in Loop: Header=BB14_136 Depth=2
	s_mov_b32 s50, exec_lo
	s_mov_b32 s49, exec_lo
	v_mbcnt_lo_u32_b32 v5, s50, 0
                                        ; implicit-def: $vgpr6
	s_delay_alu instid0(VALU_DEP_1)
	v_cmpx_eq_u32_e32 0, v5
	s_cbranch_execz .LBB14_268
; %bb.267:                              ;   in Loop: Header=BB14_136 Depth=2
	s_bcnt1_i32_b32 s50, s50
	s_delay_alu instid0(SALU_CYCLE_1)
	v_mov_b32_e32 v6, s50
	global_atomic_add_u32 v6, v28, v6, s[8:9] offset:512 glc
.LBB14_268:                             ;   in Loop: Header=BB14_136 Depth=2
	s_or_b32 exec_lo, exec_lo, s49
	s_waitcnt vmcnt(0)
	v_readfirstlane_b32 s49, v6
	s_mov_b32 s50, 0
	s_mov_b32 s51, exec_lo
                                        ; implicit-def: $vgpr6
	s_delay_alu instid0(VALU_DEP_1) | instskip(SKIP_1) | instid1(VALU_DEP_1)
	v_add_nc_u32_e32 v5, s49, v5
	s_mov_b32 s49, 0
	v_cmpx_lt_i32_e64 v5, v34
	s_xor_b32 s51, exec_lo, s51
; %bb.269:                              ;   in Loop: Header=BB14_136 Depth=2
	v_xad_u32 v6, v5, -1, s22
	s_and_b32 s50, s47, exec_lo
	s_and_b32 s49, s11, exec_lo
; %bb.270:                              ;   in Loop: Header=BB14_136 Depth=2
	s_or_b32 exec_lo, exec_lo, s51
	s_delay_alu instid0(SALU_CYCLE_1)
	s_and_b32 s50, s50, exec_lo
	s_and_b32 s49, s49, exec_lo
.LBB14_271:                             ;   in Loop: Header=BB14_136 Depth=2
	s_or_b32 exec_lo, exec_lo, s29
	v_mov_b32_e32 v8, v4
	s_and_b32 s29, s50, exec_lo
	s_and_b32 s49, s49, exec_lo
	s_and_not1_saveexec_b32 s28, s28
	s_cbranch_execnz .LBB14_275
.LBB14_272:                             ;   in Loop: Header=BB14_136 Depth=2
	s_or_b32 exec_lo, exec_lo, s28
	v_ashrrev_i32_e32 v5, 31, v4
	s_and_saveexec_b32 s28, s49
	s_cbranch_execz .LBB14_278
.LBB14_273:                             ;   in Loop: Header=BB14_136 Depth=2
	s_delay_alu instid0(VALU_DEP_1) | instskip(SKIP_1) | instid1(VALU_DEP_1)
	v_lshlrev_b64 v[7:8], 2, v[4:5]
	s_or_b32 s29, s29, exec_lo
	v_add_co_u32 v7, vcc_lo, s12, v7
	s_delay_alu instid0(VALU_DEP_2)
	v_add_co_ci_u32_e32 v8, vcc_lo, s13, v8, vcc_lo
	global_load_b32 v8, v[7:8], off
	s_or_b32 exec_lo, exec_lo, s28
	s_and_saveexec_b32 s28, s29
	s_cbranch_execnz .LBB14_279
	s_branch .LBB14_280
.LBB14_274:                             ;   in Loop: Header=BB14_136 Depth=2
	s_and_not1_saveexec_b32 s28, s28
	s_cbranch_execz .LBB14_272
.LBB14_275:                             ;   in Loop: Header=BB14_136 Depth=2
	s_mov_b32 s51, exec_lo
	s_mov_b32 s50, exec_lo
	v_mbcnt_lo_u32_b32 v5, s51, 0
                                        ; implicit-def: $vgpr6
	s_delay_alu instid0(VALU_DEP_1)
	v_cmpx_eq_u32_e32 0, v5
	s_cbranch_execz .LBB14_277
; %bb.276:                              ;   in Loop: Header=BB14_136 Depth=2
	s_bcnt1_i32_b32 s51, s51
	s_delay_alu instid0(SALU_CYCLE_1)
	v_mov_b32_e32 v6, s51
	global_atomic_add_u32 v6, v28, v6, s[8:9] offset:384 glc
.LBB14_277:                             ;   in Loop: Header=BB14_136 Depth=2
	s_or_b32 exec_lo, exec_lo, s50
	s_waitcnt vmcnt(0)
	v_readfirstlane_b32 s50, v6
	v_mov_b32_e32 v8, v4
	s_and_not1_b32 s29, s29, exec_lo
	s_and_b32 s51, s47, exec_lo
	s_and_not1_b32 s49, s49, exec_lo
	v_add_nc_u32_e32 v6, s50, v5
	s_and_b32 s50, s11, exec_lo
	s_or_b32 s29, s29, s51
	s_or_b32 s49, s49, s50
	s_or_b32 exec_lo, exec_lo, s28
	v_ashrrev_i32_e32 v5, 31, v4
	s_and_saveexec_b32 s28, s49
	s_cbranch_execnz .LBB14_273
.LBB14_278:                             ;   in Loop: Header=BB14_136 Depth=2
	s_or_b32 exec_lo, exec_lo, s28
	s_and_saveexec_b32 s28, s29
	s_cbranch_execz .LBB14_280
.LBB14_279:                             ;   in Loop: Header=BB14_136 Depth=2
	v_ashrrev_i32_e32 v7, 31, v6
	s_delay_alu instid0(VALU_DEP_1) | instskip(NEXT) | instid1(VALU_DEP_1)
	v_lshlrev_b64 v[6:7], 2, v[6:7]
	v_add_co_u32 v6, vcc_lo, s15, v6
	s_delay_alu instid0(VALU_DEP_2)
	v_add_co_ci_u32_e32 v7, vcc_lo, s23, v7, vcc_lo
	s_waitcnt vmcnt(0)
	global_store_b32 v[6:7], v8, off
.LBB14_280:                             ;   in Loop: Header=BB14_136 Depth=2
	s_or_b32 exec_lo, exec_lo, s28
	v_cmp_gt_i32_e32 vcc_lo, 0, v9
	s_waitcnt vmcnt(0)
	v_add_nc_u32_e32 v8, 1, v4
	s_mov_b32 s49, 0
	s_mov_b32 s28, 0
	s_mov_b32 s29, exec_lo
	v_cndmask_b32_e64 v6, 0x7fffffff, 0, vcc_lo
	s_delay_alu instid0(VALU_DEP_1) | instskip(NEXT) | instid1(VALU_DEP_1)
	v_xor_b32_e32 v7, v6, v9
                                        ; implicit-def: $vgpr6
	v_cmpx_ge_u32_e64 v7, v33
	s_xor_b32 s29, exec_lo, s29
	s_cbranch_execz .LBB14_290
; %bb.281:                              ;   in Loop: Header=BB14_136 Depth=2
	s_mov_b32 s50, 0
	s_mov_b32 s28, exec_lo
                                        ; implicit-def: $vgpr6
	v_cmpx_eq_u32_e64 v7, v33
	s_cbranch_execz .LBB14_287
; %bb.282:                              ;   in Loop: Header=BB14_136 Depth=2
	s_mov_b32 s50, exec_lo
	s_mov_b32 s49, exec_lo
	v_mbcnt_lo_u32_b32 v6, s50, 0
                                        ; implicit-def: $vgpr7
	s_delay_alu instid0(VALU_DEP_1)
	v_cmpx_eq_u32_e32 0, v6
	s_cbranch_execz .LBB14_284
; %bb.283:                              ;   in Loop: Header=BB14_136 Depth=2
	s_bcnt1_i32_b32 s50, s50
	s_delay_alu instid0(SALU_CYCLE_1)
	v_mov_b32_e32 v7, s50
	global_atomic_add_u32 v7, v28, v7, s[8:9] offset:512 glc
.LBB14_284:                             ;   in Loop: Header=BB14_136 Depth=2
	s_or_b32 exec_lo, exec_lo, s49
	s_waitcnt vmcnt(0)
	v_readfirstlane_b32 s49, v7
	s_mov_b32 s50, 0
	s_mov_b32 s51, exec_lo
	s_delay_alu instid0(VALU_DEP_1) | instskip(SKIP_1) | instid1(VALU_DEP_1)
	v_add_nc_u32_e32 v7, s49, v6
	s_mov_b32 s49, 0
                                        ; implicit-def: $vgpr6
	v_cmpx_lt_i32_e64 v7, v34
; %bb.285:                              ;   in Loop: Header=BB14_136 Depth=2
	v_xad_u32 v6, v7, -1, s22
	s_and_b32 s50, s47, exec_lo
	s_and_b32 s49, s11, exec_lo
; %bb.286:                              ;   in Loop: Header=BB14_136 Depth=2
	s_or_b32 exec_lo, exec_lo, s51
	s_delay_alu instid0(SALU_CYCLE_1)
	s_and_b32 s50, s50, exec_lo
	s_and_b32 s49, s49, exec_lo
.LBB14_287:                             ;   in Loop: Header=BB14_136 Depth=2
	s_or_b32 exec_lo, exec_lo, s28
	s_delay_alu instid0(SALU_CYCLE_1)
	s_and_b32 s28, s50, exec_lo
	s_and_b32 s49, s49, exec_lo
	s_and_not1_saveexec_b32 s29, s29
	s_cbranch_execnz .LBB14_291
.LBB14_288:                             ;   in Loop: Header=BB14_136 Depth=2
	s_or_b32 exec_lo, exec_lo, s29
	s_and_saveexec_b32 s29, s49
	s_cbranch_execz .LBB14_294
.LBB14_289:                             ;   in Loop: Header=BB14_136 Depth=2
	v_lshlrev_b64 v[7:8], 2, v[4:5]
	s_or_b32 s28, s28, exec_lo
	s_delay_alu instid0(VALU_DEP_1) | instskip(NEXT) | instid1(VALU_DEP_2)
	v_add_co_u32 v7, vcc_lo, s14, v7
	v_add_co_ci_u32_e32 v8, vcc_lo, s19, v8, vcc_lo
	global_load_b32 v8, v[7:8], off
	s_or_b32 exec_lo, exec_lo, s29
	s_and_saveexec_b32 s29, s28
	s_cbranch_execnz .LBB14_295
	s_branch .LBB14_296
.LBB14_290:                             ;   in Loop: Header=BB14_136 Depth=2
	s_and_not1_saveexec_b32 s29, s29
	s_cbranch_execz .LBB14_288
.LBB14_291:                             ;   in Loop: Header=BB14_136 Depth=2
	s_mov_b32 s51, exec_lo
	s_mov_b32 s50, exec_lo
	v_mbcnt_lo_u32_b32 v6, s51, 0
                                        ; implicit-def: $vgpr7
	s_delay_alu instid0(VALU_DEP_1)
	v_cmpx_eq_u32_e32 0, v6
	s_cbranch_execz .LBB14_293
; %bb.292:                              ;   in Loop: Header=BB14_136 Depth=2
	s_bcnt1_i32_b32 s51, s51
	s_delay_alu instid0(SALU_CYCLE_1)
	v_mov_b32_e32 v7, s51
	global_atomic_add_u32 v7, v28, v7, s[8:9] offset:384 glc
.LBB14_293:                             ;   in Loop: Header=BB14_136 Depth=2
	s_or_b32 exec_lo, exec_lo, s50
	s_waitcnt vmcnt(0)
	v_readfirstlane_b32 s50, v7
	s_and_not1_b32 s28, s28, exec_lo
	s_and_b32 s51, s47, exec_lo
	s_and_not1_b32 s49, s49, exec_lo
	s_or_b32 s28, s28, s51
	v_add_nc_u32_e32 v6, s50, v6
	s_and_b32 s50, s11, exec_lo
	s_delay_alu instid0(SALU_CYCLE_1)
	s_or_b32 s49, s49, s50
	s_or_b32 exec_lo, exec_lo, s29
	s_and_saveexec_b32 s29, s49
	s_cbranch_execnz .LBB14_289
.LBB14_294:                             ;   in Loop: Header=BB14_136 Depth=2
	s_or_b32 exec_lo, exec_lo, s29
	s_and_saveexec_b32 s29, s28
	s_cbranch_execz .LBB14_296
.LBB14_295:                             ;   in Loop: Header=BB14_136 Depth=2
	v_ashrrev_i32_e32 v7, 31, v6
	s_delay_alu instid0(VALU_DEP_1) | instskip(NEXT) | instid1(VALU_DEP_1)
	v_lshlrev_b64 v[6:7], 2, v[6:7]
	v_add_co_u32 v6, vcc_lo, s15, v6
	s_delay_alu instid0(VALU_DEP_2)
	v_add_co_ci_u32_e32 v7, vcc_lo, s23, v7, vcc_lo
	s_waitcnt vmcnt(0)
	global_store_b32 v[6:7], v8, off
.LBB14_296:                             ;   in Loop: Header=BB14_136 Depth=2
	s_or_b32 exec_lo, exec_lo, s29
	v_cmp_gt_i32_e32 vcc_lo, 0, v10
	s_waitcnt vmcnt(0)
	v_add_nc_u32_e32 v8, 2, v4
	s_mov_b32 s49, 0
	s_mov_b32 s28, 0
	s_mov_b32 s29, exec_lo
	v_cndmask_b32_e64 v6, 0x7fffffff, 0, vcc_lo
	s_delay_alu instid0(VALU_DEP_1) | instskip(NEXT) | instid1(VALU_DEP_1)
	v_xor_b32_e32 v7, v6, v10
                                        ; implicit-def: $vgpr6
	v_cmpx_ge_u32_e64 v7, v33
	s_xor_b32 s29, exec_lo, s29
	s_cbranch_execz .LBB14_306
; %bb.297:                              ;   in Loop: Header=BB14_136 Depth=2
	s_mov_b32 s50, 0
	s_mov_b32 s28, exec_lo
                                        ; implicit-def: $vgpr6
	v_cmpx_eq_u32_e64 v7, v33
	s_cbranch_execz .LBB14_303
; %bb.298:                              ;   in Loop: Header=BB14_136 Depth=2
	s_mov_b32 s50, exec_lo
	s_mov_b32 s49, exec_lo
	v_mbcnt_lo_u32_b32 v6, s50, 0
                                        ; implicit-def: $vgpr7
	s_delay_alu instid0(VALU_DEP_1)
	v_cmpx_eq_u32_e32 0, v6
	s_cbranch_execz .LBB14_300
; %bb.299:                              ;   in Loop: Header=BB14_136 Depth=2
	s_bcnt1_i32_b32 s50, s50
	s_delay_alu instid0(SALU_CYCLE_1)
	v_mov_b32_e32 v7, s50
	global_atomic_add_u32 v7, v28, v7, s[8:9] offset:512 glc
.LBB14_300:                             ;   in Loop: Header=BB14_136 Depth=2
	s_or_b32 exec_lo, exec_lo, s49
	s_waitcnt vmcnt(0)
	v_readfirstlane_b32 s49, v7
	s_mov_b32 s50, 0
	s_mov_b32 s51, exec_lo
	s_delay_alu instid0(VALU_DEP_1) | instskip(SKIP_1) | instid1(VALU_DEP_1)
	v_add_nc_u32_e32 v7, s49, v6
	s_mov_b32 s49, 0
                                        ; implicit-def: $vgpr6
	v_cmpx_lt_i32_e64 v7, v34
; %bb.301:                              ;   in Loop: Header=BB14_136 Depth=2
	v_xad_u32 v6, v7, -1, s22
	s_and_b32 s50, s47, exec_lo
	s_and_b32 s49, s11, exec_lo
; %bb.302:                              ;   in Loop: Header=BB14_136 Depth=2
	s_or_b32 exec_lo, exec_lo, s51
	s_delay_alu instid0(SALU_CYCLE_1)
	s_and_b32 s50, s50, exec_lo
	s_and_b32 s49, s49, exec_lo
.LBB14_303:                             ;   in Loop: Header=BB14_136 Depth=2
	s_or_b32 exec_lo, exec_lo, s28
	s_delay_alu instid0(SALU_CYCLE_1)
	s_and_b32 s28, s50, exec_lo
	s_and_b32 s49, s49, exec_lo
	s_and_not1_saveexec_b32 s29, s29
	s_cbranch_execnz .LBB14_307
.LBB14_304:                             ;   in Loop: Header=BB14_136 Depth=2
	s_or_b32 exec_lo, exec_lo, s29
	s_and_saveexec_b32 s29, s49
	s_cbranch_execz .LBB14_310
.LBB14_305:                             ;   in Loop: Header=BB14_136 Depth=2
	v_lshlrev_b64 v[7:8], 2, v[4:5]
	s_or_b32 s28, s28, exec_lo
	s_delay_alu instid0(VALU_DEP_1) | instskip(NEXT) | instid1(VALU_DEP_2)
	v_add_co_u32 v7, vcc_lo, s34, v7
	v_add_co_ci_u32_e32 v8, vcc_lo, s35, v8, vcc_lo
	global_load_b32 v8, v[7:8], off
	s_or_b32 exec_lo, exec_lo, s29
	s_and_saveexec_b32 s29, s28
	s_cbranch_execnz .LBB14_311
	s_branch .LBB14_312
.LBB14_306:                             ;   in Loop: Header=BB14_136 Depth=2
	s_and_not1_saveexec_b32 s29, s29
	s_cbranch_execz .LBB14_304
.LBB14_307:                             ;   in Loop: Header=BB14_136 Depth=2
	s_mov_b32 s51, exec_lo
	s_mov_b32 s50, exec_lo
	v_mbcnt_lo_u32_b32 v6, s51, 0
                                        ; implicit-def: $vgpr7
	s_delay_alu instid0(VALU_DEP_1)
	v_cmpx_eq_u32_e32 0, v6
	s_cbranch_execz .LBB14_309
; %bb.308:                              ;   in Loop: Header=BB14_136 Depth=2
	s_bcnt1_i32_b32 s51, s51
	s_delay_alu instid0(SALU_CYCLE_1)
	v_mov_b32_e32 v7, s51
	global_atomic_add_u32 v7, v28, v7, s[8:9] offset:384 glc
.LBB14_309:                             ;   in Loop: Header=BB14_136 Depth=2
	s_or_b32 exec_lo, exec_lo, s50
	s_waitcnt vmcnt(0)
	v_readfirstlane_b32 s50, v7
	s_and_not1_b32 s28, s28, exec_lo
	s_and_b32 s51, s47, exec_lo
	s_and_not1_b32 s49, s49, exec_lo
	s_or_b32 s28, s28, s51
	v_add_nc_u32_e32 v6, s50, v6
	s_and_b32 s50, s11, exec_lo
	s_delay_alu instid0(SALU_CYCLE_1)
	s_or_b32 s49, s49, s50
	s_or_b32 exec_lo, exec_lo, s29
	s_and_saveexec_b32 s29, s49
	s_cbranch_execnz .LBB14_305
.LBB14_310:                             ;   in Loop: Header=BB14_136 Depth=2
	s_or_b32 exec_lo, exec_lo, s29
	s_and_saveexec_b32 s29, s28
	s_cbranch_execz .LBB14_312
.LBB14_311:                             ;   in Loop: Header=BB14_136 Depth=2
	v_ashrrev_i32_e32 v7, 31, v6
	s_delay_alu instid0(VALU_DEP_1) | instskip(NEXT) | instid1(VALU_DEP_1)
	v_lshlrev_b64 v[6:7], 2, v[6:7]
	v_add_co_u32 v6, vcc_lo, s15, v6
	s_delay_alu instid0(VALU_DEP_2)
	v_add_co_ci_u32_e32 v7, vcc_lo, s23, v7, vcc_lo
	s_waitcnt vmcnt(0)
	global_store_b32 v[6:7], v8, off
.LBB14_312:                             ;   in Loop: Header=BB14_136 Depth=2
	s_or_b32 exec_lo, exec_lo, s29
	v_cmp_gt_i32_e32 vcc_lo, 0, v11
	s_waitcnt vmcnt(0)
	v_add_nc_u32_e32 v8, 3, v4
	s_mov_b32 s49, 0
	s_mov_b32 s28, 0
	s_mov_b32 s29, exec_lo
	v_cndmask_b32_e64 v6, 0x7fffffff, 0, vcc_lo
	s_delay_alu instid0(VALU_DEP_1) | instskip(NEXT) | instid1(VALU_DEP_1)
	v_xor_b32_e32 v7, v6, v11
                                        ; implicit-def: $vgpr6
	v_cmpx_ge_u32_e64 v7, v33
	s_xor_b32 s29, exec_lo, s29
	s_cbranch_execz .LBB14_322
; %bb.313:                              ;   in Loop: Header=BB14_136 Depth=2
	s_mov_b32 s50, 0
	s_mov_b32 s28, exec_lo
                                        ; implicit-def: $vgpr6
	v_cmpx_eq_u32_e64 v7, v33
	s_cbranch_execz .LBB14_319
; %bb.314:                              ;   in Loop: Header=BB14_136 Depth=2
	s_mov_b32 s50, exec_lo
	s_mov_b32 s49, exec_lo
	v_mbcnt_lo_u32_b32 v6, s50, 0
                                        ; implicit-def: $vgpr7
	s_delay_alu instid0(VALU_DEP_1)
	v_cmpx_eq_u32_e32 0, v6
	s_cbranch_execz .LBB14_316
; %bb.315:                              ;   in Loop: Header=BB14_136 Depth=2
	s_bcnt1_i32_b32 s50, s50
	s_delay_alu instid0(SALU_CYCLE_1)
	v_mov_b32_e32 v7, s50
	global_atomic_add_u32 v7, v28, v7, s[8:9] offset:512 glc
.LBB14_316:                             ;   in Loop: Header=BB14_136 Depth=2
	s_or_b32 exec_lo, exec_lo, s49
	s_waitcnt vmcnt(0)
	v_readfirstlane_b32 s49, v7
	s_mov_b32 s50, 0
	s_mov_b32 s51, exec_lo
	s_delay_alu instid0(VALU_DEP_1) | instskip(SKIP_1) | instid1(VALU_DEP_1)
	v_add_nc_u32_e32 v7, s49, v6
	s_mov_b32 s49, 0
                                        ; implicit-def: $vgpr6
	v_cmpx_lt_i32_e64 v7, v34
; %bb.317:                              ;   in Loop: Header=BB14_136 Depth=2
	v_xad_u32 v6, v7, -1, s22
	s_and_b32 s50, s47, exec_lo
	s_and_b32 s49, s11, exec_lo
; %bb.318:                              ;   in Loop: Header=BB14_136 Depth=2
	s_or_b32 exec_lo, exec_lo, s51
	s_delay_alu instid0(SALU_CYCLE_1)
	s_and_b32 s50, s50, exec_lo
	s_and_b32 s49, s49, exec_lo
.LBB14_319:                             ;   in Loop: Header=BB14_136 Depth=2
	s_or_b32 exec_lo, exec_lo, s28
	s_delay_alu instid0(SALU_CYCLE_1)
	s_and_b32 s28, s50, exec_lo
	s_and_b32 s49, s49, exec_lo
	s_and_not1_saveexec_b32 s29, s29
	s_cbranch_execnz .LBB14_323
.LBB14_320:                             ;   in Loop: Header=BB14_136 Depth=2
	s_or_b32 exec_lo, exec_lo, s29
	s_and_saveexec_b32 s29, s49
	s_cbranch_execz .LBB14_326
.LBB14_321:                             ;   in Loop: Header=BB14_136 Depth=2
	v_lshlrev_b64 v[4:5], 2, v[4:5]
	s_or_b32 s28, s28, exec_lo
	s_delay_alu instid0(VALU_DEP_1) | instskip(NEXT) | instid1(VALU_DEP_2)
	v_add_co_u32 v4, vcc_lo, s36, v4
	v_add_co_ci_u32_e32 v5, vcc_lo, s37, v5, vcc_lo
	global_load_b32 v8, v[4:5], off
	s_or_b32 exec_lo, exec_lo, s29
	s_and_saveexec_b32 s29, s28
	s_cbranch_execnz .LBB14_327
	s_branch .LBB14_328
.LBB14_322:                             ;   in Loop: Header=BB14_136 Depth=2
	s_and_not1_saveexec_b32 s29, s29
	s_cbranch_execz .LBB14_320
.LBB14_323:                             ;   in Loop: Header=BB14_136 Depth=2
	s_mov_b32 s51, exec_lo
	s_mov_b32 s50, exec_lo
	v_mbcnt_lo_u32_b32 v6, s51, 0
                                        ; implicit-def: $vgpr7
	s_delay_alu instid0(VALU_DEP_1)
	v_cmpx_eq_u32_e32 0, v6
	s_cbranch_execz .LBB14_325
; %bb.324:                              ;   in Loop: Header=BB14_136 Depth=2
	s_bcnt1_i32_b32 s51, s51
	s_delay_alu instid0(SALU_CYCLE_1)
	v_mov_b32_e32 v7, s51
	global_atomic_add_u32 v7, v28, v7, s[8:9] offset:384 glc
.LBB14_325:                             ;   in Loop: Header=BB14_136 Depth=2
	s_or_b32 exec_lo, exec_lo, s50
	s_waitcnt vmcnt(0)
	v_readfirstlane_b32 s50, v7
	s_and_not1_b32 s28, s28, exec_lo
	s_and_b32 s51, s47, exec_lo
	s_and_not1_b32 s49, s49, exec_lo
	s_or_b32 s28, s28, s51
	v_add_nc_u32_e32 v6, s50, v6
	s_and_b32 s50, s11, exec_lo
	s_delay_alu instid0(SALU_CYCLE_1)
	s_or_b32 s49, s49, s50
	s_or_b32 exec_lo, exec_lo, s29
	s_and_saveexec_b32 s29, s49
	s_cbranch_execnz .LBB14_321
.LBB14_326:                             ;   in Loop: Header=BB14_136 Depth=2
	s_or_b32 exec_lo, exec_lo, s29
	s_and_saveexec_b32 s29, s28
	s_cbranch_execz .LBB14_328
.LBB14_327:                             ;   in Loop: Header=BB14_136 Depth=2
	v_ashrrev_i32_e32 v7, 31, v6
	s_delay_alu instid0(VALU_DEP_1) | instskip(NEXT) | instid1(VALU_DEP_1)
	v_lshlrev_b64 v[4:5], 2, v[6:7]
	v_add_co_u32 v4, vcc_lo, s15, v4
	s_delay_alu instid0(VALU_DEP_2)
	v_add_co_ci_u32_e32 v5, vcc_lo, s23, v5, vcc_lo
	s_waitcnt vmcnt(0)
	global_store_b32 v[4:5], v8, off
.LBB14_328:                             ;   in Loop: Header=BB14_136 Depth=2
	s_or_b32 exec_lo, exec_lo, s29
	v_cmp_gt_i32_e32 vcc_lo, 0, v0
	s_mov_b32 s49, 0
	s_mov_b32 s29, 0
	s_mov_b32 s28, exec_lo
                                        ; implicit-def: $vgpr6
	v_cndmask_b32_e64 v4, 0x7fffffff, 0, vcc_lo
	s_delay_alu instid0(VALU_DEP_1) | instskip(SKIP_1) | instid1(VALU_DEP_2)
	v_xor_b32_e32 v5, v4, v0
	v_lshl_add_u32 v4, v37, 2, s18
                                        ; implicit-def: $vgpr0
	v_cmpx_ge_u32_e64 v5, v33
	s_xor_b32 s28, exec_lo, s28
	s_cbranch_execz .LBB14_338
; %bb.329:                              ;   in Loop: Header=BB14_136 Depth=2
	s_mov_b32 s50, 0
	s_mov_b32 s29, exec_lo
                                        ; implicit-def: $vgpr6
	v_cmpx_eq_u32_e64 v5, v33
	s_cbranch_execz .LBB14_335
; %bb.330:                              ;   in Loop: Header=BB14_136 Depth=2
	s_mov_b32 s50, exec_lo
	s_mov_b32 s49, exec_lo
	v_mbcnt_lo_u32_b32 v0, s50, 0
                                        ; implicit-def: $vgpr5
	s_delay_alu instid0(VALU_DEP_1)
	v_cmpx_eq_u32_e32 0, v0
	s_cbranch_execz .LBB14_332
; %bb.331:                              ;   in Loop: Header=BB14_136 Depth=2
	s_bcnt1_i32_b32 s50, s50
	s_delay_alu instid0(SALU_CYCLE_1)
	v_mov_b32_e32 v5, s50
	global_atomic_add_u32 v5, v28, v5, s[8:9] offset:512 glc
.LBB14_332:                             ;   in Loop: Header=BB14_136 Depth=2
	s_or_b32 exec_lo, exec_lo, s49
	s_waitcnt vmcnt(0)
	v_readfirstlane_b32 s49, v5
	s_mov_b32 s50, 0
	s_mov_b32 s51, exec_lo
                                        ; implicit-def: $vgpr6
	s_delay_alu instid0(VALU_DEP_1) | instskip(SKIP_1) | instid1(VALU_DEP_1)
	v_add_nc_u32_e32 v0, s49, v0
	s_mov_b32 s49, 0
	v_cmpx_lt_i32_e64 v0, v34
	s_xor_b32 s51, exec_lo, s51
; %bb.333:                              ;   in Loop: Header=BB14_136 Depth=2
	v_xad_u32 v6, v0, -1, s22
	s_and_b32 s50, s47, exec_lo
	s_and_b32 s49, s11, exec_lo
; %bb.334:                              ;   in Loop: Header=BB14_136 Depth=2
	s_or_b32 exec_lo, exec_lo, s51
	s_delay_alu instid0(SALU_CYCLE_1)
	s_and_b32 s50, s50, exec_lo
	s_and_b32 s49, s49, exec_lo
.LBB14_335:                             ;   in Loop: Header=BB14_136 Depth=2
	s_or_b32 exec_lo, exec_lo, s29
	v_mov_b32_e32 v0, v4
	s_and_b32 s29, s50, exec_lo
	s_and_b32 s49, s49, exec_lo
	s_and_not1_saveexec_b32 s28, s28
	s_cbranch_execnz .LBB14_339
.LBB14_336:                             ;   in Loop: Header=BB14_136 Depth=2
	s_or_b32 exec_lo, exec_lo, s28
	v_ashrrev_i32_e32 v5, 31, v4
	s_and_saveexec_b32 s28, s49
	s_cbranch_execz .LBB14_342
.LBB14_337:                             ;   in Loop: Header=BB14_136 Depth=2
	s_waitcnt vmcnt(0)
	s_delay_alu instid0(VALU_DEP_1) | instskip(SKIP_1) | instid1(VALU_DEP_1)
	v_lshlrev_b64 v[7:8], 2, v[4:5]
	s_or_b32 s29, s29, exec_lo
	v_add_co_u32 v7, vcc_lo, s12, v7
	s_delay_alu instid0(VALU_DEP_2)
	v_add_co_ci_u32_e32 v8, vcc_lo, s13, v8, vcc_lo
	global_load_b32 v0, v[7:8], off
	s_or_b32 exec_lo, exec_lo, s28
	s_and_saveexec_b32 s28, s29
	s_cbranch_execnz .LBB14_343
	s_branch .LBB14_344
.LBB14_338:                             ;   in Loop: Header=BB14_136 Depth=2
	s_and_not1_saveexec_b32 s28, s28
	s_cbranch_execz .LBB14_336
.LBB14_339:                             ;   in Loop: Header=BB14_136 Depth=2
	s_mov_b32 s51, exec_lo
	s_mov_b32 s50, exec_lo
	v_mbcnt_lo_u32_b32 v0, s51, 0
                                        ; implicit-def: $vgpr5
	s_delay_alu instid0(VALU_DEP_1)
	v_cmpx_eq_u32_e32 0, v0
	s_cbranch_execz .LBB14_341
; %bb.340:                              ;   in Loop: Header=BB14_136 Depth=2
	s_bcnt1_i32_b32 s51, s51
	s_delay_alu instid0(SALU_CYCLE_1)
	v_mov_b32_e32 v5, s51
	global_atomic_add_u32 v5, v28, v5, s[8:9] offset:384 glc
.LBB14_341:                             ;   in Loop: Header=BB14_136 Depth=2
	s_or_b32 exec_lo, exec_lo, s50
	s_waitcnt vmcnt(0)
	v_readfirstlane_b32 s50, v5
	s_and_not1_b32 s29, s29, exec_lo
	s_and_b32 s51, s47, exec_lo
	s_and_not1_b32 s49, s49, exec_lo
	s_or_b32 s29, s29, s51
	v_add_nc_u32_e32 v6, s50, v0
	v_mov_b32_e32 v0, v4
	s_and_b32 s50, s11, exec_lo
	s_delay_alu instid0(SALU_CYCLE_1)
	s_or_b32 s49, s49, s50
	s_or_b32 exec_lo, exec_lo, s28
	v_ashrrev_i32_e32 v5, 31, v4
	s_and_saveexec_b32 s28, s49
	s_cbranch_execnz .LBB14_337
.LBB14_342:                             ;   in Loop: Header=BB14_136 Depth=2
	s_or_b32 exec_lo, exec_lo, s28
	s_and_saveexec_b32 s28, s29
	s_cbranch_execz .LBB14_344
.LBB14_343:                             ;   in Loop: Header=BB14_136 Depth=2
	v_ashrrev_i32_e32 v7, 31, v6
	s_delay_alu instid0(VALU_DEP_1) | instskip(NEXT) | instid1(VALU_DEP_1)
	v_lshlrev_b64 v[6:7], 2, v[6:7]
	v_add_co_u32 v6, vcc_lo, s15, v6
	s_delay_alu instid0(VALU_DEP_2)
	v_add_co_ci_u32_e32 v7, vcc_lo, s23, v7, vcc_lo
	s_waitcnt vmcnt(0)
	global_store_b32 v[6:7], v0, off
.LBB14_344:                             ;   in Loop: Header=BB14_136 Depth=2
	s_or_b32 exec_lo, exec_lo, s28
	v_cmp_gt_i32_e32 vcc_lo, 0, v1
	v_add_nc_u32_e32 v6, 1, v4
	s_mov_b32 s49, 0
	s_mov_b32 s28, 0
	s_mov_b32 s29, exec_lo
	s_waitcnt vmcnt(0)
	v_cndmask_b32_e64 v0, 0x7fffffff, 0, vcc_lo
	s_delay_alu instid0(VALU_DEP_1) | instskip(NEXT) | instid1(VALU_DEP_1)
	v_xor_b32_e32 v1, v0, v1
                                        ; implicit-def: $vgpr0
	v_cmpx_ge_u32_e64 v1, v33
	s_xor_b32 s29, exec_lo, s29
	s_cbranch_execz .LBB14_354
; %bb.345:                              ;   in Loop: Header=BB14_136 Depth=2
	s_mov_b32 s50, 0
	s_mov_b32 s28, exec_lo
                                        ; implicit-def: $vgpr0
	v_cmpx_eq_u32_e64 v1, v33
	s_cbranch_execz .LBB14_351
; %bb.346:                              ;   in Loop: Header=BB14_136 Depth=2
	s_mov_b32 s50, exec_lo
	s_mov_b32 s49, exec_lo
	v_mbcnt_lo_u32_b32 v0, s50, 0
                                        ; implicit-def: $vgpr1
	s_delay_alu instid0(VALU_DEP_1)
	v_cmpx_eq_u32_e32 0, v0
	s_cbranch_execz .LBB14_348
; %bb.347:                              ;   in Loop: Header=BB14_136 Depth=2
	s_bcnt1_i32_b32 s50, s50
	s_delay_alu instid0(SALU_CYCLE_1)
	v_mov_b32_e32 v1, s50
	global_atomic_add_u32 v1, v28, v1, s[8:9] offset:512 glc
.LBB14_348:                             ;   in Loop: Header=BB14_136 Depth=2
	s_or_b32 exec_lo, exec_lo, s49
	s_waitcnt vmcnt(0)
	v_readfirstlane_b32 s49, v1
	s_mov_b32 s50, 0
	s_mov_b32 s51, exec_lo
	s_delay_alu instid0(VALU_DEP_1) | instskip(SKIP_1) | instid1(VALU_DEP_1)
	v_add_nc_u32_e32 v1, s49, v0
	s_mov_b32 s49, 0
                                        ; implicit-def: $vgpr0
	v_cmpx_lt_i32_e64 v1, v34
; %bb.349:                              ;   in Loop: Header=BB14_136 Depth=2
	v_xad_u32 v0, v1, -1, s22
	s_and_b32 s50, s47, exec_lo
	s_and_b32 s49, s11, exec_lo
; %bb.350:                              ;   in Loop: Header=BB14_136 Depth=2
	s_or_b32 exec_lo, exec_lo, s51
	s_delay_alu instid0(SALU_CYCLE_1)
	s_and_b32 s50, s50, exec_lo
	s_and_b32 s49, s49, exec_lo
.LBB14_351:                             ;   in Loop: Header=BB14_136 Depth=2
	s_or_b32 exec_lo, exec_lo, s28
	s_delay_alu instid0(SALU_CYCLE_1)
	s_and_b32 s28, s50, exec_lo
	s_and_b32 s49, s49, exec_lo
	s_and_not1_saveexec_b32 s29, s29
	s_cbranch_execnz .LBB14_355
.LBB14_352:                             ;   in Loop: Header=BB14_136 Depth=2
	s_or_b32 exec_lo, exec_lo, s29
	s_and_saveexec_b32 s29, s49
	s_cbranch_execz .LBB14_358
.LBB14_353:                             ;   in Loop: Header=BB14_136 Depth=2
	v_lshlrev_b64 v[6:7], 2, v[4:5]
	s_or_b32 s28, s28, exec_lo
	s_delay_alu instid0(VALU_DEP_1) | instskip(NEXT) | instid1(VALU_DEP_2)
	v_add_co_u32 v6, vcc_lo, s14, v6
	v_add_co_ci_u32_e32 v7, vcc_lo, s19, v7, vcc_lo
	global_load_b32 v6, v[6:7], off
	s_or_b32 exec_lo, exec_lo, s29
	s_and_saveexec_b32 s29, s28
	s_cbranch_execnz .LBB14_359
	s_branch .LBB14_360
.LBB14_354:                             ;   in Loop: Header=BB14_136 Depth=2
	s_and_not1_saveexec_b32 s29, s29
	s_cbranch_execz .LBB14_352
.LBB14_355:                             ;   in Loop: Header=BB14_136 Depth=2
	s_mov_b32 s51, exec_lo
	s_mov_b32 s50, exec_lo
	v_mbcnt_lo_u32_b32 v0, s51, 0
                                        ; implicit-def: $vgpr1
	s_delay_alu instid0(VALU_DEP_1)
	v_cmpx_eq_u32_e32 0, v0
	s_cbranch_execz .LBB14_357
; %bb.356:                              ;   in Loop: Header=BB14_136 Depth=2
	s_bcnt1_i32_b32 s51, s51
	s_delay_alu instid0(SALU_CYCLE_1)
	v_mov_b32_e32 v1, s51
	global_atomic_add_u32 v1, v28, v1, s[8:9] offset:384 glc
.LBB14_357:                             ;   in Loop: Header=BB14_136 Depth=2
	s_or_b32 exec_lo, exec_lo, s50
	s_waitcnt vmcnt(0)
	v_readfirstlane_b32 s50, v1
	s_and_not1_b32 s28, s28, exec_lo
	s_and_b32 s51, s47, exec_lo
	s_and_not1_b32 s49, s49, exec_lo
	s_or_b32 s28, s28, s51
	v_add_nc_u32_e32 v0, s50, v0
	s_and_b32 s50, s11, exec_lo
	s_delay_alu instid0(SALU_CYCLE_1)
	s_or_b32 s49, s49, s50
	s_or_b32 exec_lo, exec_lo, s29
	s_and_saveexec_b32 s29, s49
	s_cbranch_execnz .LBB14_353
.LBB14_358:                             ;   in Loop: Header=BB14_136 Depth=2
	s_or_b32 exec_lo, exec_lo, s29
	s_and_saveexec_b32 s29, s28
	s_cbranch_execz .LBB14_360
.LBB14_359:                             ;   in Loop: Header=BB14_136 Depth=2
	v_ashrrev_i32_e32 v1, 31, v0
	s_delay_alu instid0(VALU_DEP_1) | instskip(NEXT) | instid1(VALU_DEP_1)
	v_lshlrev_b64 v[0:1], 2, v[0:1]
	v_add_co_u32 v0, vcc_lo, s15, v0
	s_delay_alu instid0(VALU_DEP_2)
	v_add_co_ci_u32_e32 v1, vcc_lo, s23, v1, vcc_lo
	s_waitcnt vmcnt(0)
	global_store_b32 v[0:1], v6, off
.LBB14_360:                             ;   in Loop: Header=BB14_136 Depth=2
	s_or_b32 exec_lo, exec_lo, s29
	v_cmp_gt_i32_e32 vcc_lo, 0, v2
	s_mov_b32 s49, 0
	s_mov_b32 s28, 0
	s_mov_b32 s29, exec_lo
	v_cndmask_b32_e64 v0, 0x7fffffff, 0, vcc_lo
	s_delay_alu instid0(VALU_DEP_1) | instskip(SKIP_1) | instid1(VALU_DEP_2)
	v_xor_b32_e32 v1, v0, v2
	v_add_nc_u32_e32 v2, 2, v4
                                        ; implicit-def: $vgpr0
	v_cmpx_ge_u32_e64 v1, v33
	s_xor_b32 s29, exec_lo, s29
	s_cbranch_execz .LBB14_370
; %bb.361:                              ;   in Loop: Header=BB14_136 Depth=2
	s_mov_b32 s50, 0
	s_mov_b32 s28, exec_lo
                                        ; implicit-def: $vgpr0
	v_cmpx_eq_u32_e64 v1, v33
	s_cbranch_execz .LBB14_367
; %bb.362:                              ;   in Loop: Header=BB14_136 Depth=2
	s_mov_b32 s50, exec_lo
	s_mov_b32 s49, exec_lo
	v_mbcnt_lo_u32_b32 v0, s50, 0
                                        ; implicit-def: $vgpr1
	s_delay_alu instid0(VALU_DEP_1)
	v_cmpx_eq_u32_e32 0, v0
	s_cbranch_execz .LBB14_364
; %bb.363:                              ;   in Loop: Header=BB14_136 Depth=2
	s_bcnt1_i32_b32 s50, s50
	s_delay_alu instid0(SALU_CYCLE_1)
	v_mov_b32_e32 v1, s50
	global_atomic_add_u32 v1, v28, v1, s[8:9] offset:512 glc
.LBB14_364:                             ;   in Loop: Header=BB14_136 Depth=2
	s_or_b32 exec_lo, exec_lo, s49
	s_waitcnt vmcnt(0)
	v_readfirstlane_b32 s49, v1
	s_mov_b32 s50, 0
	s_mov_b32 s51, exec_lo
	s_delay_alu instid0(VALU_DEP_1) | instskip(SKIP_1) | instid1(VALU_DEP_1)
	v_add_nc_u32_e32 v1, s49, v0
	s_mov_b32 s49, 0
                                        ; implicit-def: $vgpr0
	v_cmpx_lt_i32_e64 v1, v34
; %bb.365:                              ;   in Loop: Header=BB14_136 Depth=2
	v_xad_u32 v0, v1, -1, s22
	s_and_b32 s50, s47, exec_lo
	s_and_b32 s49, s11, exec_lo
; %bb.366:                              ;   in Loop: Header=BB14_136 Depth=2
	s_or_b32 exec_lo, exec_lo, s51
	s_delay_alu instid0(SALU_CYCLE_1)
	s_and_b32 s50, s50, exec_lo
	s_and_b32 s49, s49, exec_lo
.LBB14_367:                             ;   in Loop: Header=BB14_136 Depth=2
	s_or_b32 exec_lo, exec_lo, s28
	s_delay_alu instid0(SALU_CYCLE_1)
	s_and_b32 s28, s50, exec_lo
	s_and_b32 s49, s49, exec_lo
	s_and_not1_saveexec_b32 s29, s29
	s_cbranch_execnz .LBB14_371
.LBB14_368:                             ;   in Loop: Header=BB14_136 Depth=2
	s_or_b32 exec_lo, exec_lo, s29
	s_and_saveexec_b32 s29, s49
	s_cbranch_execz .LBB14_374
.LBB14_369:                             ;   in Loop: Header=BB14_136 Depth=2
	v_lshlrev_b64 v[1:2], 2, v[4:5]
	s_or_b32 s28, s28, exec_lo
	s_delay_alu instid0(VALU_DEP_1) | instskip(NEXT) | instid1(VALU_DEP_2)
	v_add_co_u32 v1, vcc_lo, s34, v1
	v_add_co_ci_u32_e32 v2, vcc_lo, s35, v2, vcc_lo
	global_load_b32 v2, v[1:2], off
	s_or_b32 exec_lo, exec_lo, s29
	s_and_saveexec_b32 s29, s28
	s_cbranch_execnz .LBB14_375
	s_branch .LBB14_376
.LBB14_370:                             ;   in Loop: Header=BB14_136 Depth=2
	s_and_not1_saveexec_b32 s29, s29
	s_cbranch_execz .LBB14_368
.LBB14_371:                             ;   in Loop: Header=BB14_136 Depth=2
	s_mov_b32 s51, exec_lo
	s_mov_b32 s50, exec_lo
	v_mbcnt_lo_u32_b32 v0, s51, 0
                                        ; implicit-def: $vgpr1
	s_delay_alu instid0(VALU_DEP_1)
	v_cmpx_eq_u32_e32 0, v0
	s_cbranch_execz .LBB14_373
; %bb.372:                              ;   in Loop: Header=BB14_136 Depth=2
	s_bcnt1_i32_b32 s51, s51
	s_delay_alu instid0(SALU_CYCLE_1)
	v_mov_b32_e32 v1, s51
	global_atomic_add_u32 v1, v28, v1, s[8:9] offset:384 glc
.LBB14_373:                             ;   in Loop: Header=BB14_136 Depth=2
	s_or_b32 exec_lo, exec_lo, s50
	s_waitcnt vmcnt(0)
	v_readfirstlane_b32 s50, v1
	s_and_not1_b32 s28, s28, exec_lo
	s_and_b32 s51, s47, exec_lo
	s_and_not1_b32 s49, s49, exec_lo
	s_or_b32 s28, s28, s51
	v_add_nc_u32_e32 v0, s50, v0
	s_and_b32 s50, s11, exec_lo
	s_delay_alu instid0(SALU_CYCLE_1)
	s_or_b32 s49, s49, s50
	s_or_b32 exec_lo, exec_lo, s29
	s_and_saveexec_b32 s29, s49
	s_cbranch_execnz .LBB14_369
.LBB14_374:                             ;   in Loop: Header=BB14_136 Depth=2
	s_or_b32 exec_lo, exec_lo, s29
	s_and_saveexec_b32 s29, s28
	s_cbranch_execz .LBB14_376
.LBB14_375:                             ;   in Loop: Header=BB14_136 Depth=2
	v_ashrrev_i32_e32 v1, 31, v0
	s_delay_alu instid0(VALU_DEP_1) | instskip(NEXT) | instid1(VALU_DEP_1)
	v_lshlrev_b64 v[0:1], 2, v[0:1]
	v_add_co_u32 v0, vcc_lo, s15, v0
	s_delay_alu instid0(VALU_DEP_2)
	v_add_co_ci_u32_e32 v1, vcc_lo, s23, v1, vcc_lo
	s_waitcnt vmcnt(0)
	global_store_b32 v[0:1], v2, off
.LBB14_376:                             ;   in Loop: Header=BB14_136 Depth=2
	s_or_b32 exec_lo, exec_lo, s29
	v_cmp_gt_i32_e32 vcc_lo, 0, v3
	s_waitcnt vmcnt(0)
	v_add_nc_u32_e32 v2, 3, v4
	s_mov_b32 s49, 0
	s_mov_b32 s28, 0
	s_mov_b32 s29, exec_lo
	v_cndmask_b32_e64 v0, 0x7fffffff, 0, vcc_lo
	s_delay_alu instid0(VALU_DEP_1) | instskip(NEXT) | instid1(VALU_DEP_1)
	v_xor_b32_e32 v1, v0, v3
                                        ; implicit-def: $vgpr0
	v_cmpx_ge_u32_e64 v1, v33
	s_xor_b32 s29, exec_lo, s29
	s_cbranch_execz .LBB14_386
; %bb.377:                              ;   in Loop: Header=BB14_136 Depth=2
	s_mov_b32 s50, 0
	s_mov_b32 s28, exec_lo
                                        ; implicit-def: $vgpr0
	v_cmpx_eq_u32_e64 v1, v33
	s_cbranch_execz .LBB14_383
; %bb.378:                              ;   in Loop: Header=BB14_136 Depth=2
	s_mov_b32 s50, exec_lo
	s_mov_b32 s49, exec_lo
	v_mbcnt_lo_u32_b32 v0, s50, 0
                                        ; implicit-def: $vgpr1
	s_delay_alu instid0(VALU_DEP_1)
	v_cmpx_eq_u32_e32 0, v0
	s_cbranch_execz .LBB14_380
; %bb.379:                              ;   in Loop: Header=BB14_136 Depth=2
	s_bcnt1_i32_b32 s50, s50
	s_delay_alu instid0(SALU_CYCLE_1)
	v_mov_b32_e32 v1, s50
	global_atomic_add_u32 v1, v28, v1, s[8:9] offset:512 glc
.LBB14_380:                             ;   in Loop: Header=BB14_136 Depth=2
	s_or_b32 exec_lo, exec_lo, s49
	s_waitcnt vmcnt(0)
	v_readfirstlane_b32 s49, v1
	s_mov_b32 s50, 0
	s_mov_b32 s51, exec_lo
	s_delay_alu instid0(VALU_DEP_1) | instskip(SKIP_1) | instid1(VALU_DEP_1)
	v_add_nc_u32_e32 v1, s49, v0
	s_mov_b32 s49, 0
                                        ; implicit-def: $vgpr0
	v_cmpx_lt_i32_e64 v1, v34
; %bb.381:                              ;   in Loop: Header=BB14_136 Depth=2
	v_xad_u32 v0, v1, -1, s22
	s_and_b32 s50, s47, exec_lo
	s_and_b32 s49, s11, exec_lo
; %bb.382:                              ;   in Loop: Header=BB14_136 Depth=2
	s_or_b32 exec_lo, exec_lo, s51
	s_delay_alu instid0(SALU_CYCLE_1)
	s_and_b32 s50, s50, exec_lo
	s_and_b32 s49, s49, exec_lo
.LBB14_383:                             ;   in Loop: Header=BB14_136 Depth=2
	s_or_b32 exec_lo, exec_lo, s28
	s_delay_alu instid0(SALU_CYCLE_1)
	s_and_b32 s28, s50, exec_lo
	s_and_b32 s49, s49, exec_lo
	s_and_not1_saveexec_b32 s29, s29
	s_cbranch_execnz .LBB14_387
.LBB14_384:                             ;   in Loop: Header=BB14_136 Depth=2
	s_or_b32 exec_lo, exec_lo, s29
	s_and_saveexec_b32 s29, s49
	s_cbranch_execz .LBB14_390
.LBB14_385:                             ;   in Loop: Header=BB14_136 Depth=2
	v_lshlrev_b64 v[1:2], 2, v[4:5]
	s_or_b32 s28, s28, exec_lo
	s_delay_alu instid0(VALU_DEP_1) | instskip(NEXT) | instid1(VALU_DEP_2)
	v_add_co_u32 v1, vcc_lo, s36, v1
	v_add_co_ci_u32_e32 v2, vcc_lo, s37, v2, vcc_lo
	global_load_b32 v2, v[1:2], off
	s_or_b32 exec_lo, exec_lo, s29
	s_and_saveexec_b32 s29, s28
	s_cbranch_execz .LBB14_135
	s_branch .LBB14_391
.LBB14_386:                             ;   in Loop: Header=BB14_136 Depth=2
	s_and_not1_saveexec_b32 s29, s29
	s_cbranch_execz .LBB14_384
.LBB14_387:                             ;   in Loop: Header=BB14_136 Depth=2
	s_mov_b32 s51, exec_lo
	s_mov_b32 s50, exec_lo
	v_mbcnt_lo_u32_b32 v0, s51, 0
                                        ; implicit-def: $vgpr1
	s_delay_alu instid0(VALU_DEP_1)
	v_cmpx_eq_u32_e32 0, v0
	s_cbranch_execz .LBB14_389
; %bb.388:                              ;   in Loop: Header=BB14_136 Depth=2
	s_bcnt1_i32_b32 s51, s51
	s_delay_alu instid0(SALU_CYCLE_1)
	v_mov_b32_e32 v1, s51
	global_atomic_add_u32 v1, v28, v1, s[8:9] offset:384 glc
.LBB14_389:                             ;   in Loop: Header=BB14_136 Depth=2
	s_or_b32 exec_lo, exec_lo, s50
	s_waitcnt vmcnt(0)
	v_readfirstlane_b32 s50, v1
	s_and_not1_b32 s28, s28, exec_lo
	s_and_b32 s51, s47, exec_lo
	s_and_not1_b32 s49, s49, exec_lo
	s_or_b32 s28, s28, s51
	v_add_nc_u32_e32 v0, s50, v0
	s_and_b32 s50, s11, exec_lo
	s_delay_alu instid0(SALU_CYCLE_1)
	s_or_b32 s49, s49, s50
	s_or_b32 exec_lo, exec_lo, s29
	s_and_saveexec_b32 s29, s49
	s_cbranch_execnz .LBB14_385
.LBB14_390:                             ;   in Loop: Header=BB14_136 Depth=2
	s_or_b32 exec_lo, exec_lo, s29
	s_and_saveexec_b32 s29, s28
	s_cbranch_execz .LBB14_135
.LBB14_391:                             ;   in Loop: Header=BB14_136 Depth=2
	v_ashrrev_i32_e32 v1, 31, v0
	s_delay_alu instid0(VALU_DEP_1) | instskip(NEXT) | instid1(VALU_DEP_1)
	v_lshlrev_b64 v[0:1], 2, v[0:1]
	v_add_co_u32 v0, vcc_lo, s15, v0
	s_delay_alu instid0(VALU_DEP_2)
	v_add_co_ci_u32_e32 v1, vcc_lo, s23, v1, vcc_lo
	s_waitcnt vmcnt(0)
	global_store_b32 v[0:1], v2, off
	s_branch .LBB14_135
.LBB14_392:                             ;   in Loop: Header=BB14_18 Depth=1
	s_or_b32 exec_lo, exec_lo, s27
	s_delay_alu instid0(SALU_CYCLE_1) | instskip(NEXT) | instid1(SALU_CYCLE_1)
	s_or_b32 exec_lo, exec_lo, s6
	s_mov_b32 s6, exec_lo
	v_cmpx_gt_i32_e64 s16, v35
	s_cbranch_execz .LBB14_459
.LBB14_393:                             ;   in Loop: Header=BB14_18 Depth=1
	v_lshl_add_u32 v4, v35, 2, s18
	s_mov_b32 s27, 0
	s_branch .LBB14_395
.LBB14_394:                             ;   in Loop: Header=BB14_395 Depth=2
	s_or_b32 exec_lo, exec_lo, s29
	v_add_nc_u32_e32 v35, s10, v35
	v_add_nc_u32_e32 v4, s33, v4
	s_delay_alu instid0(VALU_DEP_2) | instskip(SKIP_1) | instid1(SALU_CYCLE_1)
	v_cmp_le_i32_e32 vcc_lo, s16, v35
	s_or_b32 s27, vcc_lo, s27
	s_and_not1_b32 exec_lo, exec_lo, s27
	s_cbranch_execz .LBB14_459
.LBB14_395:                             ;   Parent Loop BB14_18 Depth=1
                                        ; =>  This Inner Loop Header: Depth=2
	v_ashrrev_i32_e32 v36, 31, v35
	s_mov_b32 s49, 0
	s_mov_b32 s29, 0
	s_mov_b32 s28, exec_lo
                                        ; implicit-def: $vgpr6
	s_delay_alu instid0(VALU_DEP_1) | instskip(NEXT) | instid1(VALU_DEP_1)
	v_lshlrev_b64 v[0:1], 4, v[35:36]
	v_add_co_u32 v0, vcc_lo, s30, v0
	s_delay_alu instid0(VALU_DEP_2) | instskip(SKIP_4) | instid1(VALU_DEP_1)
	v_add_co_ci_u32_e32 v1, vcc_lo, s31, v1, vcc_lo
	global_load_b128 v[0:3], v[0:1], off
	s_waitcnt vmcnt(0)
	v_cmp_gt_i32_e32 vcc_lo, 0, v0
	v_cndmask_b32_e64 v5, 0x7fffffff, 0, vcc_lo
	v_xor_b32_e32 v5, v5, v0
                                        ; implicit-def: $vgpr0
	s_waitcnt lgkmcnt(0)
	s_delay_alu instid0(VALU_DEP_1)
	v_cmpx_ge_u32_e64 v5, v33
	s_xor_b32 s28, exec_lo, s28
	s_cbranch_execz .LBB14_405
; %bb.396:                              ;   in Loop: Header=BB14_395 Depth=2
	s_mov_b32 s50, 0
	s_mov_b32 s29, exec_lo
                                        ; implicit-def: $vgpr6
	v_cmpx_eq_u32_e64 v5, v33
	s_cbranch_execz .LBB14_402
; %bb.397:                              ;   in Loop: Header=BB14_395 Depth=2
	s_mov_b32 s50, exec_lo
	s_mov_b32 s49, exec_lo
	v_mbcnt_lo_u32_b32 v0, s50, 0
                                        ; implicit-def: $vgpr5
	s_delay_alu instid0(VALU_DEP_1)
	v_cmpx_eq_u32_e32 0, v0
	s_cbranch_execz .LBB14_399
; %bb.398:                              ;   in Loop: Header=BB14_395 Depth=2
	s_bcnt1_i32_b32 s50, s50
	s_delay_alu instid0(SALU_CYCLE_1)
	v_mov_b32_e32 v5, s50
	global_atomic_add_u32 v5, v28, v5, s[8:9] offset:512 glc
.LBB14_399:                             ;   in Loop: Header=BB14_395 Depth=2
	s_or_b32 exec_lo, exec_lo, s49
	s_waitcnt vmcnt(0)
	v_readfirstlane_b32 s49, v5
	s_mov_b32 s50, 0
	s_mov_b32 s51, exec_lo
                                        ; implicit-def: $vgpr6
	s_delay_alu instid0(VALU_DEP_1) | instskip(SKIP_1) | instid1(VALU_DEP_1)
	v_add_nc_u32_e32 v0, s49, v0
	s_mov_b32 s49, 0
	v_cmpx_lt_i32_e64 v0, v34
	s_xor_b32 s51, exec_lo, s51
; %bb.400:                              ;   in Loop: Header=BB14_395 Depth=2
	v_xad_u32 v6, v0, -1, s22
	s_mov_b32 s50, exec_lo
	s_and_b32 s49, s11, exec_lo
; %bb.401:                              ;   in Loop: Header=BB14_395 Depth=2
	s_or_b32 exec_lo, exec_lo, s51
	s_delay_alu instid0(SALU_CYCLE_1)
	s_and_b32 s50, s50, exec_lo
	s_and_b32 s49, s49, exec_lo
.LBB14_402:                             ;   in Loop: Header=BB14_395 Depth=2
	s_or_b32 exec_lo, exec_lo, s29
	v_mov_b32_e32 v0, v4
	s_and_b32 s29, s50, exec_lo
	s_and_b32 s49, s49, exec_lo
	s_and_not1_saveexec_b32 s28, s28
	s_cbranch_execnz .LBB14_406
.LBB14_403:                             ;   in Loop: Header=BB14_395 Depth=2
	s_or_b32 exec_lo, exec_lo, s28
	v_ashrrev_i32_e32 v5, 31, v4
	s_and_saveexec_b32 s28, s49
	s_cbranch_execz .LBB14_409
.LBB14_404:                             ;   in Loop: Header=BB14_395 Depth=2
	s_delay_alu instid0(VALU_DEP_1) | instskip(SKIP_1) | instid1(VALU_DEP_1)
	v_lshlrev_b64 v[7:8], 2, v[4:5]
	s_or_b32 s29, s29, exec_lo
	v_add_co_u32 v7, vcc_lo, s12, v7
	s_delay_alu instid0(VALU_DEP_2)
	v_add_co_ci_u32_e32 v8, vcc_lo, s13, v8, vcc_lo
	global_load_b32 v0, v[7:8], off
	s_or_b32 exec_lo, exec_lo, s28
	s_and_saveexec_b32 s28, s29
	s_cbranch_execnz .LBB14_410
	s_branch .LBB14_411
.LBB14_405:                             ;   in Loop: Header=BB14_395 Depth=2
	s_and_not1_saveexec_b32 s28, s28
	s_cbranch_execz .LBB14_403
.LBB14_406:                             ;   in Loop: Header=BB14_395 Depth=2
	s_mov_b32 s51, exec_lo
	s_mov_b32 s50, exec_lo
	v_mbcnt_lo_u32_b32 v0, s51, 0
                                        ; implicit-def: $vgpr5
	s_delay_alu instid0(VALU_DEP_1)
	v_cmpx_eq_u32_e32 0, v0
	s_cbranch_execz .LBB14_408
; %bb.407:                              ;   in Loop: Header=BB14_395 Depth=2
	s_bcnt1_i32_b32 s51, s51
	s_delay_alu instid0(SALU_CYCLE_1)
	v_mov_b32_e32 v5, s51
	global_atomic_add_u32 v5, v28, v5, s[8:9] offset:384 glc
.LBB14_408:                             ;   in Loop: Header=BB14_395 Depth=2
	s_or_b32 exec_lo, exec_lo, s50
	s_waitcnt vmcnt(0)
	v_readfirstlane_b32 s50, v5
	s_and_not1_b32 s29, s29, exec_lo
	s_and_b32 s51, s47, exec_lo
	s_and_not1_b32 s49, s49, exec_lo
	s_or_b32 s29, s29, s51
	v_add_nc_u32_e32 v6, s50, v0
	v_mov_b32_e32 v0, v4
	s_and_b32 s50, s11, exec_lo
	s_delay_alu instid0(SALU_CYCLE_1)
	s_or_b32 s49, s49, s50
	s_or_b32 exec_lo, exec_lo, s28
	v_ashrrev_i32_e32 v5, 31, v4
	s_and_saveexec_b32 s28, s49
	s_cbranch_execnz .LBB14_404
.LBB14_409:                             ;   in Loop: Header=BB14_395 Depth=2
	s_or_b32 exec_lo, exec_lo, s28
	s_and_saveexec_b32 s28, s29
	s_cbranch_execz .LBB14_411
.LBB14_410:                             ;   in Loop: Header=BB14_395 Depth=2
	v_ashrrev_i32_e32 v7, 31, v6
	s_delay_alu instid0(VALU_DEP_1) | instskip(NEXT) | instid1(VALU_DEP_1)
	v_lshlrev_b64 v[6:7], 2, v[6:7]
	v_add_co_u32 v6, vcc_lo, s15, v6
	s_delay_alu instid0(VALU_DEP_2)
	v_add_co_ci_u32_e32 v7, vcc_lo, s23, v7, vcc_lo
	s_waitcnt vmcnt(0)
	global_store_b32 v[6:7], v0, off
.LBB14_411:                             ;   in Loop: Header=BB14_395 Depth=2
	s_or_b32 exec_lo, exec_lo, s28
	v_cmp_gt_i32_e32 vcc_lo, 0, v1
	v_add_nc_u32_e32 v6, 1, v4
	s_mov_b32 s49, 0
	s_mov_b32 s28, 0
	s_mov_b32 s29, exec_lo
	s_waitcnt vmcnt(0)
	v_cndmask_b32_e64 v0, 0x7fffffff, 0, vcc_lo
	s_delay_alu instid0(VALU_DEP_1) | instskip(NEXT) | instid1(VALU_DEP_1)
	v_xor_b32_e32 v1, v0, v1
                                        ; implicit-def: $vgpr0
	v_cmpx_ge_u32_e64 v1, v33
	s_xor_b32 s29, exec_lo, s29
	s_cbranch_execz .LBB14_421
; %bb.412:                              ;   in Loop: Header=BB14_395 Depth=2
	s_mov_b32 s50, 0
	s_mov_b32 s28, exec_lo
                                        ; implicit-def: $vgpr0
	v_cmpx_eq_u32_e64 v1, v33
	s_cbranch_execz .LBB14_418
; %bb.413:                              ;   in Loop: Header=BB14_395 Depth=2
	s_mov_b32 s50, exec_lo
	s_mov_b32 s49, exec_lo
	v_mbcnt_lo_u32_b32 v0, s50, 0
                                        ; implicit-def: $vgpr1
	s_delay_alu instid0(VALU_DEP_1)
	v_cmpx_eq_u32_e32 0, v0
	s_cbranch_execz .LBB14_415
; %bb.414:                              ;   in Loop: Header=BB14_395 Depth=2
	s_bcnt1_i32_b32 s50, s50
	s_delay_alu instid0(SALU_CYCLE_1)
	v_mov_b32_e32 v1, s50
	global_atomic_add_u32 v1, v28, v1, s[8:9] offset:512 glc
.LBB14_415:                             ;   in Loop: Header=BB14_395 Depth=2
	s_or_b32 exec_lo, exec_lo, s49
	s_waitcnt vmcnt(0)
	v_readfirstlane_b32 s49, v1
	s_mov_b32 s50, 0
	s_mov_b32 s51, exec_lo
	s_delay_alu instid0(VALU_DEP_1) | instskip(SKIP_1) | instid1(VALU_DEP_1)
	v_add_nc_u32_e32 v1, s49, v0
	s_mov_b32 s49, 0
                                        ; implicit-def: $vgpr0
	v_cmpx_lt_i32_e64 v1, v34
; %bb.416:                              ;   in Loop: Header=BB14_395 Depth=2
	v_xad_u32 v0, v1, -1, s22
	s_and_b32 s50, s47, exec_lo
	s_and_b32 s49, s11, exec_lo
; %bb.417:                              ;   in Loop: Header=BB14_395 Depth=2
	s_or_b32 exec_lo, exec_lo, s51
	s_delay_alu instid0(SALU_CYCLE_1)
	s_and_b32 s50, s50, exec_lo
	s_and_b32 s49, s49, exec_lo
.LBB14_418:                             ;   in Loop: Header=BB14_395 Depth=2
	s_or_b32 exec_lo, exec_lo, s28
	s_delay_alu instid0(SALU_CYCLE_1)
	s_and_b32 s28, s50, exec_lo
	s_and_b32 s49, s49, exec_lo
	s_and_not1_saveexec_b32 s29, s29
	s_cbranch_execnz .LBB14_422
.LBB14_419:                             ;   in Loop: Header=BB14_395 Depth=2
	s_or_b32 exec_lo, exec_lo, s29
	s_and_saveexec_b32 s29, s49
	s_cbranch_execz .LBB14_425
.LBB14_420:                             ;   in Loop: Header=BB14_395 Depth=2
	v_lshlrev_b64 v[6:7], 2, v[4:5]
	s_or_b32 s28, s28, exec_lo
	s_delay_alu instid0(VALU_DEP_1) | instskip(NEXT) | instid1(VALU_DEP_2)
	v_add_co_u32 v6, vcc_lo, s14, v6
	v_add_co_ci_u32_e32 v7, vcc_lo, s19, v7, vcc_lo
	global_load_b32 v6, v[6:7], off
	s_or_b32 exec_lo, exec_lo, s29
	s_and_saveexec_b32 s29, s28
	s_cbranch_execnz .LBB14_426
	s_branch .LBB14_427
.LBB14_421:                             ;   in Loop: Header=BB14_395 Depth=2
	s_and_not1_saveexec_b32 s29, s29
	s_cbranch_execz .LBB14_419
.LBB14_422:                             ;   in Loop: Header=BB14_395 Depth=2
	s_mov_b32 s51, exec_lo
	s_mov_b32 s50, exec_lo
	v_mbcnt_lo_u32_b32 v0, s51, 0
                                        ; implicit-def: $vgpr1
	s_delay_alu instid0(VALU_DEP_1)
	v_cmpx_eq_u32_e32 0, v0
	s_cbranch_execz .LBB14_424
; %bb.423:                              ;   in Loop: Header=BB14_395 Depth=2
	s_bcnt1_i32_b32 s51, s51
	s_delay_alu instid0(SALU_CYCLE_1)
	v_mov_b32_e32 v1, s51
	global_atomic_add_u32 v1, v28, v1, s[8:9] offset:384 glc
.LBB14_424:                             ;   in Loop: Header=BB14_395 Depth=2
	s_or_b32 exec_lo, exec_lo, s50
	s_waitcnt vmcnt(0)
	v_readfirstlane_b32 s50, v1
	s_and_not1_b32 s49, s49, exec_lo
	s_or_b32 s28, s28, exec_lo
	s_delay_alu instid0(VALU_DEP_1) | instskip(SKIP_1) | instid1(SALU_CYCLE_1)
	v_add_nc_u32_e32 v0, s50, v0
	s_and_b32 s50, s11, exec_lo
	s_or_b32 s49, s49, s50
	s_or_b32 exec_lo, exec_lo, s29
	s_and_saveexec_b32 s29, s49
	s_cbranch_execnz .LBB14_420
.LBB14_425:                             ;   in Loop: Header=BB14_395 Depth=2
	s_or_b32 exec_lo, exec_lo, s29
	s_and_saveexec_b32 s29, s28
	s_cbranch_execz .LBB14_427
.LBB14_426:                             ;   in Loop: Header=BB14_395 Depth=2
	v_ashrrev_i32_e32 v1, 31, v0
	s_delay_alu instid0(VALU_DEP_1) | instskip(NEXT) | instid1(VALU_DEP_1)
	v_lshlrev_b64 v[0:1], 2, v[0:1]
	v_add_co_u32 v0, vcc_lo, s15, v0
	s_delay_alu instid0(VALU_DEP_2)
	v_add_co_ci_u32_e32 v1, vcc_lo, s23, v1, vcc_lo
	s_waitcnt vmcnt(0)
	global_store_b32 v[0:1], v6, off
.LBB14_427:                             ;   in Loop: Header=BB14_395 Depth=2
	s_or_b32 exec_lo, exec_lo, s29
	v_cmp_gt_i32_e32 vcc_lo, 0, v2
	s_mov_b32 s49, 0
	s_mov_b32 s28, 0
	s_mov_b32 s29, exec_lo
	v_cndmask_b32_e64 v0, 0x7fffffff, 0, vcc_lo
	s_delay_alu instid0(VALU_DEP_1) | instskip(SKIP_1) | instid1(VALU_DEP_2)
	v_xor_b32_e32 v1, v0, v2
	v_add_nc_u32_e32 v2, 2, v4
                                        ; implicit-def: $vgpr0
	v_cmpx_ge_u32_e64 v1, v33
	s_xor_b32 s29, exec_lo, s29
	s_cbranch_execz .LBB14_437
; %bb.428:                              ;   in Loop: Header=BB14_395 Depth=2
	s_mov_b32 s50, 0
	s_mov_b32 s28, exec_lo
                                        ; implicit-def: $vgpr0
	v_cmpx_eq_u32_e64 v1, v33
	s_cbranch_execz .LBB14_434
; %bb.429:                              ;   in Loop: Header=BB14_395 Depth=2
	s_mov_b32 s50, exec_lo
	s_mov_b32 s49, exec_lo
	v_mbcnt_lo_u32_b32 v0, s50, 0
                                        ; implicit-def: $vgpr1
	s_delay_alu instid0(VALU_DEP_1)
	v_cmpx_eq_u32_e32 0, v0
	s_cbranch_execz .LBB14_431
; %bb.430:                              ;   in Loop: Header=BB14_395 Depth=2
	s_bcnt1_i32_b32 s50, s50
	s_delay_alu instid0(SALU_CYCLE_1)
	v_mov_b32_e32 v1, s50
	global_atomic_add_u32 v1, v28, v1, s[8:9] offset:512 glc
.LBB14_431:                             ;   in Loop: Header=BB14_395 Depth=2
	s_or_b32 exec_lo, exec_lo, s49
	s_waitcnt vmcnt(0)
	v_readfirstlane_b32 s49, v1
	s_mov_b32 s50, 0
	s_mov_b32 s51, exec_lo
	s_delay_alu instid0(VALU_DEP_1) | instskip(SKIP_1) | instid1(VALU_DEP_1)
	v_add_nc_u32_e32 v1, s49, v0
	s_mov_b32 s49, 0
                                        ; implicit-def: $vgpr0
	v_cmpx_lt_i32_e64 v1, v34
; %bb.432:                              ;   in Loop: Header=BB14_395 Depth=2
	v_xad_u32 v0, v1, -1, s22
	s_and_b32 s50, s47, exec_lo
	s_and_b32 s49, s11, exec_lo
; %bb.433:                              ;   in Loop: Header=BB14_395 Depth=2
	s_or_b32 exec_lo, exec_lo, s51
	s_delay_alu instid0(SALU_CYCLE_1)
	s_and_b32 s50, s50, exec_lo
	s_and_b32 s49, s49, exec_lo
.LBB14_434:                             ;   in Loop: Header=BB14_395 Depth=2
	s_or_b32 exec_lo, exec_lo, s28
	s_delay_alu instid0(SALU_CYCLE_1)
	s_and_b32 s28, s50, exec_lo
	s_and_b32 s49, s49, exec_lo
	s_and_not1_saveexec_b32 s29, s29
	s_cbranch_execnz .LBB14_438
.LBB14_435:                             ;   in Loop: Header=BB14_395 Depth=2
	s_or_b32 exec_lo, exec_lo, s29
	s_and_saveexec_b32 s29, s49
	s_cbranch_execz .LBB14_441
.LBB14_436:                             ;   in Loop: Header=BB14_395 Depth=2
	v_lshlrev_b64 v[1:2], 2, v[4:5]
	s_or_b32 s28, s28, exec_lo
	s_delay_alu instid0(VALU_DEP_1) | instskip(NEXT) | instid1(VALU_DEP_2)
	v_add_co_u32 v1, vcc_lo, s34, v1
	v_add_co_ci_u32_e32 v2, vcc_lo, s35, v2, vcc_lo
	global_load_b32 v2, v[1:2], off
	s_or_b32 exec_lo, exec_lo, s29
	s_and_saveexec_b32 s29, s28
	s_cbranch_execnz .LBB14_442
	s_branch .LBB14_443
.LBB14_437:                             ;   in Loop: Header=BB14_395 Depth=2
	s_and_not1_saveexec_b32 s29, s29
	s_cbranch_execz .LBB14_435
.LBB14_438:                             ;   in Loop: Header=BB14_395 Depth=2
	s_mov_b32 s51, exec_lo
	s_mov_b32 s50, exec_lo
	v_mbcnt_lo_u32_b32 v0, s51, 0
                                        ; implicit-def: $vgpr1
	s_delay_alu instid0(VALU_DEP_1)
	v_cmpx_eq_u32_e32 0, v0
	s_cbranch_execz .LBB14_440
; %bb.439:                              ;   in Loop: Header=BB14_395 Depth=2
	s_bcnt1_i32_b32 s51, s51
	s_delay_alu instid0(SALU_CYCLE_1)
	v_mov_b32_e32 v1, s51
	global_atomic_add_u32 v1, v28, v1, s[8:9] offset:384 glc
.LBB14_440:                             ;   in Loop: Header=BB14_395 Depth=2
	s_or_b32 exec_lo, exec_lo, s50
	s_waitcnt vmcnt(0)
	v_readfirstlane_b32 s50, v1
	s_and_not1_b32 s49, s49, exec_lo
	s_or_b32 s28, s28, exec_lo
	s_delay_alu instid0(VALU_DEP_1) | instskip(SKIP_1) | instid1(SALU_CYCLE_1)
	v_add_nc_u32_e32 v0, s50, v0
	s_and_b32 s50, s11, exec_lo
	s_or_b32 s49, s49, s50
	s_or_b32 exec_lo, exec_lo, s29
	s_and_saveexec_b32 s29, s49
	s_cbranch_execnz .LBB14_436
.LBB14_441:                             ;   in Loop: Header=BB14_395 Depth=2
	s_or_b32 exec_lo, exec_lo, s29
	s_and_saveexec_b32 s29, s28
	s_cbranch_execz .LBB14_443
.LBB14_442:                             ;   in Loop: Header=BB14_395 Depth=2
	v_ashrrev_i32_e32 v1, 31, v0
	s_delay_alu instid0(VALU_DEP_1) | instskip(NEXT) | instid1(VALU_DEP_1)
	v_lshlrev_b64 v[0:1], 2, v[0:1]
	v_add_co_u32 v0, vcc_lo, s15, v0
	s_delay_alu instid0(VALU_DEP_2)
	v_add_co_ci_u32_e32 v1, vcc_lo, s23, v1, vcc_lo
	s_waitcnt vmcnt(0)
	global_store_b32 v[0:1], v2, off
.LBB14_443:                             ;   in Loop: Header=BB14_395 Depth=2
	s_or_b32 exec_lo, exec_lo, s29
	v_cmp_gt_i32_e32 vcc_lo, 0, v3
	s_waitcnt vmcnt(0)
	v_add_nc_u32_e32 v2, 3, v4
	s_mov_b32 s49, 0
	s_mov_b32 s28, 0
	s_mov_b32 s29, exec_lo
	v_cndmask_b32_e64 v0, 0x7fffffff, 0, vcc_lo
	s_delay_alu instid0(VALU_DEP_1) | instskip(NEXT) | instid1(VALU_DEP_1)
	v_xor_b32_e32 v1, v0, v3
                                        ; implicit-def: $vgpr0
	v_cmpx_ge_u32_e64 v1, v33
	s_xor_b32 s29, exec_lo, s29
	s_cbranch_execz .LBB14_453
; %bb.444:                              ;   in Loop: Header=BB14_395 Depth=2
	s_mov_b32 s50, 0
	s_mov_b32 s28, exec_lo
                                        ; implicit-def: $vgpr0
	v_cmpx_eq_u32_e64 v1, v33
	s_cbranch_execz .LBB14_450
; %bb.445:                              ;   in Loop: Header=BB14_395 Depth=2
	s_mov_b32 s50, exec_lo
	s_mov_b32 s49, exec_lo
	v_mbcnt_lo_u32_b32 v0, s50, 0
                                        ; implicit-def: $vgpr1
	s_delay_alu instid0(VALU_DEP_1)
	v_cmpx_eq_u32_e32 0, v0
	s_cbranch_execz .LBB14_447
; %bb.446:                              ;   in Loop: Header=BB14_395 Depth=2
	s_bcnt1_i32_b32 s50, s50
	s_delay_alu instid0(SALU_CYCLE_1)
	v_mov_b32_e32 v1, s50
	global_atomic_add_u32 v1, v28, v1, s[8:9] offset:512 glc
.LBB14_447:                             ;   in Loop: Header=BB14_395 Depth=2
	s_or_b32 exec_lo, exec_lo, s49
	s_waitcnt vmcnt(0)
	v_readfirstlane_b32 s49, v1
	s_mov_b32 s50, 0
	s_mov_b32 s51, exec_lo
	s_delay_alu instid0(VALU_DEP_1) | instskip(SKIP_1) | instid1(VALU_DEP_1)
	v_add_nc_u32_e32 v1, s49, v0
	s_mov_b32 s49, 0
                                        ; implicit-def: $vgpr0
	v_cmpx_lt_i32_e64 v1, v34
; %bb.448:                              ;   in Loop: Header=BB14_395 Depth=2
	v_xad_u32 v0, v1, -1, s22
	s_and_b32 s50, s47, exec_lo
	s_and_b32 s49, s11, exec_lo
; %bb.449:                              ;   in Loop: Header=BB14_395 Depth=2
	s_or_b32 exec_lo, exec_lo, s51
	s_delay_alu instid0(SALU_CYCLE_1)
	s_and_b32 s50, s50, exec_lo
	s_and_b32 s49, s49, exec_lo
.LBB14_450:                             ;   in Loop: Header=BB14_395 Depth=2
	s_or_b32 exec_lo, exec_lo, s28
	s_delay_alu instid0(SALU_CYCLE_1)
	s_and_b32 s28, s50, exec_lo
	s_and_b32 s49, s49, exec_lo
	s_and_not1_saveexec_b32 s29, s29
	s_cbranch_execnz .LBB14_454
.LBB14_451:                             ;   in Loop: Header=BB14_395 Depth=2
	s_or_b32 exec_lo, exec_lo, s29
	s_and_saveexec_b32 s29, s49
	s_cbranch_execz .LBB14_457
.LBB14_452:                             ;   in Loop: Header=BB14_395 Depth=2
	v_lshlrev_b64 v[1:2], 2, v[4:5]
	s_or_b32 s28, s28, exec_lo
	s_delay_alu instid0(VALU_DEP_1) | instskip(NEXT) | instid1(VALU_DEP_2)
	v_add_co_u32 v1, vcc_lo, s36, v1
	v_add_co_ci_u32_e32 v2, vcc_lo, s37, v2, vcc_lo
	global_load_b32 v2, v[1:2], off
	s_or_b32 exec_lo, exec_lo, s29
	s_and_saveexec_b32 s29, s28
	s_cbranch_execz .LBB14_394
	s_branch .LBB14_458
.LBB14_453:                             ;   in Loop: Header=BB14_395 Depth=2
	s_and_not1_saveexec_b32 s29, s29
	s_cbranch_execz .LBB14_451
.LBB14_454:                             ;   in Loop: Header=BB14_395 Depth=2
	s_mov_b32 s51, exec_lo
	s_mov_b32 s50, exec_lo
	v_mbcnt_lo_u32_b32 v0, s51, 0
                                        ; implicit-def: $vgpr1
	s_delay_alu instid0(VALU_DEP_1)
	v_cmpx_eq_u32_e32 0, v0
	s_cbranch_execz .LBB14_456
; %bb.455:                              ;   in Loop: Header=BB14_395 Depth=2
	s_bcnt1_i32_b32 s51, s51
	s_delay_alu instid0(SALU_CYCLE_1)
	v_mov_b32_e32 v1, s51
	global_atomic_add_u32 v1, v28, v1, s[8:9] offset:384 glc
.LBB14_456:                             ;   in Loop: Header=BB14_395 Depth=2
	s_or_b32 exec_lo, exec_lo, s50
	s_waitcnt vmcnt(0)
	v_readfirstlane_b32 s50, v1
	s_and_not1_b32 s49, s49, exec_lo
	s_or_b32 s28, s28, exec_lo
	s_delay_alu instid0(VALU_DEP_1) | instskip(SKIP_1) | instid1(SALU_CYCLE_1)
	v_add_nc_u32_e32 v0, s50, v0
	s_and_b32 s50, s11, exec_lo
	s_or_b32 s49, s49, s50
	s_or_b32 exec_lo, exec_lo, s29
	s_and_saveexec_b32 s29, s49
	s_cbranch_execnz .LBB14_452
.LBB14_457:                             ;   in Loop: Header=BB14_395 Depth=2
	s_or_b32 exec_lo, exec_lo, s29
	s_and_saveexec_b32 s29, s28
	s_cbranch_execz .LBB14_394
.LBB14_458:                             ;   in Loop: Header=BB14_395 Depth=2
	v_ashrrev_i32_e32 v1, 31, v0
	s_delay_alu instid0(VALU_DEP_1) | instskip(NEXT) | instid1(VALU_DEP_1)
	v_lshlrev_b64 v[0:1], 2, v[0:1]
	v_add_co_u32 v0, vcc_lo, s15, v0
	s_delay_alu instid0(VALU_DEP_2)
	v_add_co_ci_u32_e32 v1, vcc_lo, s23, v1, vcc_lo
	s_waitcnt vmcnt(0)
	global_store_b32 v[0:1], v2, off
	s_branch .LBB14_394
.LBB14_459:                             ;   in Loop: Header=BB14_18 Depth=1
	s_or_b32 exec_lo, exec_lo, s6
	s_and_saveexec_b32 s6, s1
	s_cbranch_execz .LBB14_476
; %bb.460:                              ;   in Loop: Header=BB14_18 Depth=1
	global_load_b32 v0, v[19:20], off
	s_mov_b32 s29, 0
	s_mov_b32 s28, 0
	s_mov_b32 s27, exec_lo
                                        ; implicit-def: $vgpr2
	s_waitcnt vmcnt(0)
	v_cmp_gt_i32_e32 vcc_lo, 0, v0
	v_cndmask_b32_e64 v1, 0x7fffffff, 0, vcc_lo
	s_delay_alu instid0(VALU_DEP_1) | instskip(SKIP_1) | instid1(VALU_DEP_1)
	v_xor_b32_e32 v1, v1, v0
                                        ; implicit-def: $vgpr0
	s_waitcnt lgkmcnt(0)
	v_cmpx_ge_u32_e64 v1, v33
	s_xor_b32 s27, exec_lo, s27
	s_cbranch_execz .LBB14_470
; %bb.461:                              ;   in Loop: Header=BB14_18 Depth=1
	s_mov_b32 s49, 0
	s_mov_b32 s28, exec_lo
                                        ; implicit-def: $vgpr0
	v_cmpx_eq_u32_e64 v1, v33
	s_cbranch_execz .LBB14_467
; %bb.462:                              ;   in Loop: Header=BB14_18 Depth=1
	s_mov_b32 s49, exec_lo
	s_mov_b32 s29, exec_lo
	v_mbcnt_lo_u32_b32 v0, s49, 0
                                        ; implicit-def: $vgpr1
	s_delay_alu instid0(VALU_DEP_1)
	v_cmpx_eq_u32_e32 0, v0
	s_cbranch_execz .LBB14_464
; %bb.463:                              ;   in Loop: Header=BB14_18 Depth=1
	s_bcnt1_i32_b32 s49, s49
	s_delay_alu instid0(SALU_CYCLE_1)
	v_mov_b32_e32 v1, s49
	global_atomic_add_u32 v1, v28, v1, s[8:9] offset:512 glc
.LBB14_464:                             ;   in Loop: Header=BB14_18 Depth=1
	s_or_b32 exec_lo, exec_lo, s29
	s_waitcnt vmcnt(0)
	v_readfirstlane_b32 s29, v1
	s_mov_b32 s49, 0
	s_mov_b32 s50, exec_lo
	s_delay_alu instid0(VALU_DEP_1) | instskip(SKIP_1) | instid1(VALU_DEP_1)
	v_add_nc_u32_e32 v1, s29, v0
	s_mov_b32 s29, 0
                                        ; implicit-def: $vgpr0
	v_cmpx_lt_i32_e64 v1, v34
	s_xor_b32 s50, exec_lo, s50
; %bb.465:                              ;   in Loop: Header=BB14_18 Depth=1
	v_xad_u32 v0, v1, -1, s22
	s_and_b32 s49, s47, exec_lo
	s_and_b32 s29, s11, exec_lo
; %bb.466:                              ;   in Loop: Header=BB14_18 Depth=1
	s_or_b32 exec_lo, exec_lo, s50
	s_delay_alu instid0(SALU_CYCLE_1)
	s_and_b32 s49, s49, exec_lo
	s_and_b32 s29, s29, exec_lo
.LBB14_467:                             ;   in Loop: Header=BB14_18 Depth=1
	s_or_b32 exec_lo, exec_lo, s28
	v_mov_b32_e32 v2, v14
	s_and_b32 s28, s49, exec_lo
	s_and_b32 s29, s29, exec_lo
	s_and_not1_saveexec_b32 s27, s27
	s_cbranch_execnz .LBB14_471
.LBB14_468:                             ;   in Loop: Header=BB14_18 Depth=1
	s_or_b32 exec_lo, exec_lo, s27
	s_and_saveexec_b32 s27, s29
	s_cbranch_execz .LBB14_474
.LBB14_469:                             ;   in Loop: Header=BB14_18 Depth=1
	global_load_b32 v2, v[21:22], off
	s_or_b32 s28, s28, exec_lo
	s_or_b32 exec_lo, exec_lo, s27
	s_delay_alu instid0(SALU_CYCLE_1)
	s_and_b32 exec_lo, exec_lo, s28
	s_cbranch_execnz .LBB14_475
	s_branch .LBB14_476
.LBB14_470:                             ;   in Loop: Header=BB14_18 Depth=1
	s_and_not1_saveexec_b32 s27, s27
	s_cbranch_execz .LBB14_468
.LBB14_471:                             ;   in Loop: Header=BB14_18 Depth=1
	s_mov_b32 s50, exec_lo
	s_mov_b32 s49, exec_lo
	v_mbcnt_lo_u32_b32 v0, s50, 0
                                        ; implicit-def: $vgpr1
	s_delay_alu instid0(VALU_DEP_1)
	v_cmpx_eq_u32_e32 0, v0
	s_cbranch_execz .LBB14_473
; %bb.472:                              ;   in Loop: Header=BB14_18 Depth=1
	s_bcnt1_i32_b32 s50, s50
	s_delay_alu instid0(SALU_CYCLE_1)
	v_mov_b32_e32 v1, s50
	global_atomic_add_u32 v1, v28, v1, s[8:9] offset:384 glc
.LBB14_473:                             ;   in Loop: Header=BB14_18 Depth=1
	s_or_b32 exec_lo, exec_lo, s49
	s_waitcnt vmcnt(0)
	v_readfirstlane_b32 s49, v1
	v_mov_b32_e32 v2, v14
	s_and_not1_b32 s28, s28, exec_lo
	s_and_b32 s50, s47, exec_lo
	s_and_not1_b32 s29, s29, exec_lo
	v_add_nc_u32_e32 v0, s49, v0
	s_and_b32 s49, s11, exec_lo
	s_or_b32 s28, s28, s50
	s_or_b32 s29, s29, s49
	s_or_b32 exec_lo, exec_lo, s27
	s_and_saveexec_b32 s27, s29
	s_cbranch_execnz .LBB14_469
.LBB14_474:                             ;   in Loop: Header=BB14_18 Depth=1
	s_or_b32 exec_lo, exec_lo, s27
	s_delay_alu instid0(SALU_CYCLE_1)
	s_and_b32 exec_lo, exec_lo, s28
	s_cbranch_execz .LBB14_476
.LBB14_475:                             ;   in Loop: Header=BB14_18 Depth=1
	v_ashrrev_i32_e32 v1, 31, v0
	s_delay_alu instid0(VALU_DEP_1) | instskip(NEXT) | instid1(VALU_DEP_1)
	v_lshlrev_b64 v[0:1], 2, v[0:1]
	v_add_co_u32 v0, vcc_lo, s15, v0
	s_delay_alu instid0(VALU_DEP_2)
	v_add_co_ci_u32_e32 v1, vcc_lo, s23, v1, vcc_lo
	s_waitcnt vmcnt(0)
	global_store_b32 v[0:1], v2, off
.LBB14_476:                             ;   in Loop: Header=BB14_18 Depth=1
	s_or_b32 exec_lo, exec_lo, s6
	s_and_saveexec_b32 s6, s0
	s_cbranch_execz .LBB14_493
; %bb.477:                              ;   in Loop: Header=BB14_18 Depth=1
	global_load_b32 v0, v[15:16], off
	s_mov_b32 s29, 0
	s_mov_b32 s28, 0
	s_mov_b32 s27, exec_lo
                                        ; implicit-def: $vgpr2
	s_waitcnt vmcnt(0)
	v_cmp_gt_i32_e32 vcc_lo, 0, v0
	v_cndmask_b32_e64 v1, 0x7fffffff, 0, vcc_lo
	s_delay_alu instid0(VALU_DEP_1) | instskip(SKIP_1) | instid1(VALU_DEP_1)
	v_xor_b32_e32 v1, v1, v0
                                        ; implicit-def: $vgpr0
	s_waitcnt lgkmcnt(0)
	v_cmpx_ge_u32_e64 v1, v33
	s_xor_b32 s27, exec_lo, s27
	s_cbranch_execz .LBB14_487
; %bb.478:                              ;   in Loop: Header=BB14_18 Depth=1
	s_mov_b32 s49, 0
	s_mov_b32 s28, exec_lo
                                        ; implicit-def: $vgpr0
	v_cmpx_eq_u32_e64 v1, v33
	s_cbranch_execz .LBB14_484
; %bb.479:                              ;   in Loop: Header=BB14_18 Depth=1
	s_mov_b32 s49, exec_lo
	s_mov_b32 s29, exec_lo
	v_mbcnt_lo_u32_b32 v0, s49, 0
                                        ; implicit-def: $vgpr1
	s_delay_alu instid0(VALU_DEP_1)
	v_cmpx_eq_u32_e32 0, v0
	s_cbranch_execz .LBB14_481
; %bb.480:                              ;   in Loop: Header=BB14_18 Depth=1
	s_bcnt1_i32_b32 s49, s49
	s_delay_alu instid0(SALU_CYCLE_1)
	v_mov_b32_e32 v1, s49
	global_atomic_add_u32 v1, v28, v1, s[8:9] offset:512 glc
.LBB14_481:                             ;   in Loop: Header=BB14_18 Depth=1
	s_or_b32 exec_lo, exec_lo, s29
	s_waitcnt vmcnt(0)
	v_readfirstlane_b32 s29, v1
	s_mov_b32 s49, 0
	s_mov_b32 s50, exec_lo
	s_delay_alu instid0(VALU_DEP_1) | instskip(SKIP_1) | instid1(VALU_DEP_1)
	v_add_nc_u32_e32 v1, s29, v0
	s_mov_b32 s29, 0
                                        ; implicit-def: $vgpr0
	v_cmpx_lt_i32_e64 v1, v34
	s_xor_b32 s50, exec_lo, s50
; %bb.482:                              ;   in Loop: Header=BB14_18 Depth=1
	v_xad_u32 v0, v1, -1, s22
	s_and_b32 s49, s47, exec_lo
	s_and_b32 s29, s11, exec_lo
; %bb.483:                              ;   in Loop: Header=BB14_18 Depth=1
	s_or_b32 exec_lo, exec_lo, s50
	s_delay_alu instid0(SALU_CYCLE_1)
	s_and_b32 s49, s49, exec_lo
	s_and_b32 s29, s29, exec_lo
.LBB14_484:                             ;   in Loop: Header=BB14_18 Depth=1
	s_or_b32 exec_lo, exec_lo, s28
	v_mov_b32_e32 v2, v12
	s_and_b32 s28, s49, exec_lo
	s_and_b32 s29, s29, exec_lo
	s_and_not1_saveexec_b32 s27, s27
	s_cbranch_execnz .LBB14_488
.LBB14_485:                             ;   in Loop: Header=BB14_18 Depth=1
	s_or_b32 exec_lo, exec_lo, s27
	s_and_saveexec_b32 s27, s29
	s_cbranch_execz .LBB14_491
.LBB14_486:                             ;   in Loop: Header=BB14_18 Depth=1
	global_load_b32 v2, v[17:18], off
	s_or_b32 s28, s28, exec_lo
	s_or_b32 exec_lo, exec_lo, s27
	s_delay_alu instid0(SALU_CYCLE_1)
	s_and_b32 exec_lo, exec_lo, s28
	s_cbranch_execnz .LBB14_492
	s_branch .LBB14_493
.LBB14_487:                             ;   in Loop: Header=BB14_18 Depth=1
	s_and_not1_saveexec_b32 s27, s27
	s_cbranch_execz .LBB14_485
.LBB14_488:                             ;   in Loop: Header=BB14_18 Depth=1
	s_mov_b32 s50, exec_lo
	s_mov_b32 s49, exec_lo
	v_mbcnt_lo_u32_b32 v0, s50, 0
                                        ; implicit-def: $vgpr1
	s_delay_alu instid0(VALU_DEP_1)
	v_cmpx_eq_u32_e32 0, v0
	s_cbranch_execz .LBB14_490
; %bb.489:                              ;   in Loop: Header=BB14_18 Depth=1
	s_bcnt1_i32_b32 s50, s50
	s_delay_alu instid0(SALU_CYCLE_1)
	v_mov_b32_e32 v1, s50
	global_atomic_add_u32 v1, v28, v1, s[8:9] offset:384 glc
.LBB14_490:                             ;   in Loop: Header=BB14_18 Depth=1
	s_or_b32 exec_lo, exec_lo, s49
	s_waitcnt vmcnt(0)
	v_readfirstlane_b32 s49, v1
	v_mov_b32_e32 v2, v12
	s_and_not1_b32 s28, s28, exec_lo
	s_and_b32 s50, s47, exec_lo
	s_and_not1_b32 s29, s29, exec_lo
	v_add_nc_u32_e32 v0, s49, v0
	s_and_b32 s49, s11, exec_lo
	s_or_b32 s28, s28, s50
	s_or_b32 s29, s29, s49
	s_or_b32 exec_lo, exec_lo, s27
	s_and_saveexec_b32 s27, s29
	s_cbranch_execnz .LBB14_486
.LBB14_491:                             ;   in Loop: Header=BB14_18 Depth=1
	s_or_b32 exec_lo, exec_lo, s27
	s_delay_alu instid0(SALU_CYCLE_1)
	s_and_b32 exec_lo, exec_lo, s28
	s_cbranch_execz .LBB14_493
.LBB14_492:                             ;   in Loop: Header=BB14_18 Depth=1
	v_ashrrev_i32_e32 v1, 31, v0
	s_delay_alu instid0(VALU_DEP_1) | instskip(NEXT) | instid1(VALU_DEP_1)
	v_lshlrev_b64 v[0:1], 2, v[0:1]
	v_add_co_u32 v0, vcc_lo, s15, v0
	s_delay_alu instid0(VALU_DEP_2)
	v_add_co_ci_u32_e32 v1, vcc_lo, s23, v1, vcc_lo
	s_waitcnt vmcnt(0)
	global_store_b32 v[0:1], v2, off
.LBB14_493:                             ;   in Loop: Header=BB14_18 Depth=1
	s_or_b32 exec_lo, exec_lo, s6
.LBB14_494:                             ;   in Loop: Header=BB14_18 Depth=1
	s_add_i32 s7, s7, 1
	v_add_co_u32 v31, vcc_lo, 0x1000, v31
	s_cmp_eq_u32 s7, 4
	v_add_co_ci_u32_e32 v32, vcc_lo, 0, v32, vcc_lo
	s_mov_b32 s6, -1
	s_cselect_b32 s27, -1, 0
	s_branch .LBB14_17
.LBB14_495:
	s_and_not1_b32 vcc_lo, exec_lo, s6
	s_cbranch_vccz .LBB14_653
; %bb.496:
	v_mov_b32_e32 v28, 0
	v_mov_b32_e32 v4, v14
	s_add_i32 s2, s26, 32
	ds_load_b32 v13, v28 offset:8576
	s_and_saveexec_b32 s4, s3
	s_cbranch_execz .LBB14_609
; %bb.497:
	s_lshl_b32 s5, -1, s2
	s_mov_b32 s3, 0
	s_branch .LBB14_501
.LBB14_498:                             ;   in Loop: Header=BB14_501 Depth=1
	v_ashrrev_i32_e32 v5, 31, v4
	s_delay_alu instid0(VALU_DEP_1) | instskip(NEXT) | instid1(VALU_DEP_1)
	v_lshlrev_b64 v[1:2], 2, v[4:5]
	v_add_co_u32 v1, vcc_lo, s36, v1
	s_delay_alu instid0(VALU_DEP_2)
	v_add_co_ci_u32_e32 v2, vcc_lo, s37, v2, vcc_lo
	global_load_b32 v1, v[1:2], off
.LBB14_499:                             ;   in Loop: Header=BB14_501 Depth=1
	v_add_nc_u32_e32 v2, s7, v0
	s_delay_alu instid0(VALU_DEP_1) | instskip(NEXT) | instid1(VALU_DEP_1)
	v_ashrrev_i32_e32 v3, 31, v2
	v_lshlrev_b64 v[2:3], 2, v[2:3]
	s_delay_alu instid0(VALU_DEP_1) | instskip(NEXT) | instid1(VALU_DEP_2)
	v_add_co_u32 v2, vcc_lo, s15, v2
	v_add_co_ci_u32_e32 v3, vcc_lo, s23, v3, vcc_lo
	s_waitcnt vmcnt(0)
	global_store_b32 v[2:3], v1, off
.LBB14_500:                             ;   in Loop: Header=BB14_501 Depth=1
	s_or_b32 exec_lo, exec_lo, s6
	v_add_nc_u32_e32 v23, s33, v23
	s_delay_alu instid0(VALU_DEP_1) | instskip(SKIP_1) | instid1(VALU_DEP_2)
	v_ashrrev_i32_e32 v24, 31, v23
	v_add_co_u32 v25, vcc_lo, s39, v23
	v_add_co_ci_u32_e32 v26, vcc_lo, s38, v24, vcc_lo
	s_delay_alu instid0(VALU_DEP_1) | instskip(SKIP_1) | instid1(SALU_CYCLE_1)
	v_cmp_le_u64_e32 vcc_lo, s[16:17], v[25:26]
	s_or_b32 s3, vcc_lo, s3
	s_and_not1_b32 exec_lo, exec_lo, s3
	s_cbranch_execz .LBB14_608
.LBB14_501:                             ; =>This Inner Loop Header: Depth=1
	v_lshlrev_b64 v[0:1], 4, v[23:24]
	s_mov_b32 s6, exec_lo
	s_delay_alu instid0(VALU_DEP_1) | instskip(NEXT) | instid1(VALU_DEP_2)
	v_add_co_u32 v4, vcc_lo, s30, v0
	v_add_co_ci_u32_e32 v5, vcc_lo, s31, v1, vcc_lo
	s_delay_alu instid0(VALU_DEP_2)
	v_add_co_u32 v8, vcc_lo, v4, s20
	global_load_b128 v[0:3], v[4:5], off
	v_add_co_ci_u32_e32 v9, vcc_lo, s21, v5, vcc_lo
	global_load_b128 v[4:7], v[8:9], off
	s_waitcnt vmcnt(1)
	v_cmp_gt_i32_e32 vcc_lo, 0, v0
	v_cndmask_b32_e64 v10, 0x7fffffff, 0, vcc_lo
	s_delay_alu instid0(VALU_DEP_1) | instskip(SKIP_1) | instid1(VALU_DEP_2)
	v_xor_b32_e32 v0, v10, v0
	v_lshl_add_u32 v10, v23, 2, s18
	v_and_b32_e32 v0, s5, v0
	s_waitcnt lgkmcnt(0)
	s_delay_alu instid0(VALU_DEP_1)
	v_cmpx_le_u32_e64 v0, v13
	s_cbranch_execz .LBB14_507
; %bb.502:                              ;   in Loop: Header=BB14_501 Depth=1
	s_mov_b32 s22, exec_lo
	s_mov_b32 s7, exec_lo
	v_mbcnt_lo_u32_b32 v0, s22, 0
                                        ; implicit-def: $vgpr11
	s_delay_alu instid0(VALU_DEP_1)
	v_cmpx_eq_u32_e32 0, v0
	s_cbranch_execz .LBB14_504
; %bb.503:                              ;   in Loop: Header=BB14_501 Depth=1
	s_bcnt1_i32_b32 s22, s22
	s_delay_alu instid0(SALU_CYCLE_1)
	v_mov_b32_e32 v11, s22
	global_atomic_add_u32 v11, v28, v11, s[8:9] offset:384 glc
.LBB14_504:                             ;   in Loop: Header=BB14_501 Depth=1
	s_or_b32 exec_lo, exec_lo, s7
	s_waitcnt vmcnt(0)
	v_readfirstlane_b32 s7, v11
	v_mov_b32_e32 v11, v10
	s_and_not1_b32 vcc_lo, exec_lo, s11
	s_cbranch_vccnz .LBB14_506
; %bb.505:                              ;   in Loop: Header=BB14_501 Depth=1
	v_ashrrev_i32_e32 v11, 31, v10
	s_delay_alu instid0(VALU_DEP_1) | instskip(NEXT) | instid1(VALU_DEP_1)
	v_lshlrev_b64 v[29:30], 2, v[10:11]
	v_add_co_u32 v29, vcc_lo, s12, v29
	s_delay_alu instid0(VALU_DEP_2)
	v_add_co_ci_u32_e32 v30, vcc_lo, s13, v30, vcc_lo
	global_load_b32 v11, v[29:30], off
.LBB14_506:                             ;   in Loop: Header=BB14_501 Depth=1
	s_delay_alu instid0(VALU_DEP_2) | instskip(NEXT) | instid1(VALU_DEP_1)
	v_add_nc_u32_e32 v29, s7, v0
	v_ashrrev_i32_e32 v30, 31, v29
	s_delay_alu instid0(VALU_DEP_1) | instskip(NEXT) | instid1(VALU_DEP_1)
	v_lshlrev_b64 v[29:30], 2, v[29:30]
	v_add_co_u32 v29, vcc_lo, s15, v29
	s_delay_alu instid0(VALU_DEP_2)
	v_add_co_ci_u32_e32 v30, vcc_lo, s23, v30, vcc_lo
	s_waitcnt vmcnt(0)
	global_store_b32 v[29:30], v11, off
.LBB14_507:                             ;   in Loop: Header=BB14_501 Depth=1
	s_or_b32 exec_lo, exec_lo, s6
	v_cmp_gt_i32_e32 vcc_lo, 0, v1
	s_mov_b32 s6, exec_lo
	v_cndmask_b32_e64 v0, 0x7fffffff, 0, vcc_lo
	s_delay_alu instid0(VALU_DEP_1) | instskip(NEXT) | instid1(VALU_DEP_1)
	v_xor_b32_e32 v0, v0, v1
	v_and_b32_e32 v0, s5, v0
	s_delay_alu instid0(VALU_DEP_1)
	v_cmpx_le_u32_e64 v0, v13
	s_cbranch_execz .LBB14_514
; %bb.508:                              ;   in Loop: Header=BB14_501 Depth=1
	s_mov_b32 s22, exec_lo
	s_mov_b32 s7, exec_lo
	v_mbcnt_lo_u32_b32 v0, s22, 0
                                        ; implicit-def: $vgpr1
	s_delay_alu instid0(VALU_DEP_1)
	v_cmpx_eq_u32_e32 0, v0
	s_cbranch_execz .LBB14_510
; %bb.509:                              ;   in Loop: Header=BB14_501 Depth=1
	s_bcnt1_i32_b32 s22, s22
	s_delay_alu instid0(SALU_CYCLE_1)
	v_mov_b32_e32 v1, s22
	global_atomic_add_u32 v1, v28, v1, s[8:9] offset:384 glc
.LBB14_510:                             ;   in Loop: Header=BB14_501 Depth=1
	s_or_b32 exec_lo, exec_lo, s7
	s_waitcnt vmcnt(0)
	v_readfirstlane_b32 s7, v1
	s_and_not1_b32 vcc_lo, exec_lo, s11
	s_cbranch_vccnz .LBB14_512
; %bb.511:                              ;   in Loop: Header=BB14_501 Depth=1
	v_ashrrev_i32_e32 v11, 31, v10
	s_delay_alu instid0(VALU_DEP_1) | instskip(NEXT) | instid1(VALU_DEP_1)
	v_lshlrev_b64 v[29:30], 2, v[10:11]
	v_add_co_u32 v29, vcc_lo, s14, v29
	s_delay_alu instid0(VALU_DEP_2)
	v_add_co_ci_u32_e32 v30, vcc_lo, s19, v30, vcc_lo
	global_load_b32 v1, v[29:30], off
	s_branch .LBB14_513
.LBB14_512:                             ;   in Loop: Header=BB14_501 Depth=1
	v_add_nc_u32_e32 v1, 1, v10
.LBB14_513:                             ;   in Loop: Header=BB14_501 Depth=1
	s_delay_alu instid0(VALU_DEP_2) | instskip(NEXT) | instid1(VALU_DEP_1)
	v_add_nc_u32_e32 v29, s7, v0
	v_ashrrev_i32_e32 v30, 31, v29
	s_delay_alu instid0(VALU_DEP_1) | instskip(NEXT) | instid1(VALU_DEP_1)
	v_lshlrev_b64 v[29:30], 2, v[29:30]
	v_add_co_u32 v29, vcc_lo, s15, v29
	s_delay_alu instid0(VALU_DEP_2)
	v_add_co_ci_u32_e32 v30, vcc_lo, s23, v30, vcc_lo
	s_waitcnt vmcnt(0)
	global_store_b32 v[29:30], v1, off
.LBB14_514:                             ;   in Loop: Header=BB14_501 Depth=1
	s_or_b32 exec_lo, exec_lo, s6
	v_cmp_gt_i32_e32 vcc_lo, 0, v2
	s_mov_b32 s6, exec_lo
	v_cndmask_b32_e64 v0, 0x7fffffff, 0, vcc_lo
	s_delay_alu instid0(VALU_DEP_1) | instskip(NEXT) | instid1(VALU_DEP_1)
	v_xor_b32_e32 v0, v0, v2
	v_and_b32_e32 v0, s5, v0
	s_delay_alu instid0(VALU_DEP_1)
	v_cmpx_le_u32_e64 v0, v13
	s_cbranch_execz .LBB14_521
; %bb.515:                              ;   in Loop: Header=BB14_501 Depth=1
	s_mov_b32 s22, exec_lo
	s_mov_b32 s7, exec_lo
	v_mbcnt_lo_u32_b32 v0, s22, 0
                                        ; implicit-def: $vgpr1
	s_delay_alu instid0(VALU_DEP_1)
	v_cmpx_eq_u32_e32 0, v0
	s_cbranch_execz .LBB14_517
; %bb.516:                              ;   in Loop: Header=BB14_501 Depth=1
	s_bcnt1_i32_b32 s22, s22
	s_delay_alu instid0(SALU_CYCLE_1)
	v_mov_b32_e32 v1, s22
	global_atomic_add_u32 v1, v28, v1, s[8:9] offset:384 glc
.LBB14_517:                             ;   in Loop: Header=BB14_501 Depth=1
	s_or_b32 exec_lo, exec_lo, s7
	s_waitcnt vmcnt(0)
	v_readfirstlane_b32 s7, v1
	s_and_not1_b32 vcc_lo, exec_lo, s11
	s_cbranch_vccnz .LBB14_519
; %bb.518:                              ;   in Loop: Header=BB14_501 Depth=1
	v_ashrrev_i32_e32 v11, 31, v10
	s_delay_alu instid0(VALU_DEP_1) | instskip(NEXT) | instid1(VALU_DEP_1)
	v_lshlrev_b64 v[1:2], 2, v[10:11]
	v_add_co_u32 v1, vcc_lo, s34, v1
	s_delay_alu instid0(VALU_DEP_2)
	v_add_co_ci_u32_e32 v2, vcc_lo, s35, v2, vcc_lo
	global_load_b32 v1, v[1:2], off
	s_branch .LBB14_520
.LBB14_519:                             ;   in Loop: Header=BB14_501 Depth=1
	v_add_nc_u32_e32 v1, 2, v10
.LBB14_520:                             ;   in Loop: Header=BB14_501 Depth=1
	s_delay_alu instid0(VALU_DEP_2) | instskip(NEXT) | instid1(VALU_DEP_1)
	v_add_nc_u32_e32 v29, s7, v0
	v_ashrrev_i32_e32 v30, 31, v29
	s_delay_alu instid0(VALU_DEP_1) | instskip(NEXT) | instid1(VALU_DEP_1)
	v_lshlrev_b64 v[29:30], 2, v[29:30]
	v_add_co_u32 v29, vcc_lo, s15, v29
	s_delay_alu instid0(VALU_DEP_2)
	v_add_co_ci_u32_e32 v30, vcc_lo, s23, v30, vcc_lo
	s_waitcnt vmcnt(0)
	global_store_b32 v[29:30], v1, off
.LBB14_521:                             ;   in Loop: Header=BB14_501 Depth=1
	;; [unrolled: 52-line block ×3, first 2 shown]
	s_or_b32 exec_lo, exec_lo, s6
	v_lshlrev_b64 v[0:1], 4, v[25:26]
	v_add_co_u32 v2, vcc_lo, v8, s20
	v_add_co_ci_u32_e32 v3, vcc_lo, s21, v9, vcc_lo
	s_mov_b32 s6, exec_lo
	s_delay_alu instid0(VALU_DEP_3) | instskip(NEXT) | instid1(VALU_DEP_4)
	v_add_co_u32 v0, vcc_lo, s30, v0
	v_add_co_ci_u32_e32 v1, vcc_lo, s31, v1, vcc_lo
	s_waitcnt vmcnt(0)
	v_cmp_gt_i32_e32 vcc_lo, 0, v4
	s_clause 0x1
	global_load_b128 v[8:11], v[2:3], off
	global_load_b128 v[0:3], v[0:1], off
	v_cndmask_b32_e64 v24, 0x7fffffff, 0, vcc_lo
	s_delay_alu instid0(VALU_DEP_1) | instskip(SKIP_1) | instid1(VALU_DEP_2)
	v_xor_b32_e32 v24, v24, v4
	v_add_co_u32 v4, null, v23, s10
	v_and_b32_e32 v24, s5, v24
	s_delay_alu instid0(VALU_DEP_2) | instskip(NEXT) | instid1(VALU_DEP_2)
	v_lshl_add_u32 v26, v4, 2, s18
	v_cmpx_le_u32_e64 v24, v13
	s_cbranch_execz .LBB14_534
; %bb.529:                              ;   in Loop: Header=BB14_501 Depth=1
	s_mov_b32 s22, exec_lo
	s_mov_b32 s7, exec_lo
	v_mbcnt_lo_u32_b32 v24, s22, 0
                                        ; implicit-def: $vgpr27
	s_delay_alu instid0(VALU_DEP_1)
	v_cmpx_eq_u32_e32 0, v24
	s_cbranch_execz .LBB14_531
; %bb.530:                              ;   in Loop: Header=BB14_501 Depth=1
	s_bcnt1_i32_b32 s22, s22
	s_delay_alu instid0(SALU_CYCLE_1)
	v_mov_b32_e32 v27, s22
	global_atomic_add_u32 v27, v28, v27, s[8:9] offset:384 glc
.LBB14_531:                             ;   in Loop: Header=BB14_501 Depth=1
	s_or_b32 exec_lo, exec_lo, s7
	s_waitcnt vmcnt(0)
	v_readfirstlane_b32 s7, v27
	v_mov_b32_e32 v27, v26
	s_and_not1_b32 vcc_lo, exec_lo, s11
	s_cbranch_vccnz .LBB14_533
; %bb.532:                              ;   in Loop: Header=BB14_501 Depth=1
	v_ashrrev_i32_e32 v27, 31, v26
	s_delay_alu instid0(VALU_DEP_1) | instskip(NEXT) | instid1(VALU_DEP_1)
	v_lshlrev_b64 v[29:30], 2, v[26:27]
	v_add_co_u32 v29, vcc_lo, s12, v29
	s_delay_alu instid0(VALU_DEP_2)
	v_add_co_ci_u32_e32 v30, vcc_lo, s13, v30, vcc_lo
	global_load_b32 v27, v[29:30], off
.LBB14_533:                             ;   in Loop: Header=BB14_501 Depth=1
	s_delay_alu instid0(VALU_DEP_2) | instskip(NEXT) | instid1(VALU_DEP_1)
	v_add_nc_u32_e32 v29, s7, v24
	v_ashrrev_i32_e32 v30, 31, v29
	s_delay_alu instid0(VALU_DEP_1) | instskip(NEXT) | instid1(VALU_DEP_1)
	v_lshlrev_b64 v[29:30], 2, v[29:30]
	v_add_co_u32 v29, vcc_lo, s15, v29
	s_delay_alu instid0(VALU_DEP_2)
	v_add_co_ci_u32_e32 v30, vcc_lo, s23, v30, vcc_lo
	s_waitcnt vmcnt(0)
	global_store_b32 v[29:30], v27, off
.LBB14_534:                             ;   in Loop: Header=BB14_501 Depth=1
	s_or_b32 exec_lo, exec_lo, s6
	v_cmp_gt_i32_e32 vcc_lo, 0, v5
	s_mov_b32 s6, exec_lo
	v_cndmask_b32_e64 v24, 0x7fffffff, 0, vcc_lo
	s_delay_alu instid0(VALU_DEP_1) | instskip(NEXT) | instid1(VALU_DEP_1)
	v_xor_b32_e32 v5, v24, v5
	v_and_b32_e32 v5, s5, v5
	s_delay_alu instid0(VALU_DEP_1)
	v_cmpx_le_u32_e64 v5, v13
	s_cbranch_execz .LBB14_541
; %bb.535:                              ;   in Loop: Header=BB14_501 Depth=1
	s_mov_b32 s22, exec_lo
	s_mov_b32 s7, exec_lo
	v_mbcnt_lo_u32_b32 v5, s22, 0
                                        ; implicit-def: $vgpr24
	s_delay_alu instid0(VALU_DEP_1)
	v_cmpx_eq_u32_e32 0, v5
	s_cbranch_execz .LBB14_537
; %bb.536:                              ;   in Loop: Header=BB14_501 Depth=1
	s_bcnt1_i32_b32 s22, s22
	s_delay_alu instid0(SALU_CYCLE_1)
	v_mov_b32_e32 v24, s22
	global_atomic_add_u32 v24, v28, v24, s[8:9] offset:384 glc
.LBB14_537:                             ;   in Loop: Header=BB14_501 Depth=1
	s_or_b32 exec_lo, exec_lo, s7
	s_waitcnt vmcnt(0)
	v_readfirstlane_b32 s7, v24
	s_and_not1_b32 vcc_lo, exec_lo, s11
	s_cbranch_vccnz .LBB14_539
; %bb.538:                              ;   in Loop: Header=BB14_501 Depth=1
	v_ashrrev_i32_e32 v27, 31, v26
	s_delay_alu instid0(VALU_DEP_1) | instskip(NEXT) | instid1(VALU_DEP_1)
	v_lshlrev_b64 v[29:30], 2, v[26:27]
	v_add_co_u32 v29, vcc_lo, s14, v29
	s_delay_alu instid0(VALU_DEP_2)
	v_add_co_ci_u32_e32 v30, vcc_lo, s19, v30, vcc_lo
	global_load_b32 v24, v[29:30], off
	s_branch .LBB14_540
.LBB14_539:                             ;   in Loop: Header=BB14_501 Depth=1
	v_add_nc_u32_e32 v24, 1, v26
.LBB14_540:                             ;   in Loop: Header=BB14_501 Depth=1
	s_delay_alu instid0(VALU_DEP_2) | instskip(NEXT) | instid1(VALU_DEP_1)
	v_add_nc_u32_e32 v29, s7, v5
	v_ashrrev_i32_e32 v30, 31, v29
	s_delay_alu instid0(VALU_DEP_1) | instskip(NEXT) | instid1(VALU_DEP_1)
	v_lshlrev_b64 v[29:30], 2, v[29:30]
	v_add_co_u32 v29, vcc_lo, s15, v29
	s_delay_alu instid0(VALU_DEP_2)
	v_add_co_ci_u32_e32 v30, vcc_lo, s23, v30, vcc_lo
	s_waitcnt vmcnt(0)
	global_store_b32 v[29:30], v24, off
.LBB14_541:                             ;   in Loop: Header=BB14_501 Depth=1
	s_or_b32 exec_lo, exec_lo, s6
	v_cmp_gt_i32_e32 vcc_lo, 0, v6
	s_mov_b32 s6, exec_lo
	v_cndmask_b32_e64 v5, 0x7fffffff, 0, vcc_lo
	s_delay_alu instid0(VALU_DEP_1) | instskip(NEXT) | instid1(VALU_DEP_1)
	v_xor_b32_e32 v5, v5, v6
	v_and_b32_e32 v5, s5, v5
	s_delay_alu instid0(VALU_DEP_1)
	v_cmpx_le_u32_e64 v5, v13
	s_cbranch_execz .LBB14_548
; %bb.542:                              ;   in Loop: Header=BB14_501 Depth=1
	s_mov_b32 s22, exec_lo
	s_mov_b32 s7, exec_lo
	v_mbcnt_lo_u32_b32 v5, s22, 0
                                        ; implicit-def: $vgpr6
	s_delay_alu instid0(VALU_DEP_1)
	v_cmpx_eq_u32_e32 0, v5
	s_cbranch_execz .LBB14_544
; %bb.543:                              ;   in Loop: Header=BB14_501 Depth=1
	s_bcnt1_i32_b32 s22, s22
	s_delay_alu instid0(SALU_CYCLE_1)
	v_mov_b32_e32 v6, s22
	global_atomic_add_u32 v6, v28, v6, s[8:9] offset:384 glc
.LBB14_544:                             ;   in Loop: Header=BB14_501 Depth=1
	s_or_b32 exec_lo, exec_lo, s7
	s_waitcnt vmcnt(0)
	v_readfirstlane_b32 s7, v6
	s_and_not1_b32 vcc_lo, exec_lo, s11
	s_cbranch_vccnz .LBB14_546
; %bb.545:                              ;   in Loop: Header=BB14_501 Depth=1
	v_ashrrev_i32_e32 v27, 31, v26
	s_delay_alu instid0(VALU_DEP_1) | instskip(NEXT) | instid1(VALU_DEP_1)
	v_lshlrev_b64 v[29:30], 2, v[26:27]
	v_add_co_u32 v29, vcc_lo, s34, v29
	s_delay_alu instid0(VALU_DEP_2)
	v_add_co_ci_u32_e32 v30, vcc_lo, s35, v30, vcc_lo
	global_load_b32 v6, v[29:30], off
	s_branch .LBB14_547
.LBB14_546:                             ;   in Loop: Header=BB14_501 Depth=1
	v_add_nc_u32_e32 v6, 2, v26
.LBB14_547:                             ;   in Loop: Header=BB14_501 Depth=1
	s_delay_alu instid0(VALU_DEP_2) | instskip(NEXT) | instid1(VALU_DEP_1)
	v_add_nc_u32_e32 v29, s7, v5
	v_ashrrev_i32_e32 v30, 31, v29
	s_delay_alu instid0(VALU_DEP_1) | instskip(NEXT) | instid1(VALU_DEP_1)
	v_lshlrev_b64 v[29:30], 2, v[29:30]
	v_add_co_u32 v29, vcc_lo, s15, v29
	s_delay_alu instid0(VALU_DEP_2)
	v_add_co_ci_u32_e32 v30, vcc_lo, s23, v30, vcc_lo
	s_waitcnt vmcnt(0)
	global_store_b32 v[29:30], v6, off
.LBB14_548:                             ;   in Loop: Header=BB14_501 Depth=1
	s_or_b32 exec_lo, exec_lo, s6
	v_cmp_gt_i32_e32 vcc_lo, 0, v7
	s_mov_b32 s6, exec_lo
	v_cndmask_b32_e64 v5, 0x7fffffff, 0, vcc_lo
	s_delay_alu instid0(VALU_DEP_1) | instskip(NEXT) | instid1(VALU_DEP_1)
	v_xor_b32_e32 v5, v5, v7
	v_and_b32_e32 v5, s5, v5
	s_delay_alu instid0(VALU_DEP_1)
	v_cmpx_le_u32_e64 v5, v13
	s_cbranch_execz .LBB14_555
; %bb.549:                              ;   in Loop: Header=BB14_501 Depth=1
	s_mov_b32 s22, exec_lo
	s_mov_b32 s7, exec_lo
	v_mbcnt_lo_u32_b32 v5, s22, 0
                                        ; implicit-def: $vgpr6
	s_delay_alu instid0(VALU_DEP_1)
	v_cmpx_eq_u32_e32 0, v5
	s_cbranch_execz .LBB14_551
; %bb.550:                              ;   in Loop: Header=BB14_501 Depth=1
	s_bcnt1_i32_b32 s22, s22
	s_delay_alu instid0(SALU_CYCLE_1)
	v_mov_b32_e32 v6, s22
	global_atomic_add_u32 v6, v28, v6, s[8:9] offset:384 glc
.LBB14_551:                             ;   in Loop: Header=BB14_501 Depth=1
	s_or_b32 exec_lo, exec_lo, s7
	s_waitcnt vmcnt(0)
	v_readfirstlane_b32 s7, v6
	s_and_not1_b32 vcc_lo, exec_lo, s11
	s_cbranch_vccnz .LBB14_553
; %bb.552:                              ;   in Loop: Header=BB14_501 Depth=1
	v_ashrrev_i32_e32 v27, 31, v26
	s_delay_alu instid0(VALU_DEP_1) | instskip(NEXT) | instid1(VALU_DEP_1)
	v_lshlrev_b64 v[6:7], 2, v[26:27]
	v_add_co_u32 v6, vcc_lo, s36, v6
	s_delay_alu instid0(VALU_DEP_2)
	v_add_co_ci_u32_e32 v7, vcc_lo, s37, v7, vcc_lo
	global_load_b32 v6, v[6:7], off
	s_branch .LBB14_554
.LBB14_553:                             ;   in Loop: Header=BB14_501 Depth=1
	v_add_nc_u32_e32 v6, 3, v26
.LBB14_554:                             ;   in Loop: Header=BB14_501 Depth=1
	s_delay_alu instid0(VALU_DEP_2) | instskip(NEXT) | instid1(VALU_DEP_1)
	v_add_nc_u32_e32 v26, s7, v5
	v_ashrrev_i32_e32 v27, 31, v26
	s_delay_alu instid0(VALU_DEP_1) | instskip(NEXT) | instid1(VALU_DEP_1)
	v_lshlrev_b64 v[26:27], 2, v[26:27]
	v_add_co_u32 v26, vcc_lo, s15, v26
	s_delay_alu instid0(VALU_DEP_2)
	v_add_co_ci_u32_e32 v27, vcc_lo, s23, v27, vcc_lo
	s_waitcnt vmcnt(0)
	global_store_b32 v[26:27], v6, off
.LBB14_555:                             ;   in Loop: Header=BB14_501 Depth=1
	s_or_b32 exec_lo, exec_lo, s6
	s_waitcnt vmcnt(1)
	v_cmp_gt_i32_e32 vcc_lo, 0, v8
	v_add_nc_u32_e32 v4, s10, v4
	s_mov_b32 s6, exec_lo
	v_cndmask_b32_e64 v5, 0x7fffffff, 0, vcc_lo
	s_delay_alu instid0(VALU_DEP_2) | instskip(NEXT) | instid1(VALU_DEP_2)
	v_lshl_add_u32 v4, v4, 2, s18
	v_xor_b32_e32 v5, v5, v8
	s_delay_alu instid0(VALU_DEP_1) | instskip(NEXT) | instid1(VALU_DEP_1)
	v_and_b32_e32 v5, s5, v5
	v_cmpx_le_u32_e64 v5, v13
	s_cbranch_execz .LBB14_561
; %bb.556:                              ;   in Loop: Header=BB14_501 Depth=1
	s_mov_b32 s22, exec_lo
	s_mov_b32 s7, exec_lo
	v_mbcnt_lo_u32_b32 v6, s22, 0
                                        ; implicit-def: $vgpr5
	s_delay_alu instid0(VALU_DEP_1)
	v_cmpx_eq_u32_e32 0, v6
	s_cbranch_execz .LBB14_558
; %bb.557:                              ;   in Loop: Header=BB14_501 Depth=1
	s_bcnt1_i32_b32 s22, s22
	s_delay_alu instid0(SALU_CYCLE_1)
	v_mov_b32_e32 v5, s22
	global_atomic_add_u32 v5, v28, v5, s[8:9] offset:384 glc
.LBB14_558:                             ;   in Loop: Header=BB14_501 Depth=1
	s_or_b32 exec_lo, exec_lo, s7
	s_waitcnt vmcnt(0)
	v_readfirstlane_b32 s7, v5
	v_mov_b32_e32 v5, v4
	s_and_not1_b32 vcc_lo, exec_lo, s11
	s_cbranch_vccnz .LBB14_560
; %bb.559:                              ;   in Loop: Header=BB14_501 Depth=1
	v_ashrrev_i32_e32 v5, 31, v4
	s_delay_alu instid0(VALU_DEP_1) | instskip(NEXT) | instid1(VALU_DEP_1)
	v_lshlrev_b64 v[7:8], 2, v[4:5]
	v_add_co_u32 v7, vcc_lo, s12, v7
	s_delay_alu instid0(VALU_DEP_2)
	v_add_co_ci_u32_e32 v8, vcc_lo, s13, v8, vcc_lo
	global_load_b32 v5, v[7:8], off
.LBB14_560:                             ;   in Loop: Header=BB14_501 Depth=1
	s_delay_alu instid0(VALU_DEP_2) | instskip(NEXT) | instid1(VALU_DEP_1)
	v_add_nc_u32_e32 v6, s7, v6
	v_ashrrev_i32_e32 v7, 31, v6
	s_delay_alu instid0(VALU_DEP_1) | instskip(NEXT) | instid1(VALU_DEP_1)
	v_lshlrev_b64 v[6:7], 2, v[6:7]
	v_add_co_u32 v6, vcc_lo, s15, v6
	s_delay_alu instid0(VALU_DEP_2)
	v_add_co_ci_u32_e32 v7, vcc_lo, s23, v7, vcc_lo
	s_waitcnt vmcnt(0)
	global_store_b32 v[6:7], v5, off
.LBB14_561:                             ;   in Loop: Header=BB14_501 Depth=1
	s_or_b32 exec_lo, exec_lo, s6
	v_cmp_gt_i32_e32 vcc_lo, 0, v9
	s_mov_b32 s6, exec_lo
	v_cndmask_b32_e64 v5, 0x7fffffff, 0, vcc_lo
	s_delay_alu instid0(VALU_DEP_1) | instskip(NEXT) | instid1(VALU_DEP_1)
	v_xor_b32_e32 v5, v5, v9
	v_and_b32_e32 v5, s5, v5
	s_delay_alu instid0(VALU_DEP_1)
	v_cmpx_le_u32_e64 v5, v13
	s_cbranch_execz .LBB14_568
; %bb.562:                              ;   in Loop: Header=BB14_501 Depth=1
	s_mov_b32 s22, exec_lo
	s_mov_b32 s7, exec_lo
	v_mbcnt_lo_u32_b32 v6, s22, 0
                                        ; implicit-def: $vgpr5
	s_delay_alu instid0(VALU_DEP_1)
	v_cmpx_eq_u32_e32 0, v6
	s_cbranch_execz .LBB14_564
; %bb.563:                              ;   in Loop: Header=BB14_501 Depth=1
	s_bcnt1_i32_b32 s22, s22
	s_delay_alu instid0(SALU_CYCLE_1)
	v_mov_b32_e32 v5, s22
	global_atomic_add_u32 v5, v28, v5, s[8:9] offset:384 glc
.LBB14_564:                             ;   in Loop: Header=BB14_501 Depth=1
	s_or_b32 exec_lo, exec_lo, s7
	s_waitcnt vmcnt(0)
	v_readfirstlane_b32 s7, v5
	s_and_not1_b32 vcc_lo, exec_lo, s11
	s_cbranch_vccnz .LBB14_566
; %bb.565:                              ;   in Loop: Header=BB14_501 Depth=1
	v_ashrrev_i32_e32 v5, 31, v4
	s_delay_alu instid0(VALU_DEP_1) | instskip(NEXT) | instid1(VALU_DEP_1)
	v_lshlrev_b64 v[7:8], 2, v[4:5]
	v_add_co_u32 v7, vcc_lo, s14, v7
	s_delay_alu instid0(VALU_DEP_2)
	v_add_co_ci_u32_e32 v8, vcc_lo, s19, v8, vcc_lo
	global_load_b32 v5, v[7:8], off
	s_branch .LBB14_567
.LBB14_566:                             ;   in Loop: Header=BB14_501 Depth=1
	v_add_nc_u32_e32 v5, 1, v4
.LBB14_567:                             ;   in Loop: Header=BB14_501 Depth=1
	s_delay_alu instid0(VALU_DEP_2) | instskip(NEXT) | instid1(VALU_DEP_1)
	v_add_nc_u32_e32 v6, s7, v6
	v_ashrrev_i32_e32 v7, 31, v6
	s_delay_alu instid0(VALU_DEP_1) | instskip(NEXT) | instid1(VALU_DEP_1)
	v_lshlrev_b64 v[6:7], 2, v[6:7]
	v_add_co_u32 v6, vcc_lo, s15, v6
	s_delay_alu instid0(VALU_DEP_2)
	v_add_co_ci_u32_e32 v7, vcc_lo, s23, v7, vcc_lo
	s_waitcnt vmcnt(0)
	global_store_b32 v[6:7], v5, off
.LBB14_568:                             ;   in Loop: Header=BB14_501 Depth=1
	s_or_b32 exec_lo, exec_lo, s6
	v_cmp_gt_i32_e32 vcc_lo, 0, v10
	s_mov_b32 s6, exec_lo
	v_cndmask_b32_e64 v5, 0x7fffffff, 0, vcc_lo
	s_delay_alu instid0(VALU_DEP_1) | instskip(NEXT) | instid1(VALU_DEP_1)
	v_xor_b32_e32 v5, v5, v10
	v_and_b32_e32 v5, s5, v5
	s_delay_alu instid0(VALU_DEP_1)
	v_cmpx_le_u32_e64 v5, v13
	s_cbranch_execz .LBB14_575
; %bb.569:                              ;   in Loop: Header=BB14_501 Depth=1
	s_mov_b32 s22, exec_lo
	s_mov_b32 s7, exec_lo
	v_mbcnt_lo_u32_b32 v6, s22, 0
                                        ; implicit-def: $vgpr5
	s_delay_alu instid0(VALU_DEP_1)
	v_cmpx_eq_u32_e32 0, v6
	s_cbranch_execz .LBB14_571
; %bb.570:                              ;   in Loop: Header=BB14_501 Depth=1
	s_bcnt1_i32_b32 s22, s22
	s_delay_alu instid0(SALU_CYCLE_1)
	v_mov_b32_e32 v5, s22
	global_atomic_add_u32 v5, v28, v5, s[8:9] offset:384 glc
.LBB14_571:                             ;   in Loop: Header=BB14_501 Depth=1
	s_or_b32 exec_lo, exec_lo, s7
	s_waitcnt vmcnt(0)
	v_readfirstlane_b32 s7, v5
	s_and_not1_b32 vcc_lo, exec_lo, s11
	s_cbranch_vccnz .LBB14_573
; %bb.572:                              ;   in Loop: Header=BB14_501 Depth=1
	v_ashrrev_i32_e32 v5, 31, v4
	s_delay_alu instid0(VALU_DEP_1) | instskip(NEXT) | instid1(VALU_DEP_1)
	v_lshlrev_b64 v[7:8], 2, v[4:5]
	v_add_co_u32 v7, vcc_lo, s34, v7
	s_delay_alu instid0(VALU_DEP_2)
	v_add_co_ci_u32_e32 v8, vcc_lo, s35, v8, vcc_lo
	global_load_b32 v5, v[7:8], off
	s_branch .LBB14_574
.LBB14_573:                             ;   in Loop: Header=BB14_501 Depth=1
	v_add_nc_u32_e32 v5, 2, v4
.LBB14_574:                             ;   in Loop: Header=BB14_501 Depth=1
	s_delay_alu instid0(VALU_DEP_2) | instskip(NEXT) | instid1(VALU_DEP_1)
	v_add_nc_u32_e32 v6, s7, v6
	v_ashrrev_i32_e32 v7, 31, v6
	s_delay_alu instid0(VALU_DEP_1) | instskip(NEXT) | instid1(VALU_DEP_1)
	v_lshlrev_b64 v[6:7], 2, v[6:7]
	v_add_co_u32 v6, vcc_lo, s15, v6
	s_delay_alu instid0(VALU_DEP_2)
	v_add_co_ci_u32_e32 v7, vcc_lo, s23, v7, vcc_lo
	s_waitcnt vmcnt(0)
	global_store_b32 v[6:7], v5, off
.LBB14_575:                             ;   in Loop: Header=BB14_501 Depth=1
	;; [unrolled: 52-line block ×3, first 2 shown]
	s_or_b32 exec_lo, exec_lo, s6
	s_waitcnt vmcnt(0)
	v_cmp_gt_i32_e32 vcc_lo, 0, v0
	s_mov_b32 s6, exec_lo
	v_cndmask_b32_e64 v4, 0x7fffffff, 0, vcc_lo
	s_delay_alu instid0(VALU_DEP_1) | instskip(SKIP_1) | instid1(VALU_DEP_2)
	v_xor_b32_e32 v0, v4, v0
	v_lshl_add_u32 v4, v25, 2, s18
	v_and_b32_e32 v0, s5, v0
	s_delay_alu instid0(VALU_DEP_1)
	v_cmpx_le_u32_e64 v0, v13
	s_cbranch_execz .LBB14_588
; %bb.583:                              ;   in Loop: Header=BB14_501 Depth=1
	s_mov_b32 s22, exec_lo
	s_mov_b32 s7, exec_lo
	v_mbcnt_lo_u32_b32 v0, s22, 0
                                        ; implicit-def: $vgpr5
	s_delay_alu instid0(VALU_DEP_1)
	v_cmpx_eq_u32_e32 0, v0
	s_cbranch_execz .LBB14_585
; %bb.584:                              ;   in Loop: Header=BB14_501 Depth=1
	s_bcnt1_i32_b32 s22, s22
	s_delay_alu instid0(SALU_CYCLE_1)
	v_mov_b32_e32 v5, s22
	global_atomic_add_u32 v5, v28, v5, s[8:9] offset:384 glc
.LBB14_585:                             ;   in Loop: Header=BB14_501 Depth=1
	s_or_b32 exec_lo, exec_lo, s7
	s_waitcnt vmcnt(0)
	v_readfirstlane_b32 s7, v5
	v_mov_b32_e32 v5, v4
	s_and_not1_b32 vcc_lo, exec_lo, s11
	s_cbranch_vccnz .LBB14_587
; %bb.586:                              ;   in Loop: Header=BB14_501 Depth=1
	v_ashrrev_i32_e32 v5, 31, v4
	s_delay_alu instid0(VALU_DEP_1) | instskip(NEXT) | instid1(VALU_DEP_1)
	v_lshlrev_b64 v[5:6], 2, v[4:5]
	v_add_co_u32 v5, vcc_lo, s12, v5
	s_delay_alu instid0(VALU_DEP_2)
	v_add_co_ci_u32_e32 v6, vcc_lo, s13, v6, vcc_lo
	global_load_b32 v5, v[5:6], off
.LBB14_587:                             ;   in Loop: Header=BB14_501 Depth=1
	s_delay_alu instid0(VALU_DEP_2) | instskip(NEXT) | instid1(VALU_DEP_1)
	v_add_nc_u32_e32 v6, s7, v0
	v_ashrrev_i32_e32 v7, 31, v6
	s_delay_alu instid0(VALU_DEP_1) | instskip(NEXT) | instid1(VALU_DEP_1)
	v_lshlrev_b64 v[6:7], 2, v[6:7]
	v_add_co_u32 v6, vcc_lo, s15, v6
	s_delay_alu instid0(VALU_DEP_2)
	v_add_co_ci_u32_e32 v7, vcc_lo, s23, v7, vcc_lo
	s_waitcnt vmcnt(0)
	global_store_b32 v[6:7], v5, off
.LBB14_588:                             ;   in Loop: Header=BB14_501 Depth=1
	s_or_b32 exec_lo, exec_lo, s6
	v_cmp_gt_i32_e32 vcc_lo, 0, v1
	s_mov_b32 s6, exec_lo
	v_cndmask_b32_e64 v0, 0x7fffffff, 0, vcc_lo
	s_delay_alu instid0(VALU_DEP_1) | instskip(NEXT) | instid1(VALU_DEP_1)
	v_xor_b32_e32 v0, v0, v1
	v_and_b32_e32 v0, s5, v0
	s_delay_alu instid0(VALU_DEP_1)
	v_cmpx_le_u32_e64 v0, v13
	s_cbranch_execz .LBB14_595
; %bb.589:                              ;   in Loop: Header=BB14_501 Depth=1
	s_mov_b32 s22, exec_lo
	s_mov_b32 s7, exec_lo
	v_mbcnt_lo_u32_b32 v0, s22, 0
                                        ; implicit-def: $vgpr1
	s_delay_alu instid0(VALU_DEP_1)
	v_cmpx_eq_u32_e32 0, v0
	s_cbranch_execz .LBB14_591
; %bb.590:                              ;   in Loop: Header=BB14_501 Depth=1
	s_bcnt1_i32_b32 s22, s22
	s_delay_alu instid0(SALU_CYCLE_1)
	v_mov_b32_e32 v1, s22
	global_atomic_add_u32 v1, v28, v1, s[8:9] offset:384 glc
.LBB14_591:                             ;   in Loop: Header=BB14_501 Depth=1
	s_or_b32 exec_lo, exec_lo, s7
	s_waitcnt vmcnt(0)
	v_readfirstlane_b32 s7, v1
	s_and_not1_b32 vcc_lo, exec_lo, s11
	s_cbranch_vccnz .LBB14_593
; %bb.592:                              ;   in Loop: Header=BB14_501 Depth=1
	v_ashrrev_i32_e32 v5, 31, v4
	s_delay_alu instid0(VALU_DEP_1) | instskip(NEXT) | instid1(VALU_DEP_1)
	v_lshlrev_b64 v[5:6], 2, v[4:5]
	v_add_co_u32 v5, vcc_lo, s14, v5
	s_delay_alu instid0(VALU_DEP_2)
	v_add_co_ci_u32_e32 v6, vcc_lo, s19, v6, vcc_lo
	global_load_b32 v1, v[5:6], off
	s_branch .LBB14_594
.LBB14_593:                             ;   in Loop: Header=BB14_501 Depth=1
	v_add_nc_u32_e32 v1, 1, v4
.LBB14_594:                             ;   in Loop: Header=BB14_501 Depth=1
	s_delay_alu instid0(VALU_DEP_2) | instskip(NEXT) | instid1(VALU_DEP_1)
	v_add_nc_u32_e32 v5, s7, v0
	v_ashrrev_i32_e32 v6, 31, v5
	s_delay_alu instid0(VALU_DEP_1) | instskip(NEXT) | instid1(VALU_DEP_1)
	v_lshlrev_b64 v[5:6], 2, v[5:6]
	v_add_co_u32 v5, vcc_lo, s15, v5
	s_delay_alu instid0(VALU_DEP_2)
	v_add_co_ci_u32_e32 v6, vcc_lo, s23, v6, vcc_lo
	s_waitcnt vmcnt(0)
	global_store_b32 v[5:6], v1, off
.LBB14_595:                             ;   in Loop: Header=BB14_501 Depth=1
	s_or_b32 exec_lo, exec_lo, s6
	v_cmp_gt_i32_e32 vcc_lo, 0, v2
	s_mov_b32 s6, exec_lo
	v_cndmask_b32_e64 v0, 0x7fffffff, 0, vcc_lo
	s_delay_alu instid0(VALU_DEP_1) | instskip(NEXT) | instid1(VALU_DEP_1)
	v_xor_b32_e32 v0, v0, v2
	v_and_b32_e32 v0, s5, v0
	s_delay_alu instid0(VALU_DEP_1)
	v_cmpx_le_u32_e64 v0, v13
	s_cbranch_execz .LBB14_602
; %bb.596:                              ;   in Loop: Header=BB14_501 Depth=1
	s_mov_b32 s22, exec_lo
	s_mov_b32 s7, exec_lo
	v_mbcnt_lo_u32_b32 v0, s22, 0
                                        ; implicit-def: $vgpr1
	s_delay_alu instid0(VALU_DEP_1)
	v_cmpx_eq_u32_e32 0, v0
	s_cbranch_execz .LBB14_598
; %bb.597:                              ;   in Loop: Header=BB14_501 Depth=1
	s_bcnt1_i32_b32 s22, s22
	s_delay_alu instid0(SALU_CYCLE_1)
	v_mov_b32_e32 v1, s22
	global_atomic_add_u32 v1, v28, v1, s[8:9] offset:384 glc
.LBB14_598:                             ;   in Loop: Header=BB14_501 Depth=1
	s_or_b32 exec_lo, exec_lo, s7
	s_waitcnt vmcnt(0)
	v_readfirstlane_b32 s7, v1
	s_and_not1_b32 vcc_lo, exec_lo, s11
	s_cbranch_vccnz .LBB14_600
; %bb.599:                              ;   in Loop: Header=BB14_501 Depth=1
	v_ashrrev_i32_e32 v5, 31, v4
	s_delay_alu instid0(VALU_DEP_1) | instskip(NEXT) | instid1(VALU_DEP_1)
	v_lshlrev_b64 v[1:2], 2, v[4:5]
	v_add_co_u32 v1, vcc_lo, s34, v1
	s_delay_alu instid0(VALU_DEP_2)
	v_add_co_ci_u32_e32 v2, vcc_lo, s35, v2, vcc_lo
	global_load_b32 v1, v[1:2], off
	s_branch .LBB14_601
.LBB14_600:                             ;   in Loop: Header=BB14_501 Depth=1
	v_add_nc_u32_e32 v1, 2, v4
.LBB14_601:                             ;   in Loop: Header=BB14_501 Depth=1
	s_delay_alu instid0(VALU_DEP_2) | instskip(NEXT) | instid1(VALU_DEP_1)
	v_add_nc_u32_e32 v5, s7, v0
	v_ashrrev_i32_e32 v6, 31, v5
	s_delay_alu instid0(VALU_DEP_1) | instskip(NEXT) | instid1(VALU_DEP_1)
	v_lshlrev_b64 v[5:6], 2, v[5:6]
	v_add_co_u32 v5, vcc_lo, s15, v5
	s_delay_alu instid0(VALU_DEP_2)
	v_add_co_ci_u32_e32 v6, vcc_lo, s23, v6, vcc_lo
	s_waitcnt vmcnt(0)
	global_store_b32 v[5:6], v1, off
.LBB14_602:                             ;   in Loop: Header=BB14_501 Depth=1
	s_or_b32 exec_lo, exec_lo, s6
	v_cmp_gt_i32_e32 vcc_lo, 0, v3
	s_mov_b32 s6, exec_lo
	v_cndmask_b32_e64 v0, 0x7fffffff, 0, vcc_lo
	s_delay_alu instid0(VALU_DEP_1) | instskip(NEXT) | instid1(VALU_DEP_1)
	v_xor_b32_e32 v0, v0, v3
	v_and_b32_e32 v0, s5, v0
	s_delay_alu instid0(VALU_DEP_1)
	v_cmpx_le_u32_e64 v0, v13
	s_cbranch_execz .LBB14_500
; %bb.603:                              ;   in Loop: Header=BB14_501 Depth=1
	s_mov_b32 s22, exec_lo
	s_mov_b32 s7, exec_lo
	v_mbcnt_lo_u32_b32 v0, s22, 0
                                        ; implicit-def: $vgpr1
	s_delay_alu instid0(VALU_DEP_1)
	v_cmpx_eq_u32_e32 0, v0
	s_cbranch_execz .LBB14_605
; %bb.604:                              ;   in Loop: Header=BB14_501 Depth=1
	s_bcnt1_i32_b32 s22, s22
	s_delay_alu instid0(SALU_CYCLE_1)
	v_mov_b32_e32 v1, s22
	global_atomic_add_u32 v1, v28, v1, s[8:9] offset:384 glc
.LBB14_605:                             ;   in Loop: Header=BB14_501 Depth=1
	s_or_b32 exec_lo, exec_lo, s7
	s_waitcnt vmcnt(0)
	v_readfirstlane_b32 s7, v1
	s_and_not1_b32 vcc_lo, exec_lo, s11
	s_cbranch_vccz .LBB14_498
; %bb.606:                              ;   in Loop: Header=BB14_501 Depth=1
	v_add_nc_u32_e32 v1, 3, v4
	s_branch .LBB14_499
.LBB14_607:
                                        ; implicit-def: $sgpr2_sgpr3
	s_branch .LBB14_2
.LBB14_608:
	s_or_b32 exec_lo, exec_lo, s3
	v_mov_b32_e32 v4, v23
.LBB14_609:
	s_or_b32 exec_lo, exec_lo, s4
	s_delay_alu instid0(SALU_CYCLE_1) | instskip(NEXT) | instid1(VALU_DEP_1)
	s_mov_b32 s3, exec_lo
	v_cmpx_gt_i32_e64 s16, v4
	s_cbranch_execz .LBB14_639
; %bb.610:
	v_lshl_add_u32 v6, v4, 2, s18
	v_mov_b32_e32 v8, 0
	s_lshl_b32 s4, -1, s2
	s_mov_b32 s5, 0
	s_branch .LBB14_614
.LBB14_611:                             ;   in Loop: Header=BB14_614 Depth=1
	v_ashrrev_i32_e32 v7, 31, v6
	s_delay_alu instid0(VALU_DEP_1) | instskip(NEXT) | instid1(VALU_DEP_1)
	v_lshlrev_b64 v[1:2], 2, v[6:7]
	v_add_co_u32 v1, vcc_lo, s36, v1
	s_delay_alu instid0(VALU_DEP_2)
	v_add_co_ci_u32_e32 v2, vcc_lo, s37, v2, vcc_lo
	global_load_b32 v1, v[1:2], off
.LBB14_612:                             ;   in Loop: Header=BB14_614 Depth=1
	v_add_nc_u32_e32 v2, s7, v0
	s_delay_alu instid0(VALU_DEP_1) | instskip(NEXT) | instid1(VALU_DEP_1)
	v_ashrrev_i32_e32 v3, 31, v2
	v_lshlrev_b64 v[2:3], 2, v[2:3]
	s_delay_alu instid0(VALU_DEP_1) | instskip(NEXT) | instid1(VALU_DEP_2)
	v_add_co_u32 v2, vcc_lo, s15, v2
	v_add_co_ci_u32_e32 v3, vcc_lo, s23, v3, vcc_lo
	s_waitcnt vmcnt(0)
	global_store_b32 v[2:3], v1, off
.LBB14_613:                             ;   in Loop: Header=BB14_614 Depth=1
	s_or_b32 exec_lo, exec_lo, s6
	v_add_nc_u32_e32 v4, s10, v4
	v_add_nc_u32_e32 v6, s33, v6
	s_delay_alu instid0(VALU_DEP_2) | instskip(SKIP_1) | instid1(SALU_CYCLE_1)
	v_cmp_le_i32_e32 vcc_lo, s16, v4
	s_or_b32 s5, vcc_lo, s5
	s_and_not1_b32 exec_lo, exec_lo, s5
	s_cbranch_execz .LBB14_639
.LBB14_614:                             ; =>This Inner Loop Header: Depth=1
	v_ashrrev_i32_e32 v5, 31, v4
	s_mov_b32 s6, exec_lo
	s_delay_alu instid0(VALU_DEP_1) | instskip(NEXT) | instid1(VALU_DEP_1)
	v_lshlrev_b64 v[0:1], 4, v[4:5]
	v_add_co_u32 v0, vcc_lo, s30, v0
	s_delay_alu instid0(VALU_DEP_2) | instskip(SKIP_4) | instid1(VALU_DEP_1)
	v_add_co_ci_u32_e32 v1, vcc_lo, s31, v1, vcc_lo
	global_load_b128 v[0:3], v[0:1], off
	s_waitcnt vmcnt(0)
	v_cmp_gt_i32_e32 vcc_lo, 0, v0
	v_cndmask_b32_e64 v5, 0x7fffffff, 0, vcc_lo
	v_xor_b32_e32 v0, v5, v0
	s_delay_alu instid0(VALU_DEP_1) | instskip(SKIP_1) | instid1(VALU_DEP_1)
	v_and_b32_e32 v0, s4, v0
	s_waitcnt lgkmcnt(0)
	v_cmpx_le_u32_e64 v0, v13
	s_cbranch_execz .LBB14_620
; %bb.615:                              ;   in Loop: Header=BB14_614 Depth=1
	s_mov_b32 s17, exec_lo
	s_mov_b32 s7, exec_lo
	v_mbcnt_lo_u32_b32 v0, s17, 0
                                        ; implicit-def: $vgpr5
	s_delay_alu instid0(VALU_DEP_1)
	v_cmpx_eq_u32_e32 0, v0
	s_cbranch_execz .LBB14_617
; %bb.616:                              ;   in Loop: Header=BB14_614 Depth=1
	s_bcnt1_i32_b32 s17, s17
	s_delay_alu instid0(SALU_CYCLE_1)
	v_mov_b32_e32 v5, s17
	global_atomic_add_u32 v5, v8, v5, s[8:9] offset:384 glc
.LBB14_617:                             ;   in Loop: Header=BB14_614 Depth=1
	s_or_b32 exec_lo, exec_lo, s7
	s_waitcnt vmcnt(0)
	v_readfirstlane_b32 s7, v5
	v_mov_b32_e32 v5, v6
	s_and_not1_b32 vcc_lo, exec_lo, s11
	s_cbranch_vccnz .LBB14_619
; %bb.618:                              ;   in Loop: Header=BB14_614 Depth=1
	v_ashrrev_i32_e32 v7, 31, v6
	s_delay_alu instid0(VALU_DEP_1) | instskip(NEXT) | instid1(VALU_DEP_1)
	v_lshlrev_b64 v[9:10], 2, v[6:7]
	v_add_co_u32 v9, vcc_lo, s12, v9
	s_delay_alu instid0(VALU_DEP_2)
	v_add_co_ci_u32_e32 v10, vcc_lo, s13, v10, vcc_lo
	global_load_b32 v5, v[9:10], off
.LBB14_619:                             ;   in Loop: Header=BB14_614 Depth=1
	s_delay_alu instid0(VALU_DEP_2) | instskip(NEXT) | instid1(VALU_DEP_1)
	v_add_nc_u32_e32 v9, s7, v0
	v_ashrrev_i32_e32 v10, 31, v9
	s_delay_alu instid0(VALU_DEP_1) | instskip(NEXT) | instid1(VALU_DEP_1)
	v_lshlrev_b64 v[9:10], 2, v[9:10]
	v_add_co_u32 v9, vcc_lo, s15, v9
	s_delay_alu instid0(VALU_DEP_2)
	v_add_co_ci_u32_e32 v10, vcc_lo, s23, v10, vcc_lo
	s_waitcnt vmcnt(0)
	global_store_b32 v[9:10], v5, off
.LBB14_620:                             ;   in Loop: Header=BB14_614 Depth=1
	s_or_b32 exec_lo, exec_lo, s6
	v_cmp_gt_i32_e32 vcc_lo, 0, v1
	s_mov_b32 s6, exec_lo
	v_cndmask_b32_e64 v0, 0x7fffffff, 0, vcc_lo
	s_delay_alu instid0(VALU_DEP_1) | instskip(NEXT) | instid1(VALU_DEP_1)
	v_xor_b32_e32 v0, v0, v1
	v_and_b32_e32 v0, s4, v0
	s_delay_alu instid0(VALU_DEP_1)
	v_cmpx_le_u32_e64 v0, v13
	s_cbranch_execz .LBB14_627
; %bb.621:                              ;   in Loop: Header=BB14_614 Depth=1
	s_mov_b32 s17, exec_lo
	s_mov_b32 s7, exec_lo
	v_mbcnt_lo_u32_b32 v0, s17, 0
                                        ; implicit-def: $vgpr1
	s_delay_alu instid0(VALU_DEP_1)
	v_cmpx_eq_u32_e32 0, v0
	s_cbranch_execz .LBB14_623
; %bb.622:                              ;   in Loop: Header=BB14_614 Depth=1
	s_bcnt1_i32_b32 s17, s17
	s_delay_alu instid0(SALU_CYCLE_1)
	v_mov_b32_e32 v1, s17
	global_atomic_add_u32 v1, v8, v1, s[8:9] offset:384 glc
.LBB14_623:                             ;   in Loop: Header=BB14_614 Depth=1
	s_or_b32 exec_lo, exec_lo, s7
	s_waitcnt vmcnt(0)
	v_readfirstlane_b32 s7, v1
	s_and_not1_b32 vcc_lo, exec_lo, s11
	s_cbranch_vccnz .LBB14_625
; %bb.624:                              ;   in Loop: Header=BB14_614 Depth=1
	v_ashrrev_i32_e32 v7, 31, v6
	s_delay_alu instid0(VALU_DEP_1) | instskip(NEXT) | instid1(VALU_DEP_1)
	v_lshlrev_b64 v[9:10], 2, v[6:7]
	v_add_co_u32 v9, vcc_lo, s14, v9
	s_delay_alu instid0(VALU_DEP_2)
	v_add_co_ci_u32_e32 v10, vcc_lo, s19, v10, vcc_lo
	global_load_b32 v1, v[9:10], off
	s_branch .LBB14_626
.LBB14_625:                             ;   in Loop: Header=BB14_614 Depth=1
	v_add_nc_u32_e32 v1, 1, v6
.LBB14_626:                             ;   in Loop: Header=BB14_614 Depth=1
	s_delay_alu instid0(VALU_DEP_2) | instskip(NEXT) | instid1(VALU_DEP_1)
	v_add_nc_u32_e32 v9, s7, v0
	v_ashrrev_i32_e32 v10, 31, v9
	s_delay_alu instid0(VALU_DEP_1) | instskip(NEXT) | instid1(VALU_DEP_1)
	v_lshlrev_b64 v[9:10], 2, v[9:10]
	v_add_co_u32 v9, vcc_lo, s15, v9
	s_delay_alu instid0(VALU_DEP_2)
	v_add_co_ci_u32_e32 v10, vcc_lo, s23, v10, vcc_lo
	s_waitcnt vmcnt(0)
	global_store_b32 v[9:10], v1, off
.LBB14_627:                             ;   in Loop: Header=BB14_614 Depth=1
	s_or_b32 exec_lo, exec_lo, s6
	v_cmp_gt_i32_e32 vcc_lo, 0, v2
	s_mov_b32 s6, exec_lo
	v_cndmask_b32_e64 v0, 0x7fffffff, 0, vcc_lo
	s_delay_alu instid0(VALU_DEP_1) | instskip(NEXT) | instid1(VALU_DEP_1)
	v_xor_b32_e32 v0, v0, v2
	v_and_b32_e32 v0, s4, v0
	s_delay_alu instid0(VALU_DEP_1)
	v_cmpx_le_u32_e64 v0, v13
	s_cbranch_execz .LBB14_634
; %bb.628:                              ;   in Loop: Header=BB14_614 Depth=1
	s_mov_b32 s17, exec_lo
	s_mov_b32 s7, exec_lo
	v_mbcnt_lo_u32_b32 v0, s17, 0
                                        ; implicit-def: $vgpr1
	s_delay_alu instid0(VALU_DEP_1)
	v_cmpx_eq_u32_e32 0, v0
	s_cbranch_execz .LBB14_630
; %bb.629:                              ;   in Loop: Header=BB14_614 Depth=1
	s_bcnt1_i32_b32 s17, s17
	s_delay_alu instid0(SALU_CYCLE_1)
	v_mov_b32_e32 v1, s17
	global_atomic_add_u32 v1, v8, v1, s[8:9] offset:384 glc
.LBB14_630:                             ;   in Loop: Header=BB14_614 Depth=1
	s_or_b32 exec_lo, exec_lo, s7
	s_waitcnt vmcnt(0)
	v_readfirstlane_b32 s7, v1
	s_and_not1_b32 vcc_lo, exec_lo, s11
	s_cbranch_vccnz .LBB14_632
; %bb.631:                              ;   in Loop: Header=BB14_614 Depth=1
	v_ashrrev_i32_e32 v7, 31, v6
	s_delay_alu instid0(VALU_DEP_1) | instskip(NEXT) | instid1(VALU_DEP_1)
	v_lshlrev_b64 v[1:2], 2, v[6:7]
	v_add_co_u32 v1, vcc_lo, s34, v1
	s_delay_alu instid0(VALU_DEP_2)
	v_add_co_ci_u32_e32 v2, vcc_lo, s35, v2, vcc_lo
	global_load_b32 v1, v[1:2], off
	s_branch .LBB14_633
.LBB14_632:                             ;   in Loop: Header=BB14_614 Depth=1
	v_add_nc_u32_e32 v1, 2, v6
.LBB14_633:                             ;   in Loop: Header=BB14_614 Depth=1
	s_delay_alu instid0(VALU_DEP_2) | instskip(NEXT) | instid1(VALU_DEP_1)
	v_add_nc_u32_e32 v9, s7, v0
	v_ashrrev_i32_e32 v10, 31, v9
	s_delay_alu instid0(VALU_DEP_1) | instskip(NEXT) | instid1(VALU_DEP_1)
	v_lshlrev_b64 v[9:10], 2, v[9:10]
	v_add_co_u32 v9, vcc_lo, s15, v9
	s_delay_alu instid0(VALU_DEP_2)
	v_add_co_ci_u32_e32 v10, vcc_lo, s23, v10, vcc_lo
	s_waitcnt vmcnt(0)
	global_store_b32 v[9:10], v1, off
.LBB14_634:                             ;   in Loop: Header=BB14_614 Depth=1
	s_or_b32 exec_lo, exec_lo, s6
	v_cmp_gt_i32_e32 vcc_lo, 0, v3
	s_mov_b32 s6, exec_lo
	v_cndmask_b32_e64 v0, 0x7fffffff, 0, vcc_lo
	s_delay_alu instid0(VALU_DEP_1) | instskip(NEXT) | instid1(VALU_DEP_1)
	v_xor_b32_e32 v0, v0, v3
	v_and_b32_e32 v0, s4, v0
	s_delay_alu instid0(VALU_DEP_1)
	v_cmpx_le_u32_e64 v0, v13
	s_cbranch_execz .LBB14_613
; %bb.635:                              ;   in Loop: Header=BB14_614 Depth=1
	s_mov_b32 s17, exec_lo
	s_mov_b32 s7, exec_lo
	v_mbcnt_lo_u32_b32 v0, s17, 0
                                        ; implicit-def: $vgpr1
	s_delay_alu instid0(VALU_DEP_1)
	v_cmpx_eq_u32_e32 0, v0
	s_cbranch_execz .LBB14_637
; %bb.636:                              ;   in Loop: Header=BB14_614 Depth=1
	s_bcnt1_i32_b32 s17, s17
	s_delay_alu instid0(SALU_CYCLE_1)
	v_mov_b32_e32 v1, s17
	global_atomic_add_u32 v1, v8, v1, s[8:9] offset:384 glc
.LBB14_637:                             ;   in Loop: Header=BB14_614 Depth=1
	s_or_b32 exec_lo, exec_lo, s7
	s_waitcnt vmcnt(0)
	v_readfirstlane_b32 s7, v1
	s_and_not1_b32 vcc_lo, exec_lo, s11
	s_cbranch_vccz .LBB14_611
; %bb.638:                              ;   in Loop: Header=BB14_614 Depth=1
	v_add_nc_u32_e32 v1, 3, v6
	s_branch .LBB14_612
.LBB14_639:
	s_or_b32 exec_lo, exec_lo, s3
	s_and_saveexec_b32 s3, s1
	s_cbranch_execz .LBB14_646
; %bb.640:
	global_load_b32 v0, v[19:20], off
	s_lshl_b32 s1, -1, s2
	s_waitcnt vmcnt(0)
	v_cmp_gt_i32_e32 vcc_lo, 0, v0
	v_cndmask_b32_e64 v1, 0x7fffffff, 0, vcc_lo
	s_delay_alu instid0(VALU_DEP_1) | instskip(NEXT) | instid1(VALU_DEP_1)
	v_xor_b32_e32 v0, v1, v0
	v_and_b32_e32 v0, s1, v0
	s_waitcnt lgkmcnt(0)
	s_delay_alu instid0(VALU_DEP_1)
	v_cmp_le_u32_e32 vcc_lo, v0, v13
	s_and_b32 exec_lo, exec_lo, vcc_lo
	s_cbranch_execz .LBB14_646
; %bb.641:
	s_mov_b32 s4, exec_lo
	s_mov_b32 s1, exec_lo
	v_mbcnt_lo_u32_b32 v0, s4, 0
                                        ; implicit-def: $vgpr1
	s_delay_alu instid0(VALU_DEP_1)
	v_cmpx_eq_u32_e32 0, v0
	s_cbranch_execz .LBB14_643
; %bb.642:
	s_bcnt1_i32_b32 s4, s4
	s_delay_alu instid0(SALU_CYCLE_1)
	v_dual_mov_b32 v1, 0 :: v_dual_mov_b32 v2, s4
	global_atomic_add_u32 v1, v1, v2, s[8:9] offset:384 glc
.LBB14_643:
	s_or_b32 exec_lo, exec_lo, s1
	s_waitcnt vmcnt(0)
	v_readfirstlane_b32 s1, v1
	s_and_not1_b32 vcc_lo, exec_lo, s11
	s_cbranch_vccnz .LBB14_645
; %bb.644:
	global_load_b32 v14, v[21:22], off
.LBB14_645:
	s_delay_alu instid0(VALU_DEP_1) | instskip(NEXT) | instid1(VALU_DEP_1)
	v_add_nc_u32_e32 v0, s1, v0
	v_ashrrev_i32_e32 v1, 31, v0
	s_delay_alu instid0(VALU_DEP_1) | instskip(NEXT) | instid1(VALU_DEP_1)
	v_lshlrev_b64 v[0:1], 2, v[0:1]
	v_add_co_u32 v0, vcc_lo, s15, v0
	s_delay_alu instid0(VALU_DEP_2)
	v_add_co_ci_u32_e32 v1, vcc_lo, s23, v1, vcc_lo
	s_waitcnt vmcnt(0)
	global_store_b32 v[0:1], v14, off
.LBB14_646:
	s_or_b32 exec_lo, exec_lo, s3
	s_and_saveexec_b32 s1, s0
	s_cbranch_execz .LBB14_653
; %bb.647:
	global_load_b32 v0, v[15:16], off
	s_lshl_b32 s0, -1, s2
	s_waitcnt vmcnt(0)
	v_cmp_gt_i32_e32 vcc_lo, 0, v0
	v_cndmask_b32_e64 v1, 0x7fffffff, 0, vcc_lo
	s_delay_alu instid0(VALU_DEP_1) | instskip(NEXT) | instid1(VALU_DEP_1)
	v_xor_b32_e32 v0, v1, v0
	v_and_b32_e32 v0, s0, v0
	s_waitcnt lgkmcnt(0)
	s_delay_alu instid0(VALU_DEP_1)
	v_cmp_le_u32_e32 vcc_lo, v0, v13
	s_and_b32 exec_lo, exec_lo, vcc_lo
	s_cbranch_execz .LBB14_653
; %bb.648:
	s_mov_b32 s1, exec_lo
	s_mov_b32 s0, exec_lo
	v_mbcnt_lo_u32_b32 v0, s1, 0
                                        ; implicit-def: $vgpr1
	s_delay_alu instid0(VALU_DEP_1)
	v_cmpx_eq_u32_e32 0, v0
	s_cbranch_execz .LBB14_650
; %bb.649:
	s_bcnt1_i32_b32 s1, s1
	s_delay_alu instid0(SALU_CYCLE_1)
	v_dual_mov_b32 v1, 0 :: v_dual_mov_b32 v2, s1
	global_atomic_add_u32 v1, v1, v2, s[8:9] offset:384 glc
.LBB14_650:
	s_or_b32 exec_lo, exec_lo, s0
	s_waitcnt vmcnt(0)
	v_readfirstlane_b32 s0, v1
	s_and_not1_b32 vcc_lo, exec_lo, s11
	s_cbranch_vccnz .LBB14_652
; %bb.651:
	global_load_b32 v12, v[17:18], off
.LBB14_652:
	s_delay_alu instid0(VALU_DEP_1) | instskip(NEXT) | instid1(VALU_DEP_1)
	v_add_nc_u32_e32 v0, s0, v0
	v_ashrrev_i32_e32 v1, 31, v0
	s_delay_alu instid0(VALU_DEP_1) | instskip(NEXT) | instid1(VALU_DEP_1)
	v_lshlrev_b64 v[0:1], 2, v[0:1]
	v_add_co_u32 v0, vcc_lo, s15, v0
	s_delay_alu instid0(VALU_DEP_2)
	v_add_co_ci_u32_e32 v1, vcc_lo, s23, v1, vcc_lo
	s_waitcnt vmcnt(0)
	global_store_b32 v[0:1], v12, off
.LBB14_653:
	s_nop 0
	s_sendmsg sendmsg(MSG_DEALLOC_VGPRS)
	s_endpgm
	.section	.rodata,"a",@progbits
	.p2align	6, 0x0
	.amdhsa_kernel _ZN5aiter2mb23radix_kernel_persistentIfiLi10ELi1024ELb0ELb0ELNS0_5PhaseE1EEEvPKT_PKT0_PS3_PS6_PNS0_7CounterIS3_S6_EESA_S6_S8_S8_S6_S6_b
		.amdhsa_group_segment_fixed_size 8592
		.amdhsa_private_segment_fixed_size 0
		.amdhsa_kernarg_size 344
		.amdhsa_user_sgpr_count 14
		.amdhsa_user_sgpr_dispatch_ptr 0
		.amdhsa_user_sgpr_queue_ptr 0
		.amdhsa_user_sgpr_kernarg_segment_ptr 1
		.amdhsa_user_sgpr_dispatch_id 0
		.amdhsa_user_sgpr_private_segment_size 0
		.amdhsa_wavefront_size32 1
		.amdhsa_uses_dynamic_stack 0
		.amdhsa_enable_private_segment 0
		.amdhsa_system_sgpr_workgroup_id_x 1
		.amdhsa_system_sgpr_workgroup_id_y 1
		.amdhsa_system_sgpr_workgroup_id_z 0
		.amdhsa_system_sgpr_workgroup_info 0
		.amdhsa_system_vgpr_workitem_id 2
		.amdhsa_next_free_vgpr 67
		.amdhsa_next_free_sgpr 52
		.amdhsa_reserve_vcc 1
		.amdhsa_float_round_mode_32 0
		.amdhsa_float_round_mode_16_64 0
		.amdhsa_float_denorm_mode_32 3
		.amdhsa_float_denorm_mode_16_64 3
		.amdhsa_dx10_clamp 1
		.amdhsa_ieee_mode 1
		.amdhsa_fp16_overflow 0
		.amdhsa_workgroup_processor_mode 1
		.amdhsa_memory_ordered 1
		.amdhsa_forward_progress 0
		.amdhsa_shared_vgpr_count 0
		.amdhsa_exception_fp_ieee_invalid_op 0
		.amdhsa_exception_fp_denorm_src 0
		.amdhsa_exception_fp_ieee_div_zero 0
		.amdhsa_exception_fp_ieee_overflow 0
		.amdhsa_exception_fp_ieee_underflow 0
		.amdhsa_exception_fp_ieee_inexact 0
		.amdhsa_exception_int_div_zero 0
	.end_amdhsa_kernel
	.section	.text._ZN5aiter2mb23radix_kernel_persistentIfiLi10ELi1024ELb0ELb0ELNS0_5PhaseE1EEEvPKT_PKT0_PS3_PS6_PNS0_7CounterIS3_S6_EESA_S6_S8_S8_S6_S6_b,"axG",@progbits,_ZN5aiter2mb23radix_kernel_persistentIfiLi10ELi1024ELb0ELb0ELNS0_5PhaseE1EEEvPKT_PKT0_PS3_PS6_PNS0_7CounterIS3_S6_EESA_S6_S8_S8_S6_S6_b,comdat
.Lfunc_end14:
	.size	_ZN5aiter2mb23radix_kernel_persistentIfiLi10ELi1024ELb0ELb0ELNS0_5PhaseE1EEEvPKT_PKT0_PS3_PS6_PNS0_7CounterIS3_S6_EESA_S6_S8_S8_S6_S6_b, .Lfunc_end14-_ZN5aiter2mb23radix_kernel_persistentIfiLi10ELi1024ELb0ELb0ELNS0_5PhaseE1EEEvPKT_PKT0_PS3_PS6_PNS0_7CounterIS3_S6_EESA_S6_S8_S8_S6_S6_b
                                        ; -- End function
	.section	.AMDGPU.csdata,"",@progbits
; Kernel info:
; codeLenInByte = 23444
; NumSgprs: 54
; NumVgprs: 67
; ScratchSize: 0
; MemoryBound: 0
; FloatMode: 240
; IeeeMode: 1
; LDSByteSize: 8592 bytes/workgroup (compile time only)
; SGPRBlocks: 6
; VGPRBlocks: 8
; NumSGPRsForWavesPerEU: 54
; NumVGPRsForWavesPerEU: 67
; Occupancy: 16
; WaveLimiterHint : 1
; COMPUTE_PGM_RSRC2:SCRATCH_EN: 0
; COMPUTE_PGM_RSRC2:USER_SGPR: 14
; COMPUTE_PGM_RSRC2:TRAP_HANDLER: 0
; COMPUTE_PGM_RSRC2:TGID_X_EN: 1
; COMPUTE_PGM_RSRC2:TGID_Y_EN: 1
; COMPUTE_PGM_RSRC2:TGID_Z_EN: 0
; COMPUTE_PGM_RSRC2:TIDIG_COMP_CNT: 2
	.section	.text._ZN5aiter2ob27radix_topk_one_block_kernelIfiLi12ELi1024ELb0ELb0ELNS0_5PhaseE1EEEvPKT_PKT0_lS8_S8_S6_PS3_PS6_bPci,"axG",@progbits,_ZN5aiter2ob27radix_topk_one_block_kernelIfiLi12ELi1024ELb0ELb0ELNS0_5PhaseE1EEEvPKT_PKT0_lS8_S8_S6_PS3_PS6_bPci,comdat
	.protected	_ZN5aiter2ob27radix_topk_one_block_kernelIfiLi12ELi1024ELb0ELb0ELNS0_5PhaseE1EEEvPKT_PKT0_lS8_S8_S6_PS3_PS6_bPci ; -- Begin function _ZN5aiter2ob27radix_topk_one_block_kernelIfiLi12ELi1024ELb0ELb0ELNS0_5PhaseE1EEEvPKT_PKT0_lS8_S8_S6_PS3_PS6_bPci
	.globl	_ZN5aiter2ob27radix_topk_one_block_kernelIfiLi12ELi1024ELb0ELb0ELNS0_5PhaseE1EEEvPKT_PKT0_lS8_S8_S6_PS3_PS6_bPci
	.p2align	8
	.type	_ZN5aiter2ob27radix_topk_one_block_kernelIfiLi12ELi1024ELb0ELb0ELNS0_5PhaseE1EEEvPKT_PKT0_lS8_S8_S6_PS3_PS6_bPci,@function
_ZN5aiter2ob27radix_topk_one_block_kernelIfiLi12ELi1024ELb0ELb0ELNS0_5PhaseE1EEEvPKT_PKT0_lS8_S8_S6_PS3_PS6_bPci: ; @_ZN5aiter2ob27radix_topk_one_block_kernelIfiLi12ELi1024ELb0ELb0ELNS0_5PhaseE1EEEvPKT_PKT0_lS8_S8_S6_PS3_PS6_bPci
; %bb.0:
	s_load_b32 s8, s[0:1], 0x50
	s_mov_b32 s2, 0
	s_mov_b32 s32, 0
	s_waitcnt lgkmcnt(0)
	s_ashr_i32 s6, s8, 31
	s_delay_alu instid0(SALU_CYCLE_1) | instskip(NEXT) | instid1(SALU_CYCLE_1)
	s_mov_b32 s3, s6
	s_cmp_lg_u64 s[2:3], 0
	s_cbranch_scc0 .LBB15_79
; %bb.1:
	s_add_u32 s10, s8, s6
	s_mov_b32 s4, s6
	s_mov_b32 s5, s6
	s_addc_u32 s11, s6, s6
	s_delay_alu instid0(SALU_CYCLE_1) | instskip(NEXT) | instid1(SALU_CYCLE_1)
	s_xor_b64 s[6:7], s[10:11], s[4:5]
	v_cvt_f32_u32_e32 v1, s6
	v_cvt_f32_u32_e32 v2, s7
	s_sub_u32 s10, 0, s6
	s_subb_u32 s11, 0, s7
	s_delay_alu instid0(VALU_DEP_1) | instskip(NEXT) | instid1(VALU_DEP_1)
	v_fmamk_f32 v1, v2, 0x4f800000, v1
	v_rcp_f32_e32 v1, v1
	s_waitcnt_depctr 0xfff
	v_mul_f32_e32 v1, 0x5f7ffffc, v1
	s_delay_alu instid0(VALU_DEP_1) | instskip(NEXT) | instid1(VALU_DEP_1)
	v_mul_f32_e32 v2, 0x2f800000, v1
	v_trunc_f32_e32 v2, v2
	s_delay_alu instid0(VALU_DEP_1) | instskip(SKIP_1) | instid1(VALU_DEP_2)
	v_fmamk_f32 v1, v2, 0xcf800000, v1
	v_cvt_u32_f32_e32 v2, v2
	v_cvt_u32_f32_e32 v1, v1
	s_delay_alu instid0(VALU_DEP_2) | instskip(NEXT) | instid1(VALU_DEP_2)
	v_readfirstlane_b32 s3, v2
	v_readfirstlane_b32 s9, v1
	s_delay_alu instid0(VALU_DEP_2) | instskip(NEXT) | instid1(VALU_DEP_1)
	s_mul_i32 s12, s10, s3
	s_mul_hi_u32 s14, s10, s9
	s_mul_i32 s13, s11, s9
	s_add_i32 s12, s14, s12
	s_mul_i32 s16, s10, s9
	s_add_i32 s12, s12, s13
	s_mul_hi_u32 s14, s9, s16
	s_mul_hi_u32 s17, s3, s16
	s_mul_i32 s13, s3, s16
	s_mul_hi_u32 s16, s9, s12
	s_mul_i32 s9, s9, s12
	s_mul_hi_u32 s18, s3, s12
	s_add_u32 s9, s14, s9
	s_addc_u32 s14, 0, s16
	s_add_u32 s9, s9, s13
	s_mul_i32 s12, s3, s12
	s_addc_u32 s9, s14, s17
	s_addc_u32 s13, s18, 0
	s_add_u32 s9, s9, s12
	s_addc_u32 s12, 0, s13
	v_add_co_u32 v1, s9, v1, s9
	s_delay_alu instid0(VALU_DEP_1) | instskip(SKIP_1) | instid1(VALU_DEP_1)
	s_cmp_lg_u32 s9, 0
	s_addc_u32 s3, s3, s12
	v_readfirstlane_b32 s9, v1
	s_mul_i32 s12, s10, s3
	s_delay_alu instid0(VALU_DEP_1)
	s_mul_hi_u32 s13, s10, s9
	s_mul_i32 s11, s11, s9
	s_add_i32 s12, s13, s12
	s_mul_i32 s10, s10, s9
	s_add_i32 s12, s12, s11
	s_mul_hi_u32 s13, s3, s10
	s_mul_i32 s14, s3, s10
	s_mul_hi_u32 s10, s9, s10
	s_mul_hi_u32 s16, s9, s12
	s_mul_i32 s9, s9, s12
	s_mul_hi_u32 s11, s3, s12
	s_add_u32 s9, s10, s9
	s_addc_u32 s10, 0, s16
	s_add_u32 s9, s9, s14
	s_mul_i32 s12, s3, s12
	s_addc_u32 s9, s10, s13
	s_addc_u32 s10, s11, 0
	s_add_u32 s9, s9, s12
	s_addc_u32 s10, 0, s10
	v_add_co_u32 v1, s9, v1, s9
	s_delay_alu instid0(VALU_DEP_1) | instskip(SKIP_1) | instid1(VALU_DEP_1)
	s_cmp_lg_u32 s9, 0
	s_addc_u32 s3, s3, s10
	v_readfirstlane_b32 s9, v1
	s_mul_i32 s10, s15, s3
	s_mul_hi_u32 s3, s15, s3
	s_delay_alu instid0(VALU_DEP_1) | instskip(NEXT) | instid1(SALU_CYCLE_1)
	s_mul_hi_u32 s9, s15, s9
	s_add_u32 s9, s9, s10
	s_addc_u32 s3, 0, s3
	s_add_u32 s9, s9, 0
	s_addc_u32 s3, s3, 0
	s_addc_u32 s9, 0, 0
	s_add_u32 s3, s3, 0
	s_addc_u32 s9, 0, s9
	s_mul_hi_u32 s10, s6, s3
	s_mul_i32 s12, s6, s9
	s_mul_i32 s13, s6, s3
	s_add_i32 s10, s10, s12
	v_sub_co_u32 v1, s12, s15, s13
	s_mul_i32 s11, s7, s3
	s_delay_alu instid0(SALU_CYCLE_1) | instskip(NEXT) | instid1(VALU_DEP_1)
	s_add_i32 s10, s10, s11
	v_sub_co_u32 v2, s13, v1, s6
	s_sub_i32 s11, 0, s10
	s_cmp_lg_u32 s12, 0
	s_subb_u32 s11, s11, s7
	s_cmp_lg_u32 s13, 0
	v_readfirstlane_b32 s13, v2
	s_subb_u32 s11, s11, 0
	s_delay_alu instid0(SALU_CYCLE_1) | instskip(SKIP_1) | instid1(VALU_DEP_1)
	s_cmp_ge_u32 s11, s7
	s_cselect_b32 s14, -1, 0
	s_cmp_ge_u32 s13, s6
	s_cselect_b32 s13, -1, 0
	s_cmp_eq_u32 s11, s7
	s_cselect_b32 s11, s13, s14
	s_add_u32 s13, s3, 1
	s_addc_u32 s14, s9, 0
	s_add_u32 s16, s3, 2
	s_addc_u32 s17, s9, 0
	s_cmp_lg_u32 s11, 0
	s_cselect_b32 s11, s16, s13
	s_cselect_b32 s13, s17, s14
	s_cmp_lg_u32 s12, 0
	v_readfirstlane_b32 s12, v1
	s_subb_u32 s10, 0, s10
	s_delay_alu instid0(SALU_CYCLE_1) | instskip(SKIP_1) | instid1(VALU_DEP_1)
	s_cmp_ge_u32 s10, s7
	s_cselect_b32 s14, -1, 0
	s_cmp_ge_u32 s12, s6
	s_cselect_b32 s6, -1, 0
	s_cmp_eq_u32 s10, s7
	s_cselect_b32 s6, s6, s14
	s_delay_alu instid0(SALU_CYCLE_1) | instskip(SKIP_2) | instid1(SALU_CYCLE_1)
	s_cmp_lg_u32 s6, 0
	s_cselect_b32 s7, s13, s9
	s_cselect_b32 s6, s11, s3
	s_xor_b64 s[6:7], s[6:7], s[4:5]
	s_delay_alu instid0(SALU_CYCLE_1)
	s_sub_u32 s4, s6, s4
	s_subb_u32 s5, s7, s5
	s_and_not1_b32 vcc_lo, exec_lo, s2
	s_cbranch_vccnz .LBB15_3
.LBB15_2:
	v_cvt_f32_u32_e32 v1, s8
	s_sub_i32 s3, 0, s8
	s_delay_alu instid0(VALU_DEP_1) | instskip(SKIP_2) | instid1(VALU_DEP_1)
	v_rcp_iflag_f32_e32 v1, v1
	s_waitcnt_depctr 0xfff
	v_mul_f32_e32 v1, 0x4f7ffffe, v1
	v_cvt_u32_f32_e32 v1, v1
	s_delay_alu instid0(VALU_DEP_1) | instskip(NEXT) | instid1(VALU_DEP_1)
	v_readfirstlane_b32 s2, v1
	s_mul_i32 s3, s3, s2
	s_delay_alu instid0(SALU_CYCLE_1) | instskip(NEXT) | instid1(SALU_CYCLE_1)
	s_mul_hi_u32 s3, s2, s3
	s_add_i32 s2, s2, s3
	s_delay_alu instid0(SALU_CYCLE_1) | instskip(NEXT) | instid1(SALU_CYCLE_1)
	s_mul_hi_u32 s2, s15, s2
	s_mul_i32 s3, s2, s8
	s_add_i32 s4, s2, 1
	s_sub_i32 s3, s15, s3
	s_delay_alu instid0(SALU_CYCLE_1)
	s_sub_i32 s5, s3, s8
	s_cmp_ge_u32 s3, s8
	s_cselect_b32 s2, s4, s2
	s_cselect_b32 s3, s5, s3
	s_add_i32 s4, s2, 1
	s_cmp_ge_u32 s3, s8
	s_mov_b32 s5, 0
	s_cselect_b32 s4, s4, s2
.LBB15_3:
	s_clause 0x1
	s_load_b64 s[2:3], s[0:1], 0x20
	s_load_b32 s14, s[0:1], 0x28
	s_lshl_b64 s[6:7], s[4:5], 2
	s_waitcnt lgkmcnt(0)
	s_add_u32 s2, s2, s6
	s_addc_u32 s3, s3, s7
	s_load_b32 s2, s[2:3], 0x0
	s_mul_i32 s3, s4, s8
	s_delay_alu instid0(SALU_CYCLE_1)
	s_sub_i32 s4, s15, s3
	v_cmp_ne_u32_e64 s3, 0, v0
	s_waitcnt lgkmcnt(0)
	s_sub_i32 s5, s2, s8
	v_cmp_eq_u32_e64 s2, 0, v0
	s_add_i32 s22, s5, s4
	s_delay_alu instid0(SALU_CYCLE_1) | instskip(NEXT) | instid1(VALU_DEP_1)
	s_add_i32 s22, s22, 1
	s_and_saveexec_b32 s4, s2
	s_cbranch_execz .LBB15_5
; %bb.4:
	v_dual_mov_b32 v2, s22 :: v_dual_mov_b32 v1, s14
	v_dual_mov_b32 v4, 0 :: v_dual_mov_b32 v3, s22
	ds_store_b128 v4, v[1:4]
	ds_store_2addr_b32 v4, v4, v4 offset0:96 offset1:128
.LBB15_5:
	s_or_b32 exec_lo, exec_lo, s4
	s_load_b64 s[12:13], s[0:1], 0x38
	s_ashr_i32 s4, s14, 31
	s_mul_hi_u32 s5, s14, s15
	s_mul_i32 s4, s4, s15
	s_mul_i32 s16, s14, s15
	s_add_i32 s17, s5, s4
	s_cmp_gt_i32 s22, s14
	s_mov_b32 s4, -1
	s_waitcnt lgkmcnt(0)
	s_barrier
	buffer_gl0_inv
	s_cbranch_scc0 .LBB15_8
; %bb.6:
	s_and_not1_b32 vcc_lo, exec_lo, s4
	s_cbranch_vccz .LBB15_12
.LBB15_7:
	s_nop 0
	s_sendmsg sendmsg(MSG_DEALLOC_VGPRS)
	s_endpgm
.LBB15_8:
	s_mov_b32 s5, exec_lo
	v_cmpx_gt_i32_e64 s14, v0
	s_cbranch_execz .LBB15_11
; %bb.9:
	v_lshlrev_b32_e32 v1, 2, v0
	s_lshl_b64 s[6:7], s[16:17], 2
	v_mov_b32_e32 v3, v0
	s_add_u32 s4, s12, s6
	s_addc_u32 s6, s13, s7
	v_add_co_u32 v1, s4, s4, v1
	s_delay_alu instid0(VALU_DEP_1)
	v_add_co_ci_u32_e64 v2, null, s6, 0, s4
	s_mov_b32 s6, 0
.LBB15_10:                              ; =>This Inner Loop Header: Depth=1
	v_cmp_gt_i32_e32 vcc_lo, s22, v3
	v_cndmask_b32_e32 v4, -1, v3, vcc_lo
	v_add_nc_u32_e32 v3, 0x400, v3
	global_store_b32 v[1:2], v4, off
	v_cmp_le_i32_e32 vcc_lo, s14, v3
	v_add_co_u32 v1, s4, 0x1000, v1
	s_delay_alu instid0(VALU_DEP_1) | instskip(SKIP_1) | instid1(SALU_CYCLE_1)
	v_add_co_ci_u32_e64 v2, s4, 0, v2, s4
	s_or_b32 s6, vcc_lo, s6
	s_and_not1_b32 exec_lo, exec_lo, s6
	s_cbranch_execnz .LBB15_10
.LBB15_11:
	s_or_b32 exec_lo, exec_lo, s5
	s_cbranch_execnz .LBB15_7
.LBB15_12:
	s_load_b32 s4, s[0:1], 0x64
	v_dual_mov_b32 v1, 0 :: v_dual_lshlrev_b32 v6, 2, v0
	v_mov_b32_e32 v2, v0
	s_delay_alu instid0(VALU_DEP_2) | instskip(NEXT) | instid1(VALU_DEP_1)
	v_add_nc_u32_e32 v32, 0x4480, v6
	v_mov_b32_e32 v3, v32
	s_waitcnt lgkmcnt(0)
	s_and_b32 s25, s4, 0xffff
	s_mov_b32 s4, 0
	s_lshl_b32 s26, s25, 2
.LBB15_13:                              ; =>This Inner Loop Header: Depth=1
	v_add_nc_u32_e32 v2, s25, v2
	ds_store_b32 v3, v1
	v_add_nc_u32_e32 v3, s26, v3
	v_cmp_lt_u32_e32 vcc_lo, 0xfff, v2
	s_or_b32 s4, vcc_lo, s4
	s_delay_alu instid0(SALU_CYCLE_1)
	s_and_not1_b32 exec_lo, exec_lo, s4
	s_cbranch_execnz .LBB15_13
; %bb.14:
	s_or_b32 exec_lo, exec_lo, s4
	s_and_saveexec_b32 s4, s2
	s_cbranch_execz .LBB15_16
; %bb.15:
	v_mov_b32_e32 v1, 0
	ds_store_b32 v1, v1 offset:128
.LBB15_16:
	s_or_b32 exec_lo, exec_lo, s4
	s_clause 0x1
	s_load_b64 s[4:5], s[0:1], 0x10
	s_load_b128 s[8:11], s[0:1], 0x0
	s_mul_i32 s28, s25, 3
	v_dual_mov_b32 v1, 0 :: v_dual_mov_b32 v2, v0
	s_waitcnt lgkmcnt(0)
	s_waitcnt_vscnt null, 0x0
	s_barrier
	buffer_gl0_inv
	s_mul_i32 s5, s15, s5
	s_mul_hi_u32 s6, s15, s4
	s_mul_i32 s4, s15, s4
	s_add_i32 s5, s6, s5
	s_delay_alu instid0(SALU_CYCLE_1) | instskip(SKIP_4) | instid1(SALU_CYCLE_1)
	s_lshl_b64 s[18:19], s[4:5], 2
	s_mov_b32 s5, 0
	s_add_u32 s24, s8, s18
	s_addc_u32 s23, s9, s19
	s_and_b32 s4, s24, 15
	s_sub_i32 s6, 16, s4
	s_delay_alu instid0(SALU_CYCLE_1) | instskip(SKIP_2) | instid1(SALU_CYCLE_1)
	s_lshr_b32 s6, s6, 2
	s_cmp_lg_u64 s[4:5], 0
	s_cselect_b32 s4, s6, 0
	s_min_i32 s6, s4, s22
	s_delay_alu instid0(SALU_CYCLE_1) | instskip(NEXT) | instid1(SALU_CYCLE_1)
	s_ashr_i32 s7, s6, 31
	s_lshl_b64 s[20:21], s[6:7], 2
	s_delay_alu instid0(SALU_CYCLE_1) | instskip(SKIP_2) | instid1(SALU_CYCLE_1)
	s_add_u32 s9, s24, s20
	s_addc_u32 s27, s23, s21
	s_sub_i32 s4, s22, s6
	s_ashr_i32 s7, s4, 31
	s_delay_alu instid0(SALU_CYCLE_1) | instskip(NEXT) | instid1(SALU_CYCLE_1)
	s_lshr_b32 s7, s7, 30
	s_add_i32 s4, s4, s7
	v_add_co_u32 v22, s7, s28, v0
	s_delay_alu instid0(VALU_DEP_1)
	v_add_co_ci_u32_e64 v23, null, 0, 0, s7
	s_ashr_i32 s20, s4, 2
	s_lshl_b32 s4, s25, 4
	s_ashr_i32 s21, s20, 31
	s_add_u32 s29, s9, s4
	v_cmp_gt_u64_e64 s7, s[20:21], v[22:23]
	s_addc_u32 s30, s27, 0
	s_add_u32 s31, s29, s4
	s_addc_u32 s33, s30, 0
	s_delay_alu instid0(VALU_DEP_1)
	s_and_saveexec_b32 s4, s7
	s_cbranch_execz .LBB15_20
; %bb.17:
	v_dual_mov_b32 v7, 1 :: v_dual_mov_b32 v4, v22
	v_mov_b32_e32 v3, v1
	v_dual_mov_b32 v5, v23 :: v_dual_mov_b32 v2, v0
.LBB15_18:                              ; =>This Inner Loop Header: Depth=1
	s_delay_alu instid0(VALU_DEP_1) | instskip(NEXT) | instid1(VALU_DEP_2)
	v_lshlrev_b64 v[12:13], 4, v[2:3]
	v_lshlrev_b64 v[3:4], 4, v[4:5]
	v_add_nc_u32_e32 v2, s26, v2
	s_delay_alu instid0(VALU_DEP_3) | instskip(NEXT) | instid1(VALU_DEP_4)
	v_add_co_u32 v8, vcc_lo, s9, v12
	v_add_co_ci_u32_e32 v9, vcc_lo, s27, v13, vcc_lo
	v_add_co_u32 v14, vcc_lo, s29, v12
	v_add_co_ci_u32_e32 v15, vcc_lo, s30, v13, vcc_lo
	global_load_b128 v[8:11], v[8:9], off
	v_add_co_u32 v16, vcc_lo, s31, v12
	v_add_co_ci_u32_e32 v17, vcc_lo, s33, v13, vcc_lo
	global_load_b128 v[12:15], v[14:15], off
	v_add_co_u32 v3, vcc_lo, s9, v3
	v_add_co_ci_u32_e32 v4, vcc_lo, s27, v4, vcc_lo
	s_waitcnt vmcnt(1)
	v_cmp_gt_i32_e32 vcc_lo, 0, v8
	v_cndmask_b32_e64 v5, 0x7ff00000, 0, vcc_lo
	v_cmp_gt_i32_e32 vcc_lo, 0, v9
	s_delay_alu instid0(VALU_DEP_2) | instskip(SKIP_2) | instid1(VALU_DEP_3)
	v_xor_b32_e32 v5, v5, v8
	v_cndmask_b32_e64 v18, 0x7ff00000, 0, vcc_lo
	v_cmp_gt_i32_e32 vcc_lo, 0, v10
	v_lshrrev_b32_e32 v5, 18, v5
	s_delay_alu instid0(VALU_DEP_3) | instskip(SKIP_2) | instid1(VALU_DEP_4)
	v_xor_b32_e32 v8, v18, v9
	v_cndmask_b32_e64 v19, 0x7ff00000, 0, vcc_lo
	v_cmp_gt_i32_e32 vcc_lo, 0, v11
	v_and_b32_e32 v5, 0x3ffc, v5
	s_delay_alu instid0(VALU_DEP_4) | instskip(NEXT) | instid1(VALU_DEP_4)
	v_lshrrev_b32_e32 v8, 18, v8
	v_xor_b32_e32 v9, v19, v10
	v_cndmask_b32_e64 v20, 0x7ff00000, 0, vcc_lo
	s_waitcnt vmcnt(0)
	v_cmp_gt_i32_e32 vcc_lo, 0, v12
	v_and_b32_e32 v8, 0x3ffc, v8
	v_lshrrev_b32_e32 v9, 18, v9
	v_xor_b32_e32 v10, v20, v11
	s_delay_alu instid0(VALU_DEP_2) | instskip(NEXT) | instid1(VALU_DEP_2)
	v_and_b32_e32 v9, 0x3ffc, v9
	v_lshrrev_b32_e32 v10, 18, v10
	s_delay_alu instid0(VALU_DEP_1)
	v_and_b32_e32 v10, 0x3ffc, v10
	ds_add_u32 v5, v7 offset:17536
	ds_add_u32 v8, v7 offset:17536
	;; [unrolled: 1-line block ×4, first 2 shown]
	s_clause 0x1
	global_load_b128 v[8:11], v[16:17], off
	global_load_b128 v[16:19], v[3:4], off
	v_cndmask_b32_e64 v3, 0x7ff00000, 0, vcc_lo
	v_cmp_gt_i32_e32 vcc_lo, 0, v13
	s_delay_alu instid0(VALU_DEP_2) | instskip(SKIP_2) | instid1(VALU_DEP_3)
	v_xor_b32_e32 v3, v3, v12
	v_cndmask_b32_e64 v4, 0x7ff00000, 0, vcc_lo
	v_cmp_gt_i32_e32 vcc_lo, 0, v14
	v_lshrrev_b32_e32 v3, 18, v3
	s_delay_alu instid0(VALU_DEP_3) | instskip(SKIP_2) | instid1(VALU_DEP_4)
	v_xor_b32_e32 v4, v4, v13
	v_cndmask_b32_e64 v5, 0x7ff00000, 0, vcc_lo
	v_cmp_gt_i32_e32 vcc_lo, 0, v15
	v_and_b32_e32 v3, 0x3ffc, v3
	s_delay_alu instid0(VALU_DEP_4) | instskip(NEXT) | instid1(VALU_DEP_4)
	v_lshrrev_b32_e32 v4, 18, v4
	v_xor_b32_e32 v5, v5, v14
	v_cndmask_b32_e64 v20, 0x7ff00000, 0, vcc_lo
	s_delay_alu instid0(VALU_DEP_3) | instskip(NEXT) | instid1(VALU_DEP_3)
	v_and_b32_e32 v4, 0x3ffc, v4
	v_lshrrev_b32_e32 v5, 18, v5
	s_delay_alu instid0(VALU_DEP_3) | instskip(NEXT) | instid1(VALU_DEP_2)
	v_xor_b32_e32 v12, v20, v15
	v_and_b32_e32 v5, 0x3ffc, v5
	s_delay_alu instid0(VALU_DEP_2) | instskip(NEXT) | instid1(VALU_DEP_1)
	v_lshrrev_b32_e32 v12, 18, v12
	v_and_b32_e32 v12, 0x3ffc, v12
	ds_add_u32 v3, v7 offset:17536
	ds_add_u32 v4, v7 offset:17536
	;; [unrolled: 1-line block ×4, first 2 shown]
	s_waitcnt vmcnt(1)
	v_cmp_gt_i32_e32 vcc_lo, 0, v8
	v_cndmask_b32_e64 v3, 0x7ff00000, 0, vcc_lo
	v_cmp_gt_i32_e32 vcc_lo, 0, v9
	s_delay_alu instid0(VALU_DEP_2) | instskip(SKIP_2) | instid1(VALU_DEP_3)
	v_xor_b32_e32 v3, v3, v8
	v_cndmask_b32_e64 v4, 0x7ff00000, 0, vcc_lo
	v_cmp_gt_i32_e32 vcc_lo, 0, v10
	v_lshrrev_b32_e32 v3, 18, v3
	s_delay_alu instid0(VALU_DEP_3) | instskip(SKIP_2) | instid1(VALU_DEP_4)
	v_xor_b32_e32 v4, v4, v9
	v_cndmask_b32_e64 v5, 0x7ff00000, 0, vcc_lo
	v_cmp_gt_i32_e32 vcc_lo, 0, v11
	v_and_b32_e32 v3, 0x3ffc, v3
	s_delay_alu instid0(VALU_DEP_4) | instskip(NEXT) | instid1(VALU_DEP_4)
	v_lshrrev_b32_e32 v4, 18, v4
	v_xor_b32_e32 v5, v5, v10
	v_cndmask_b32_e64 v12, 0x7ff00000, 0, vcc_lo
	s_waitcnt vmcnt(0)
	v_cmp_gt_i32_e32 vcc_lo, 0, v16
	v_and_b32_e32 v4, 0x3ffc, v4
	v_lshrrev_b32_e32 v5, 18, v5
	v_xor_b32_e32 v8, v12, v11
	v_cndmask_b32_e64 v13, 0x7ff00000, 0, vcc_lo
	v_cmp_gt_i32_e32 vcc_lo, 0, v17
	s_delay_alu instid0(VALU_DEP_4) | instskip(NEXT) | instid1(VALU_DEP_4)
	v_and_b32_e32 v5, 0x3ffc, v5
	v_lshrrev_b32_e32 v8, 18, v8
	s_delay_alu instid0(VALU_DEP_4) | instskip(SKIP_2) | instid1(VALU_DEP_4)
	v_xor_b32_e32 v9, v13, v16
	v_cndmask_b32_e64 v14, 0x7ff00000, 0, vcc_lo
	v_cmp_gt_i32_e32 vcc_lo, 0, v18
	v_and_b32_e32 v8, 0x3ffc, v8
	s_delay_alu instid0(VALU_DEP_4) | instskip(NEXT) | instid1(VALU_DEP_4)
	v_lshrrev_b32_e32 v9, 18, v9
	v_xor_b32_e32 v10, v14, v17
	v_cndmask_b32_e64 v15, 0x7ff00000, 0, vcc_lo
	v_cmp_gt_i32_e32 vcc_lo, 0, v19
	s_delay_alu instid0(VALU_DEP_4) | instskip(NEXT) | instid1(VALU_DEP_4)
	v_and_b32_e32 v9, 0x3ffc, v9
	v_lshrrev_b32_e32 v10, 18, v10
	s_delay_alu instid0(VALU_DEP_4) | instskip(SKIP_1) | instid1(VALU_DEP_3)
	v_xor_b32_e32 v11, v15, v18
	v_cndmask_b32_e64 v20, 0x7ff00000, 0, vcc_lo
	v_and_b32_e32 v10, 0x3ffc, v10
	s_delay_alu instid0(VALU_DEP_3) | instskip(NEXT) | instid1(VALU_DEP_3)
	v_lshrrev_b32_e32 v11, 18, v11
	v_xor_b32_e32 v12, v20, v19
	s_delay_alu instid0(VALU_DEP_2) | instskip(NEXT) | instid1(VALU_DEP_2)
	v_and_b32_e32 v11, 0x3ffc, v11
	v_lshrrev_b32_e32 v12, 18, v12
	s_delay_alu instid0(VALU_DEP_1)
	v_and_b32_e32 v12, 0x3ffc, v12
	ds_add_u32 v3, v7 offset:17536
	ds_add_u32 v4, v7 offset:17536
	;; [unrolled: 1-line block ×8, first 2 shown]
	v_ashrrev_i32_e32 v3, 31, v2
	v_add_co_u32 v4, vcc_lo, s28, v2
	s_delay_alu instid0(VALU_DEP_2) | instskip(NEXT) | instid1(VALU_DEP_1)
	v_add_co_ci_u32_e32 v5, vcc_lo, 0, v3, vcc_lo
	v_cmp_le_u64_e32 vcc_lo, s[20:21], v[4:5]
	s_or_b32 s5, vcc_lo, s5
	s_delay_alu instid0(SALU_CYCLE_1)
	s_and_not1_b32 exec_lo, exec_lo, s5
	s_cbranch_execnz .LBB15_18
; %bb.19:
	s_or_b32 exec_lo, exec_lo, s5
.LBB15_20:
	s_delay_alu instid0(SALU_CYCLE_1) | instskip(NEXT) | instid1(SALU_CYCLE_1)
	s_or_b32 exec_lo, exec_lo, s4
	s_mov_b32 s4, exec_lo
	v_cmpx_gt_i32_e64 s20, v2
	s_cbranch_execz .LBB15_23
; %bb.21:
	v_mov_b32_e32 v4, 1
	s_mov_b32 s5, 0
.LBB15_22:                              ; =>This Inner Loop Header: Depth=1
	v_ashrrev_i32_e32 v3, 31, v2
	s_delay_alu instid0(VALU_DEP_1) | instskip(SKIP_1) | instid1(VALU_DEP_2)
	v_lshlrev_b64 v[7:8], 4, v[2:3]
	v_add_nc_u32_e32 v2, s25, v2
	v_add_co_u32 v7, vcc_lo, s9, v7
	s_delay_alu instid0(VALU_DEP_3)
	v_add_co_ci_u32_e32 v8, vcc_lo, s27, v8, vcc_lo
	global_load_b128 v[7:10], v[7:8], off
	s_waitcnt vmcnt(0)
	v_cmp_gt_i32_e32 vcc_lo, 0, v7
	v_cndmask_b32_e64 v3, 0x7ff00000, 0, vcc_lo
	v_cmp_gt_i32_e32 vcc_lo, 0, v8
	s_delay_alu instid0(VALU_DEP_2) | instskip(SKIP_2) | instid1(VALU_DEP_3)
	v_xor_b32_e32 v3, v3, v7
	v_cndmask_b32_e64 v5, 0x7ff00000, 0, vcc_lo
	v_cmp_gt_i32_e32 vcc_lo, 0, v9
	v_lshrrev_b32_e32 v3, 18, v3
	s_delay_alu instid0(VALU_DEP_3) | instskip(SKIP_2) | instid1(VALU_DEP_4)
	v_xor_b32_e32 v5, v5, v8
	v_cndmask_b32_e64 v11, 0x7ff00000, 0, vcc_lo
	v_cmp_gt_i32_e32 vcc_lo, 0, v10
	v_and_b32_e32 v3, 0x3ffc, v3
	s_delay_alu instid0(VALU_DEP_4) | instskip(NEXT) | instid1(VALU_DEP_4)
	v_lshrrev_b32_e32 v5, 18, v5
	v_xor_b32_e32 v7, v11, v9
	v_cndmask_b32_e64 v12, 0x7ff00000, 0, vcc_lo
	v_cmp_le_i32_e32 vcc_lo, s20, v2
	s_delay_alu instid0(VALU_DEP_4) | instskip(NEXT) | instid1(VALU_DEP_4)
	v_and_b32_e32 v5, 0x3ffc, v5
	v_lshrrev_b32_e32 v7, 18, v7
	s_delay_alu instid0(VALU_DEP_4) | instskip(SKIP_1) | instid1(VALU_DEP_2)
	v_xor_b32_e32 v8, v12, v10
	s_or_b32 s5, vcc_lo, s5
	v_and_b32_e32 v7, 0x3ffc, v7
	s_delay_alu instid0(VALU_DEP_2) | instskip(NEXT) | instid1(VALU_DEP_1)
	v_lshrrev_b32_e32 v8, 18, v8
	v_and_b32_e32 v8, 0x3ffc, v8
	ds_add_u32 v3, v4 offset:17536
	ds_add_u32 v5, v4 offset:17536
	;; [unrolled: 1-line block ×4, first 2 shown]
	s_and_not1_b32 exec_lo, exec_lo, s5
	s_cbranch_execnz .LBB15_22
.LBB15_23:
	s_or_b32 exec_lo, exec_lo, s4
	v_lshlrev_b32_e32 v2, 2, v0
	v_cmp_gt_u32_e64 s4, s6, v0
	s_delay_alu instid0(VALU_DEP_2) | instskip(NEXT) | instid1(VALU_DEP_1)
	v_add_co_u32 v24, s5, s24, v2
	v_add_co_ci_u32_e64 v25, null, s23, 0, s5
	s_delay_alu instid0(VALU_DEP_3)
	s_and_saveexec_b32 s5, s4
	s_cbranch_execz .LBB15_25
; %bb.24:
	global_load_b32 v2, v[24:25], off
	s_waitcnt vmcnt(0)
	v_cmp_gt_i32_e32 vcc_lo, 0, v2
	v_cndmask_b32_e64 v3, 0x7ff00000, 0, vcc_lo
	s_delay_alu instid0(VALU_DEP_1) | instskip(SKIP_1) | instid1(VALU_DEP_2)
	v_xor_b32_e32 v2, v3, v2
	v_mov_b32_e32 v3, 1
	v_lshrrev_b32_e32 v2, 18, v2
	s_delay_alu instid0(VALU_DEP_1)
	v_and_b32_e32 v2, 0x3ffc, v2
	ds_add_u32 v2, v3 offset:17536
.LBB15_25:
	s_or_b32 exec_lo, exec_lo, s5
	s_lshl_b32 s5, s20, 2
	s_delay_alu instid0(SALU_CYCLE_1) | instskip(NEXT) | instid1(VALU_DEP_1)
	v_add3_u32 v2, s5, s6, v0
	v_ashrrev_i32_e32 v3, 31, v2
	v_cmp_gt_i32_e64 s5, s22, v2
	s_delay_alu instid0(VALU_DEP_2) | instskip(NEXT) | instid1(VALU_DEP_1)
	v_lshlrev_b64 v[3:4], 2, v[2:3]
	v_add_co_u32 v26, vcc_lo, s24, v3
	s_delay_alu instid0(VALU_DEP_2) | instskip(NEXT) | instid1(VALU_DEP_4)
	v_add_co_ci_u32_e32 v27, vcc_lo, s23, v4, vcc_lo
	s_and_saveexec_b32 s6, s5
	s_cbranch_execz .LBB15_27
; %bb.26:
	global_load_b32 v2, v[26:27], off
	s_waitcnt vmcnt(0)
	v_cmp_gt_i32_e32 vcc_lo, 0, v2
	v_cndmask_b32_e64 v3, 0x7ff00000, 0, vcc_lo
	s_delay_alu instid0(VALU_DEP_1) | instskip(SKIP_1) | instid1(VALU_DEP_2)
	v_xor_b32_e32 v2, v3, v2
	v_mov_b32_e32 v3, 1
	v_lshrrev_b32_e32 v2, 18, v2
	s_delay_alu instid0(VALU_DEP_1)
	v_and_b32_e32 v2, 0x3ffc, v2
	ds_add_u32 v2, v3 offset:17536
.LBB15_27:
	s_or_b32 exec_lo, exec_lo, s6
	s_mov_b64 s[34:35], src_shared_base
	s_delay_alu instid0(SALU_CYCLE_1)
	v_dual_mov_b32 v17, s35 :: v_dual_add_nc_u32 v16, 0x5480, v6
	v_dual_mov_b32 v15, s35 :: v_dual_add_nc_u32 v14, 0x4480, v6
	;; [unrolled: 1-line block ×4, first 2 shown]
	s_waitcnt lgkmcnt(0)
	s_barrier
	buffer_gl0_inv
	flat_load_b32 v2, v[14:15] glc dlc
	s_waitcnt vmcnt(0)
	flat_load_b32 v3, v[16:17] glc dlc
	s_waitcnt vmcnt(0)
	flat_load_b32 v4, v[18:19] glc dlc
	s_waitcnt vmcnt(0)
	flat_load_b32 v5, v[20:21] glc dlc
	s_waitcnt vmcnt(0)
	v_or_b32_e32 v7, 0x400, v0
	v_or_b32_e32 v8, 0x800, v0
	;; [unrolled: 1-line block ×3, first 2 shown]
	v_lshrrev_b32_e32 v12, 3, v0
	v_mul_u32_u24_e32 v13, 33, v0
	v_lshrrev_b32_e32 v7, 3, v7
	v_lshrrev_b32_e32 v8, 3, v8
	;; [unrolled: 1-line block ×3, first 2 shown]
	v_and_b32_e32 v10, 0x7c, v12
	v_cmp_gt_u32_e64 s6, 32, v0
	v_and_b32_e32 v7, 0xfc, v7
	v_and_b32_e32 v8, 0x17c, v8
	;; [unrolled: 1-line block ×3, first 2 shown]
	v_add_nc_u32_e32 v10, v6, v10
	v_lshl_add_u32 v31, v13, 2, 0x280
	v_add_nc_u32_e32 v11, v7, v6
	v_add_nc_u32_e32 v7, v6, v8
	v_add_nc_u32_e32 v8, v9, v6
	v_add_lshl_u32 v9, v12, v6, 2
	s_waitcnt lgkmcnt(3)
	ds_store_b32 v10, v2 offset:640
	s_waitcnt lgkmcnt(3)
	ds_store_b32 v11, v3 offset:4736
	;; [unrolled: 2-line block ×4, first 2 shown]
	s_waitcnt lgkmcnt(0)
	s_barrier
	buffer_gl0_inv
	ds_load_2addr_b32 v[4:5], v9 offset0:160 offset1:161
	ds_load_2addr_b32 v[2:3], v9 offset0:162 offset1:163
	s_waitcnt lgkmcnt(0)
	s_barrier
	buffer_gl0_inv
	v_add_nc_u32_e32 v12, v5, v4
	s_delay_alu instid0(VALU_DEP_1)
	v_add3_u32 v12, v12, v2, v3
	ds_store_b32 v10, v12 offset:640
	s_waitcnt lgkmcnt(0)
	s_barrier
	buffer_gl0_inv
	s_and_saveexec_b32 s8, s6
	s_cbranch_execz .LBB15_29
; %bb.28:
	ds_load_2addr_b32 v[28:29], v31 offset1:1
	ds_load_2addr_b32 v[33:34], v31 offset0:2 offset1:3
	ds_load_2addr_b32 v[35:36], v31 offset0:4 offset1:5
	;; [unrolled: 1-line block ×7, first 2 shown]
	v_mbcnt_lo_u32_b32 v30, -1, 0
	ds_load_2addr_b32 v[47:48], v31 offset0:16 offset1:17
	ds_load_2addr_b32 v[49:50], v31 offset0:18 offset1:19
	;; [unrolled: 1-line block ×8, first 2 shown]
	v_bfe_i32 v65, v30, 4, 1
	s_waitcnt lgkmcnt(15)
	v_add_nc_u32_e32 v13, v29, v28
	s_waitcnt lgkmcnt(14)
	s_delay_alu instid0(VALU_DEP_1) | instskip(SKIP_1) | instid1(VALU_DEP_1)
	v_add3_u32 v13, v13, v33, v34
	s_waitcnt lgkmcnt(13)
	v_add3_u32 v13, v13, v35, v36
	s_waitcnt lgkmcnt(12)
	s_delay_alu instid0(VALU_DEP_1) | instskip(SKIP_1) | instid1(VALU_DEP_1)
	v_add3_u32 v13, v13, v37, v38
	s_waitcnt lgkmcnt(11)
	v_add3_u32 v13, v13, v39, v40
	;; [unrolled: 5-line block ×7, first 2 shown]
	s_waitcnt lgkmcnt(0)
	s_delay_alu instid0(VALU_DEP_1) | instskip(NEXT) | instid1(VALU_DEP_1)
	v_add3_u32 v13, v13, v61, v62
	v_mov_b32_dpp v64, v13 row_shr:1 row_mask:0xf bank_mask:0xf
	v_and_b32_e32 v63, 15, v30
	s_delay_alu instid0(VALU_DEP_1) | instskip(NEXT) | instid1(VALU_DEP_3)
	v_cmp_ne_u32_e32 vcc_lo, 0, v63
	v_cndmask_b32_e32 v64, 0, v64, vcc_lo
	v_cmp_lt_u32_e32 vcc_lo, 1, v63
	s_delay_alu instid0(VALU_DEP_2) | instskip(NEXT) | instid1(VALU_DEP_1)
	v_add_nc_u32_e32 v13, v64, v13
	v_mov_b32_dpp v64, v13 row_shr:2 row_mask:0xf bank_mask:0xf
	s_delay_alu instid0(VALU_DEP_1) | instskip(SKIP_1) | instid1(VALU_DEP_2)
	v_cndmask_b32_e32 v64, 0, v64, vcc_lo
	v_cmp_lt_u32_e32 vcc_lo, 3, v63
	v_add_nc_u32_e32 v13, v13, v64
	s_delay_alu instid0(VALU_DEP_1) | instskip(NEXT) | instid1(VALU_DEP_1)
	v_mov_b32_dpp v64, v13 row_shr:4 row_mask:0xf bank_mask:0xf
	v_cndmask_b32_e32 v64, 0, v64, vcc_lo
	v_cmp_lt_u32_e32 vcc_lo, 7, v63
	s_delay_alu instid0(VALU_DEP_2) | instskip(NEXT) | instid1(VALU_DEP_1)
	v_add_nc_u32_e32 v13, v13, v64
	v_mov_b32_dpp v64, v13 row_shr:8 row_mask:0xf bank_mask:0xf
	s_delay_alu instid0(VALU_DEP_1) | instskip(NEXT) | instid1(VALU_DEP_1)
	v_dual_cndmask_b32 v63, 0, v64 :: v_dual_add_nc_u32 v64, -1, v30
	v_add_nc_u32_e32 v13, v13, v63
	s_delay_alu instid0(VALU_DEP_2) | instskip(SKIP_2) | instid1(VALU_DEP_1)
	v_cmp_gt_i32_e32 vcc_lo, 0, v64
	ds_swizzle_b32 v63, v13 offset:swizzle(BROADCAST,32,15)
	v_cndmask_b32_e32 v30, v64, v30, vcc_lo
	v_lshlrev_b32_e32 v30, 2, v30
	s_waitcnt lgkmcnt(0)
	v_and_b32_e32 v63, v65, v63
	s_delay_alu instid0(VALU_DEP_1) | instskip(SKIP_3) | instid1(VALU_DEP_1)
	v_add_nc_u32_e32 v13, v13, v63
	ds_bpermute_b32 v13, v30, v13
	s_waitcnt lgkmcnt(0)
	v_add_nc_u32_e32 v13, v13, v28
	v_cndmask_b32_e64 v12, v13, v12, s2
	s_delay_alu instid0(VALU_DEP_1) | instskip(NEXT) | instid1(VALU_DEP_1)
	v_add_nc_u32_e32 v13, v12, v29
	v_add_nc_u32_e32 v28, v13, v33
	s_delay_alu instid0(VALU_DEP_1) | instskip(NEXT) | instid1(VALU_DEP_1)
	v_add_nc_u32_e32 v29, v28, v34
	v_add_nc_u32_e32 v30, v29, v35
	;; [unrolled: 3-line block ×3, first 2 shown]
	s_delay_alu instid0(VALU_DEP_1)
	v_add_nc_u32_e32 v35, v34, v38
	ds_store_2addr_b32 v31, v12, v13 offset1:1
	ds_store_2addr_b32 v31, v28, v29 offset0:2 offset1:3
	ds_store_2addr_b32 v31, v30, v33 offset0:4 offset1:5
	;; [unrolled: 1-line block ×3, first 2 shown]
	v_add_nc_u32_e32 v36, v35, v39
	s_delay_alu instid0(VALU_DEP_1) | instskip(NEXT) | instid1(VALU_DEP_1)
	v_add_nc_u32_e32 v37, v36, v40
	v_add_nc_u32_e32 v38, v37, v41
	s_delay_alu instid0(VALU_DEP_1) | instskip(NEXT) | instid1(VALU_DEP_1)
	v_add_nc_u32_e32 v39, v38, v42
	;; [unrolled: 3-line block ×3, first 2 shown]
	v_add_nc_u32_e32 v42, v41, v45
	s_delay_alu instid0(VALU_DEP_1)
	v_add_nc_u32_e32 v43, v42, v46
	ds_store_2addr_b32 v31, v36, v37 offset0:8 offset1:9
	ds_store_2addr_b32 v31, v38, v39 offset0:10 offset1:11
	;; [unrolled: 1-line block ×4, first 2 shown]
	v_add_nc_u32_e32 v44, v43, v47
	s_delay_alu instid0(VALU_DEP_1) | instskip(NEXT) | instid1(VALU_DEP_1)
	v_add_nc_u32_e32 v45, v44, v48
	v_add_nc_u32_e32 v46, v45, v49
	s_delay_alu instid0(VALU_DEP_1) | instskip(NEXT) | instid1(VALU_DEP_1)
	v_add_nc_u32_e32 v47, v46, v50
	;; [unrolled: 3-line block ×7, first 2 shown]
	v_add_nc_u32_e32 v12, v57, v61
	s_delay_alu instid0(VALU_DEP_1)
	v_add_nc_u32_e32 v13, v12, v62
	ds_store_2addr_b32 v31, v44, v45 offset0:16 offset1:17
	ds_store_2addr_b32 v31, v46, v47 offset0:18 offset1:19
	;; [unrolled: 1-line block ×8, first 2 shown]
.LBB15_29:
	s_or_b32 exec_lo, exec_lo, s8
	v_add_nc_u32_e32 v12, -1, v0
	v_dual_mov_b32 v7, 0 :: v_dual_add_nc_u32 v36, 0x280, v7
	v_add_nc_u32_e32 v34, 0x280, v10
	v_add_nc_u32_e32 v35, 0x280, v11
	s_delay_alu instid0(VALU_DEP_4) | instskip(SKIP_3) | instid1(VALU_DEP_3)
	v_lshrrev_b32_e32 v13, 5, v12
	v_dual_mov_b32 v8, 0 :: v_dual_add_nc_u32 v37, 0x280, v8
	v_add_nc_u32_e32 v38, 0x280, v9
	s_waitcnt lgkmcnt(0)
	v_add_nc_u32_e32 v10, v13, v12
	s_barrier
	buffer_gl0_inv
	v_lshl_add_u32 v39, v10, 2, 0x280
	s_and_saveexec_b32 s8, s3
	s_cbranch_execz .LBB15_31
; %bb.30:
	ds_load_b32 v8, v39
.LBB15_31:
	s_or_b32 exec_lo, exec_lo, s8
	s_waitcnt lgkmcnt(0)
	v_add_nc_u32_e32 v4, v8, v4
	v_add_nc_u32_e32 v33, 0x447c, v6
	s_barrier
	buffer_gl0_inv
	v_add_nc_u32_e32 v5, v4, v5
	s_lshl_b32 s35, s25, 20
	s_mov_b32 s34, 0
	s_delay_alu instid0(VALU_DEP_1) | instskip(NEXT) | instid1(VALU_DEP_1)
	v_add_nc_u32_e32 v2, v5, v2
	v_add_nc_u32_e32 v3, v2, v3
	ds_store_2addr_b32 v38, v4, v5 offset1:1
	ds_store_2addr_b32 v38, v2, v3 offset0:2 offset1:3
	s_waitcnt lgkmcnt(0)
	s_barrier
	buffer_gl0_inv
	ds_load_b32 v2, v34
	ds_load_b32 v3, v35 offset:4096
	ds_load_b32 v4, v36 offset:8192
	;; [unrolled: 1-line block ×3, first 2 shown]
	s_waitcnt lgkmcnt(3)
	flat_store_b32 v[14:15], v2 dlc
	s_waitcnt_vscnt null, 0x0
	s_waitcnt lgkmcnt(3)
	flat_store_b32 v[16:17], v3 dlc
	s_waitcnt_vscnt null, 0x0
	;; [unrolled: 3-line block ×4, first 2 shown]
	v_mov_b32_e32 v5, v0
	s_waitcnt lgkmcnt(0)
	s_barrier
	buffer_gl0_inv
	ds_load_b32 v2, v7 offset:12
	v_dual_mov_b32 v4, v33 :: v_dual_lshlrev_b32 v3, 20, v0
	s_set_inst_prefetch_distance 0x1
	s_branch .LBB15_33
	.p2align	6
.LBB15_32:                              ;   in Loop: Header=BB15_33 Depth=1
	s_or_b32 exec_lo, exec_lo, s8
	v_add_nc_u32_e32 v5, s25, v5
	v_add_nc_u32_e32 v4, s26, v4
	;; [unrolled: 1-line block ×3, first 2 shown]
	s_delay_alu instid0(VALU_DEP_3) | instskip(SKIP_1) | instid1(SALU_CYCLE_1)
	v_cmp_lt_u32_e32 vcc_lo, 0xfff, v5
	s_or_b32 s34, vcc_lo, s34
	s_and_not1_b32 exec_lo, exec_lo, s34
	s_cbranch_execz .LBB15_37
.LBB15_33:                              ; =>This Inner Loop Header: Depth=1
	v_mov_b32_e32 v6, 0
	s_mov_b32 s8, exec_lo
	v_cmpx_ne_u32_e32 0, v5
	s_cbranch_execz .LBB15_35
; %bb.34:                               ;   in Loop: Header=BB15_33 Depth=1
	ds_load_b32 v6, v4
.LBB15_35:                              ;   in Loop: Header=BB15_33 Depth=1
	s_or_b32 exec_lo, exec_lo, s8
	ds_load_b32 v8, v4 offset:4
	s_waitcnt lgkmcnt(1)
	v_cmp_gt_i32_e32 vcc_lo, s14, v6
	s_waitcnt lgkmcnt(0)
	v_cmp_le_i32_e64 s8, s14, v8
	s_delay_alu instid0(VALU_DEP_1) | instskip(NEXT) | instid1(SALU_CYCLE_1)
	s_and_b32 s36, vcc_lo, s8
	s_and_saveexec_b32 s8, s36
	s_cbranch_execz .LBB15_32
; %bb.36:                               ;   in Loop: Header=BB15_33 Depth=1
	v_sub_nc_u32_e32 v9, s14, v6
	v_sub_nc_u32_e32 v10, v8, v6
	v_or_b32_e32 v2, v2, v3
	ds_store_b64 v7, v[9:10]
	ds_store_b32 v7, v2 offset:12
	s_branch .LBB15_32
.LBB15_37:
	s_set_inst_prefetch_distance 0x2
	s_or_b32 exec_lo, exec_lo, s34
	s_and_saveexec_b32 s8, s2
	s_cbranch_execz .LBB15_39
; %bb.38:
	v_mov_b32_e32 v2, 0
	ds_load_b32 v3, v2 offset:4
	s_waitcnt lgkmcnt(0)
	ds_store_b32 v2, v3 offset:8
.LBB15_39:
	s_or_b32 exec_lo, exec_lo, s8
	v_mov_b32_e32 v2, 0
	s_waitcnt lgkmcnt(0)
	s_barrier
	buffer_gl0_inv
	s_mov_b32 s34, 0
	ds_load_b64 v[28:29], v2
	s_waitcnt lgkmcnt(0)
	v_cmp_eq_u32_e32 vcc_lo, v29, v28
	s_cbranch_vccnz .LBB15_181
; %bb.40:
	v_mov_b32_e32 v3, v32
	v_mov_b32_e32 v4, v0
	s_mov_b32 s8, 0
.LBB15_41:                              ; =>This Inner Loop Header: Depth=1
	s_delay_alu instid0(VALU_DEP_1) | instskip(SKIP_4) | instid1(SALU_CYCLE_1)
	v_add_nc_u32_e32 v4, s25, v4
	ds_store_b32 v3, v2
	v_add_nc_u32_e32 v3, s26, v3
	v_cmp_lt_u32_e32 vcc_lo, 0xfff, v4
	s_or_b32 s8, vcc_lo, s8
	s_and_not1_b32 exec_lo, exec_lo, s8
	s_cbranch_execnz .LBB15_41
; %bb.42:
	s_or_b32 exec_lo, exec_lo, s8
	s_and_saveexec_b32 s8, s2
	s_cbranch_execz .LBB15_44
; %bb.43:
	v_mov_b32_e32 v2, 0
	ds_store_b32 v2, v2 offset:128
.LBB15_44:
	s_or_b32 exec_lo, exec_lo, s8
	v_dual_mov_b32 v2, 0 :: v_dual_mov_b32 v29, v0
	s_waitcnt lgkmcnt(0)
	s_barrier
	buffer_gl0_inv
	ds_load_b32 v40, v2 offset:12
	s_and_saveexec_b32 s8, s7
	s_cbranch_execz .LBB15_81
; %bb.45:
	v_dual_mov_b32 v41, 1 :: v_dual_mov_b32 v10, v22
	v_dual_mov_b32 v11, v23 :: v_dual_mov_b32 v30, v1
	v_mov_b32_e32 v29, v0
	s_mov_b32 s34, 0
	s_branch .LBB15_47
.LBB15_46:                              ;   in Loop: Header=BB15_47 Depth=1
	s_or_b32 exec_lo, exec_lo, s35
	v_add_nc_u32_e32 v29, s26, v29
	s_delay_alu instid0(VALU_DEP_1) | instskip(SKIP_1) | instid1(VALU_DEP_2)
	v_ashrrev_i32_e32 v30, 31, v29
	v_add_co_u32 v10, vcc_lo, s28, v29
	v_add_co_ci_u32_e32 v11, vcc_lo, 0, v30, vcc_lo
	s_delay_alu instid0(VALU_DEP_1) | instskip(SKIP_1) | instid1(SALU_CYCLE_1)
	v_cmp_le_u64_e32 vcc_lo, s[20:21], v[10:11]
	s_or_b32 s34, vcc_lo, s34
	s_and_not1_b32 exec_lo, exec_lo, s34
	s_cbranch_execz .LBB15_80
.LBB15_47:                              ; =>This Inner Loop Header: Depth=1
	s_delay_alu instid0(VALU_DEP_1) | instskip(SKIP_1) | instid1(VALU_DEP_1)
	v_lshlrev_b64 v[12:13], 4, v[29:30]
	s_mov_b32 s35, exec_lo
	v_add_co_u32 v2, vcc_lo, s9, v12
	s_delay_alu instid0(VALU_DEP_2)
	v_add_co_ci_u32_e32 v3, vcc_lo, s27, v13, vcc_lo
	v_add_co_u32 v6, vcc_lo, s29, v12
	v_add_co_ci_u32_e32 v7, vcc_lo, s30, v13, vcc_lo
	s_clause 0x1
	global_load_b128 v[2:5], v[2:3], off
	global_load_b128 v[6:9], v[6:7], off
	s_waitcnt vmcnt(1)
	v_cmp_gt_i32_e32 vcc_lo, 0, v2
	v_cndmask_b32_e64 v30, 0x7fffffff, 0, vcc_lo
	s_delay_alu instid0(VALU_DEP_1) | instskip(NEXT) | instid1(VALU_DEP_1)
	v_xor_b32_e32 v2, v30, v2
	v_and_b32_e32 v30, 0xfff00000, v2
	s_waitcnt lgkmcnt(0)
	s_delay_alu instid0(VALU_DEP_1)
	v_cmpx_eq_u32_e64 v30, v40
	s_cbranch_execz .LBB15_49
; %bb.48:                               ;   in Loop: Header=BB15_47 Depth=1
	v_lshrrev_b32_e32 v2, 6, v2
	s_delay_alu instid0(VALU_DEP_1)
	v_and_b32_e32 v2, 0x3ffc, v2
	ds_add_u32 v2, v41 offset:17536
.LBB15_49:                              ;   in Loop: Header=BB15_47 Depth=1
	s_or_b32 exec_lo, exec_lo, s35
	v_cmp_gt_i32_e32 vcc_lo, 0, v3
	s_mov_b32 s35, exec_lo
	v_cndmask_b32_e64 v2, 0x7fffffff, 0, vcc_lo
	s_delay_alu instid0(VALU_DEP_1) | instskip(NEXT) | instid1(VALU_DEP_1)
	v_xor_b32_e32 v2, v2, v3
	v_and_b32_e32 v3, 0xfff00000, v2
	s_delay_alu instid0(VALU_DEP_1)
	v_cmpx_eq_u32_e64 v3, v40
	s_cbranch_execz .LBB15_51
; %bb.50:                               ;   in Loop: Header=BB15_47 Depth=1
	v_lshrrev_b32_e32 v2, 6, v2
	s_delay_alu instid0(VALU_DEP_1)
	v_and_b32_e32 v2, 0x3ffc, v2
	ds_add_u32 v2, v41 offset:17536
.LBB15_51:                              ;   in Loop: Header=BB15_47 Depth=1
	s_or_b32 exec_lo, exec_lo, s35
	v_cmp_gt_i32_e32 vcc_lo, 0, v4
	s_mov_b32 s35, exec_lo
	v_cndmask_b32_e64 v2, 0x7fffffff, 0, vcc_lo
	s_delay_alu instid0(VALU_DEP_1) | instskip(NEXT) | instid1(VALU_DEP_1)
	v_xor_b32_e32 v2, v2, v4
	v_and_b32_e32 v3, 0xfff00000, v2
	;; [unrolled: 16-line block ×3, first 2 shown]
	s_delay_alu instid0(VALU_DEP_1)
	v_cmpx_eq_u32_e64 v3, v40
	s_cbranch_execz .LBB15_55
; %bb.54:                               ;   in Loop: Header=BB15_47 Depth=1
	v_lshrrev_b32_e32 v2, 6, v2
	s_delay_alu instid0(VALU_DEP_1)
	v_and_b32_e32 v2, 0x3ffc, v2
	ds_add_u32 v2, v41 offset:17536
.LBB15_55:                              ;   in Loop: Header=BB15_47 Depth=1
	s_or_b32 exec_lo, exec_lo, s35
	v_lshlrev_b64 v[2:3], 4, v[10:11]
	v_add_co_u32 v4, vcc_lo, s31, v12
	v_add_co_ci_u32_e32 v5, vcc_lo, s33, v13, vcc_lo
	s_mov_b32 s35, exec_lo
	s_delay_alu instid0(VALU_DEP_3) | instskip(NEXT) | instid1(VALU_DEP_4)
	v_add_co_u32 v2, vcc_lo, s9, v2
	v_add_co_ci_u32_e32 v3, vcc_lo, s27, v3, vcc_lo
	s_waitcnt vmcnt(0)
	v_cmp_gt_i32_e32 vcc_lo, 0, v6
	s_clause 0x1
	global_load_b128 v[10:13], v[4:5], off
	global_load_b128 v[2:5], v[2:3], off
	v_cndmask_b32_e64 v30, 0x7fffffff, 0, vcc_lo
	s_delay_alu instid0(VALU_DEP_1) | instskip(NEXT) | instid1(VALU_DEP_1)
	v_xor_b32_e32 v6, v30, v6
	v_and_b32_e32 v30, 0xfff00000, v6
	s_delay_alu instid0(VALU_DEP_1)
	v_cmpx_eq_u32_e64 v30, v40
	s_cbranch_execz .LBB15_57
; %bb.56:                               ;   in Loop: Header=BB15_47 Depth=1
	v_lshrrev_b32_e32 v6, 6, v6
	s_delay_alu instid0(VALU_DEP_1)
	v_and_b32_e32 v6, 0x3ffc, v6
	ds_add_u32 v6, v41 offset:17536
.LBB15_57:                              ;   in Loop: Header=BB15_47 Depth=1
	s_or_b32 exec_lo, exec_lo, s35
	v_cmp_gt_i32_e32 vcc_lo, 0, v7
	s_mov_b32 s35, exec_lo
	v_cndmask_b32_e64 v6, 0x7fffffff, 0, vcc_lo
	s_delay_alu instid0(VALU_DEP_1) | instskip(NEXT) | instid1(VALU_DEP_1)
	v_xor_b32_e32 v6, v6, v7
	v_and_b32_e32 v7, 0xfff00000, v6
	s_delay_alu instid0(VALU_DEP_1)
	v_cmpx_eq_u32_e64 v7, v40
	s_cbranch_execz .LBB15_59
; %bb.58:                               ;   in Loop: Header=BB15_47 Depth=1
	v_lshrrev_b32_e32 v6, 6, v6
	s_delay_alu instid0(VALU_DEP_1)
	v_and_b32_e32 v6, 0x3ffc, v6
	ds_add_u32 v6, v41 offset:17536
.LBB15_59:                              ;   in Loop: Header=BB15_47 Depth=1
	s_or_b32 exec_lo, exec_lo, s35
	v_cmp_gt_i32_e32 vcc_lo, 0, v8
	s_mov_b32 s35, exec_lo
	;; [unrolled: 16-line block ×3, first 2 shown]
	v_cndmask_b32_e64 v6, 0x7fffffff, 0, vcc_lo
	s_delay_alu instid0(VALU_DEP_1) | instskip(NEXT) | instid1(VALU_DEP_1)
	v_xor_b32_e32 v6, v6, v9
	v_and_b32_e32 v7, 0xfff00000, v6
	s_delay_alu instid0(VALU_DEP_1)
	v_cmpx_eq_u32_e64 v7, v40
	s_cbranch_execz .LBB15_63
; %bb.62:                               ;   in Loop: Header=BB15_47 Depth=1
	v_lshrrev_b32_e32 v6, 6, v6
	s_delay_alu instid0(VALU_DEP_1)
	v_and_b32_e32 v6, 0x3ffc, v6
	ds_add_u32 v6, v41 offset:17536
.LBB15_63:                              ;   in Loop: Header=BB15_47 Depth=1
	s_or_b32 exec_lo, exec_lo, s35
	s_waitcnt vmcnt(1)
	v_cmp_gt_i32_e32 vcc_lo, 0, v10
	s_mov_b32 s35, exec_lo
	v_cndmask_b32_e64 v6, 0x7fffffff, 0, vcc_lo
	s_delay_alu instid0(VALU_DEP_1) | instskip(NEXT) | instid1(VALU_DEP_1)
	v_xor_b32_e32 v6, v6, v10
	v_and_b32_e32 v7, 0xfff00000, v6
	s_delay_alu instid0(VALU_DEP_1)
	v_cmpx_eq_u32_e64 v7, v40
	s_cbranch_execz .LBB15_65
; %bb.64:                               ;   in Loop: Header=BB15_47 Depth=1
	v_lshrrev_b32_e32 v6, 6, v6
	s_delay_alu instid0(VALU_DEP_1)
	v_and_b32_e32 v6, 0x3ffc, v6
	ds_add_u32 v6, v41 offset:17536
.LBB15_65:                              ;   in Loop: Header=BB15_47 Depth=1
	s_or_b32 exec_lo, exec_lo, s35
	v_cmp_gt_i32_e32 vcc_lo, 0, v11
	s_mov_b32 s35, exec_lo
	v_cndmask_b32_e64 v6, 0x7fffffff, 0, vcc_lo
	s_delay_alu instid0(VALU_DEP_1) | instskip(NEXT) | instid1(VALU_DEP_1)
	v_xor_b32_e32 v6, v6, v11
	v_and_b32_e32 v7, 0xfff00000, v6
	s_delay_alu instid0(VALU_DEP_1)
	v_cmpx_eq_u32_e64 v7, v40
	s_cbranch_execz .LBB15_67
; %bb.66:                               ;   in Loop: Header=BB15_47 Depth=1
	v_lshrrev_b32_e32 v6, 6, v6
	s_delay_alu instid0(VALU_DEP_1)
	v_and_b32_e32 v6, 0x3ffc, v6
	ds_add_u32 v6, v41 offset:17536
.LBB15_67:                              ;   in Loop: Header=BB15_47 Depth=1
	s_or_b32 exec_lo, exec_lo, s35
	;; [unrolled: 16-line block ×4, first 2 shown]
	s_waitcnt vmcnt(0)
	v_cmp_gt_i32_e32 vcc_lo, 0, v2
	s_mov_b32 s35, exec_lo
	v_cndmask_b32_e64 v6, 0x7fffffff, 0, vcc_lo
	s_delay_alu instid0(VALU_DEP_1) | instskip(NEXT) | instid1(VALU_DEP_1)
	v_xor_b32_e32 v2, v6, v2
	v_and_b32_e32 v6, 0xfff00000, v2
	s_delay_alu instid0(VALU_DEP_1)
	v_cmpx_eq_u32_e64 v6, v40
	s_cbranch_execz .LBB15_73
; %bb.72:                               ;   in Loop: Header=BB15_47 Depth=1
	v_lshrrev_b32_e32 v2, 6, v2
	s_delay_alu instid0(VALU_DEP_1)
	v_and_b32_e32 v2, 0x3ffc, v2
	ds_add_u32 v2, v41 offset:17536
.LBB15_73:                              ;   in Loop: Header=BB15_47 Depth=1
	s_or_b32 exec_lo, exec_lo, s35
	v_cmp_gt_i32_e32 vcc_lo, 0, v3
	s_mov_b32 s35, exec_lo
	v_cndmask_b32_e64 v2, 0x7fffffff, 0, vcc_lo
	s_delay_alu instid0(VALU_DEP_1) | instskip(NEXT) | instid1(VALU_DEP_1)
	v_xor_b32_e32 v2, v2, v3
	v_and_b32_e32 v3, 0xfff00000, v2
	s_delay_alu instid0(VALU_DEP_1)
	v_cmpx_eq_u32_e64 v3, v40
	s_cbranch_execz .LBB15_75
; %bb.74:                               ;   in Loop: Header=BB15_47 Depth=1
	v_lshrrev_b32_e32 v2, 6, v2
	s_delay_alu instid0(VALU_DEP_1)
	v_and_b32_e32 v2, 0x3ffc, v2
	ds_add_u32 v2, v41 offset:17536
.LBB15_75:                              ;   in Loop: Header=BB15_47 Depth=1
	s_or_b32 exec_lo, exec_lo, s35
	;; [unrolled: 16-line block ×3, first 2 shown]
	v_cmp_gt_i32_e32 vcc_lo, 0, v5
	s_mov_b32 s35, exec_lo
	v_cndmask_b32_e64 v2, 0x7fffffff, 0, vcc_lo
	s_delay_alu instid0(VALU_DEP_1) | instskip(NEXT) | instid1(VALU_DEP_1)
	v_xor_b32_e32 v2, v2, v5
	v_and_b32_e32 v3, 0xfff00000, v2
	s_delay_alu instid0(VALU_DEP_1)
	v_cmpx_eq_u32_e64 v3, v40
	s_cbranch_execz .LBB15_46
; %bb.78:                               ;   in Loop: Header=BB15_47 Depth=1
	v_lshrrev_b32_e32 v2, 6, v2
	s_delay_alu instid0(VALU_DEP_1)
	v_and_b32_e32 v2, 0x3ffc, v2
	ds_add_u32 v2, v41 offset:17536
	s_branch .LBB15_46
.LBB15_79:
                                        ; implicit-def: $sgpr4_sgpr5
	s_branch .LBB15_2
.LBB15_80:
	s_or_b32 exec_lo, exec_lo, s34
.LBB15_81:
	s_delay_alu instid0(SALU_CYCLE_1) | instskip(NEXT) | instid1(SALU_CYCLE_1)
	s_or_b32 exec_lo, exec_lo, s8
	s_mov_b32 s8, exec_lo
	v_cmpx_gt_i32_e64 s20, v29
	s_cbranch_execz .LBB15_92
; %bb.82:
	v_mov_b32_e32 v6, 1
	s_mov_b32 s34, 0
	s_branch .LBB15_84
.LBB15_83:                              ;   in Loop: Header=BB15_84 Depth=1
	s_or_b32 exec_lo, exec_lo, s35
	v_add_nc_u32_e32 v29, s25, v29
	s_delay_alu instid0(VALU_DEP_1) | instskip(SKIP_1) | instid1(SALU_CYCLE_1)
	v_cmp_le_i32_e32 vcc_lo, s20, v29
	s_or_b32 s34, vcc_lo, s34
	s_and_not1_b32 exec_lo, exec_lo, s34
	s_cbranch_execz .LBB15_92
.LBB15_84:                              ; =>This Inner Loop Header: Depth=1
	v_ashrrev_i32_e32 v30, 31, v29
	s_mov_b32 s35, exec_lo
	s_delay_alu instid0(VALU_DEP_1) | instskip(NEXT) | instid1(VALU_DEP_1)
	v_lshlrev_b64 v[2:3], 4, v[29:30]
	v_add_co_u32 v2, vcc_lo, s9, v2
	s_delay_alu instid0(VALU_DEP_2) | instskip(SKIP_4) | instid1(VALU_DEP_1)
	v_add_co_ci_u32_e32 v3, vcc_lo, s27, v3, vcc_lo
	global_load_b128 v[2:5], v[2:3], off
	s_waitcnt vmcnt(0)
	v_cmp_gt_i32_e32 vcc_lo, 0, v2
	v_cndmask_b32_e64 v7, 0x7fffffff, 0, vcc_lo
	v_xor_b32_e32 v2, v7, v2
	s_delay_alu instid0(VALU_DEP_1) | instskip(SKIP_1) | instid1(VALU_DEP_1)
	v_and_b32_e32 v7, 0xfff00000, v2
	s_waitcnt lgkmcnt(0)
	v_cmpx_eq_u32_e64 v7, v40
	s_cbranch_execz .LBB15_86
; %bb.85:                               ;   in Loop: Header=BB15_84 Depth=1
	v_lshrrev_b32_e32 v2, 6, v2
	s_delay_alu instid0(VALU_DEP_1)
	v_and_b32_e32 v2, 0x3ffc, v2
	ds_add_u32 v2, v6 offset:17536
.LBB15_86:                              ;   in Loop: Header=BB15_84 Depth=1
	s_or_b32 exec_lo, exec_lo, s35
	v_cmp_gt_i32_e32 vcc_lo, 0, v3
	s_mov_b32 s35, exec_lo
	v_cndmask_b32_e64 v2, 0x7fffffff, 0, vcc_lo
	s_delay_alu instid0(VALU_DEP_1) | instskip(NEXT) | instid1(VALU_DEP_1)
	v_xor_b32_e32 v2, v2, v3
	v_and_b32_e32 v3, 0xfff00000, v2
	s_delay_alu instid0(VALU_DEP_1)
	v_cmpx_eq_u32_e64 v3, v40
	s_cbranch_execz .LBB15_88
; %bb.87:                               ;   in Loop: Header=BB15_84 Depth=1
	v_lshrrev_b32_e32 v2, 6, v2
	s_delay_alu instid0(VALU_DEP_1)
	v_and_b32_e32 v2, 0x3ffc, v2
	ds_add_u32 v2, v6 offset:17536
.LBB15_88:                              ;   in Loop: Header=BB15_84 Depth=1
	s_or_b32 exec_lo, exec_lo, s35
	v_cmp_gt_i32_e32 vcc_lo, 0, v4
	s_mov_b32 s35, exec_lo
	v_cndmask_b32_e64 v2, 0x7fffffff, 0, vcc_lo
	s_delay_alu instid0(VALU_DEP_1) | instskip(NEXT) | instid1(VALU_DEP_1)
	v_xor_b32_e32 v2, v2, v4
	v_and_b32_e32 v3, 0xfff00000, v2
	s_delay_alu instid0(VALU_DEP_1)
	;; [unrolled: 16-line block ×3, first 2 shown]
	v_cmpx_eq_u32_e64 v3, v40
	s_cbranch_execz .LBB15_83
; %bb.91:                               ;   in Loop: Header=BB15_84 Depth=1
	v_lshrrev_b32_e32 v2, 6, v2
	s_delay_alu instid0(VALU_DEP_1)
	v_and_b32_e32 v2, 0x3ffc, v2
	ds_add_u32 v2, v6 offset:17536
	s_branch .LBB15_83
.LBB15_92:
	s_or_b32 exec_lo, exec_lo, s8
	s_and_saveexec_b32 s8, s4
	s_cbranch_execz .LBB15_95
; %bb.93:
	global_load_b32 v2, v[24:25], off
	s_waitcnt vmcnt(0)
	v_cmp_gt_i32_e32 vcc_lo, 0, v2
	v_cndmask_b32_e64 v3, 0x7fffffff, 0, vcc_lo
	s_delay_alu instid0(VALU_DEP_1) | instskip(NEXT) | instid1(VALU_DEP_1)
	v_xor_b32_e32 v2, v3, v2
	v_and_b32_e32 v3, 0xfff00000, v2
	s_waitcnt lgkmcnt(0)
	s_delay_alu instid0(VALU_DEP_1)
	v_cmp_eq_u32_e32 vcc_lo, v3, v40
	s_and_b32 exec_lo, exec_lo, vcc_lo
	s_cbranch_execz .LBB15_95
; %bb.94:
	v_lshrrev_b32_e32 v2, 6, v2
	s_delay_alu instid0(VALU_DEP_1)
	v_dual_mov_b32 v3, 1 :: v_dual_and_b32 v2, 0x3ffc, v2
	ds_add_u32 v2, v3 offset:17536
.LBB15_95:
	s_or_b32 exec_lo, exec_lo, s8
	s_and_saveexec_b32 s8, s5
	s_cbranch_execz .LBB15_98
; %bb.96:
	global_load_b32 v2, v[26:27], off
	s_waitcnt vmcnt(0)
	v_cmp_gt_i32_e32 vcc_lo, 0, v2
	v_cndmask_b32_e64 v3, 0x7fffffff, 0, vcc_lo
	s_delay_alu instid0(VALU_DEP_1) | instskip(NEXT) | instid1(VALU_DEP_1)
	v_xor_b32_e32 v2, v3, v2
	v_and_b32_e32 v3, 0xfff00000, v2
	s_waitcnt lgkmcnt(0)
	s_delay_alu instid0(VALU_DEP_1)
	v_cmp_eq_u32_e32 vcc_lo, v3, v40
	s_and_b32 exec_lo, exec_lo, vcc_lo
	s_cbranch_execz .LBB15_98
; %bb.97:
	v_lshrrev_b32_e32 v2, 6, v2
	s_delay_alu instid0(VALU_DEP_1)
	v_dual_mov_b32 v3, 1 :: v_dual_and_b32 v2, 0x3ffc, v2
	ds_add_u32 v2, v3 offset:17536
.LBB15_98:
	s_or_b32 exec_lo, exec_lo, s8
	s_waitcnt lgkmcnt(0)
	s_barrier
	buffer_gl0_inv
	flat_load_b32 v2, v[14:15] glc dlc
	s_waitcnt vmcnt(0)
	flat_load_b32 v3, v[16:17] glc dlc
	s_waitcnt vmcnt(0)
	;; [unrolled: 2-line block ×3, first 2 shown]
	flat_load_b32 v5, v[20:21] glc dlc
	s_waitcnt vmcnt(0) lgkmcnt(3)
	ds_store_b32 v34, v2
	s_waitcnt lgkmcnt(3)
	ds_store_b32 v35, v3 offset:4096
	s_waitcnt lgkmcnt(3)
	ds_store_b32 v36, v4 offset:8192
	;; [unrolled: 2-line block ×3, first 2 shown]
	s_waitcnt lgkmcnt(0)
	s_barrier
	buffer_gl0_inv
	ds_load_2addr_b32 v[4:5], v38 offset1:1
	ds_load_2addr_b32 v[2:3], v38 offset0:2 offset1:3
	s_waitcnt lgkmcnt(0)
	s_barrier
	buffer_gl0_inv
	v_add_nc_u32_e32 v6, v5, v4
	s_delay_alu instid0(VALU_DEP_1)
	v_add3_u32 v6, v6, v2, v3
	ds_store_b32 v34, v6
	s_waitcnt lgkmcnt(0)
	s_barrier
	buffer_gl0_inv
	s_and_saveexec_b32 s8, s6
	s_cbranch_execz .LBB15_100
; %bb.99:
	ds_load_2addr_b32 v[7:8], v31 offset1:1
	ds_load_2addr_b32 v[9:10], v31 offset0:2 offset1:3
	ds_load_2addr_b32 v[11:12], v31 offset0:4 offset1:5
	;; [unrolled: 1-line block ×3, first 2 shown]
	v_mbcnt_lo_u32_b32 v64, -1, 0
	ds_load_2addr_b32 v[40:41], v31 offset0:8 offset1:9
	ds_load_2addr_b32 v[42:43], v31 offset0:10 offset1:11
	;; [unrolled: 1-line block ×4, first 2 shown]
	v_and_b32_e32 v65, 15, v64
	ds_load_2addr_b32 v[48:49], v31 offset0:16 offset1:17
	ds_load_2addr_b32 v[50:51], v31 offset0:18 offset1:19
	ds_load_2addr_b32 v[52:53], v31 offset0:20 offset1:21
	ds_load_2addr_b32 v[54:55], v31 offset0:22 offset1:23
	v_cmp_ne_u32_e32 vcc_lo, 0, v65
	ds_load_2addr_b32 v[56:57], v31 offset0:24 offset1:25
	ds_load_2addr_b32 v[58:59], v31 offset0:26 offset1:27
	;; [unrolled: 1-line block ×4, first 2 shown]
	v_bfe_i32 v67, v64, 4, 1
	s_waitcnt lgkmcnt(15)
	v_add_nc_u32_e32 v13, v8, v7
	s_waitcnt lgkmcnt(14)
	s_delay_alu instid0(VALU_DEP_1) | instskip(SKIP_1) | instid1(VALU_DEP_1)
	v_add3_u32 v13, v13, v9, v10
	s_waitcnt lgkmcnt(13)
	v_add3_u32 v13, v13, v11, v12
	s_waitcnt lgkmcnt(12)
	s_delay_alu instid0(VALU_DEP_1) | instskip(SKIP_1) | instid1(VALU_DEP_1)
	v_add3_u32 v13, v13, v29, v30
	s_waitcnt lgkmcnt(11)
	v_add3_u32 v13, v13, v40, v41
	;; [unrolled: 5-line block ×7, first 2 shown]
	s_waitcnt lgkmcnt(0)
	s_delay_alu instid0(VALU_DEP_1) | instskip(NEXT) | instid1(VALU_DEP_1)
	v_add3_u32 v13, v13, v62, v63
	v_mov_b32_dpp v66, v13 row_shr:1 row_mask:0xf bank_mask:0xf
	s_delay_alu instid0(VALU_DEP_1) | instskip(SKIP_1) | instid1(VALU_DEP_2)
	v_cndmask_b32_e32 v66, 0, v66, vcc_lo
	v_cmp_lt_u32_e32 vcc_lo, 1, v65
	v_add_nc_u32_e32 v13, v66, v13
	s_delay_alu instid0(VALU_DEP_1) | instskip(NEXT) | instid1(VALU_DEP_1)
	v_mov_b32_dpp v66, v13 row_shr:2 row_mask:0xf bank_mask:0xf
	v_cndmask_b32_e32 v66, 0, v66, vcc_lo
	v_cmp_lt_u32_e32 vcc_lo, 3, v65
	s_delay_alu instid0(VALU_DEP_2) | instskip(NEXT) | instid1(VALU_DEP_1)
	v_add_nc_u32_e32 v13, v13, v66
	v_mov_b32_dpp v66, v13 row_shr:4 row_mask:0xf bank_mask:0xf
	s_delay_alu instid0(VALU_DEP_1) | instskip(SKIP_1) | instid1(VALU_DEP_2)
	v_cndmask_b32_e32 v66, 0, v66, vcc_lo
	v_cmp_lt_u32_e32 vcc_lo, 7, v65
	v_add_nc_u32_e32 v13, v13, v66
	s_delay_alu instid0(VALU_DEP_1) | instskip(NEXT) | instid1(VALU_DEP_1)
	v_mov_b32_dpp v66, v13 row_shr:8 row_mask:0xf bank_mask:0xf
	v_dual_cndmask_b32 v65, 0, v66 :: v_dual_add_nc_u32 v66, -1, v64
	s_delay_alu instid0(VALU_DEP_1) | instskip(NEXT) | instid1(VALU_DEP_2)
	v_add_nc_u32_e32 v13, v13, v65
	v_cmp_gt_i32_e32 vcc_lo, 0, v66
	ds_swizzle_b32 v65, v13 offset:swizzle(BROADCAST,32,15)
	v_cndmask_b32_e32 v64, v66, v64, vcc_lo
	s_delay_alu instid0(VALU_DEP_1) | instskip(SKIP_2) | instid1(VALU_DEP_1)
	v_lshlrev_b32_e32 v64, 2, v64
	s_waitcnt lgkmcnt(0)
	v_and_b32_e32 v65, v67, v65
	v_add_nc_u32_e32 v13, v13, v65
	ds_bpermute_b32 v13, v64, v13
	s_waitcnt lgkmcnt(0)
	v_add_nc_u32_e32 v7, v13, v7
	s_delay_alu instid0(VALU_DEP_1) | instskip(NEXT) | instid1(VALU_DEP_1)
	v_cndmask_b32_e64 v6, v7, v6, s2
	v_add_nc_u32_e32 v7, v6, v8
	s_delay_alu instid0(VALU_DEP_1) | instskip(NEXT) | instid1(VALU_DEP_1)
	v_add_nc_u32_e32 v8, v7, v9
	v_add_nc_u32_e32 v9, v8, v10
	s_delay_alu instid0(VALU_DEP_1) | instskip(NEXT) | instid1(VALU_DEP_1)
	v_add_nc_u32_e32 v10, v9, v11
	;; [unrolled: 3-line block ×3, first 2 shown]
	v_add_nc_u32_e32 v13, v12, v30
	ds_store_2addr_b32 v31, v6, v7 offset1:1
	ds_store_2addr_b32 v31, v8, v9 offset0:2 offset1:3
	ds_store_2addr_b32 v31, v10, v11 offset0:4 offset1:5
	;; [unrolled: 1-line block ×3, first 2 shown]
	v_add_nc_u32_e32 v29, v13, v40
	s_delay_alu instid0(VALU_DEP_1) | instskip(NEXT) | instid1(VALU_DEP_1)
	v_add_nc_u32_e32 v30, v29, v41
	v_add_nc_u32_e32 v40, v30, v42
	s_delay_alu instid0(VALU_DEP_1) | instskip(NEXT) | instid1(VALU_DEP_1)
	v_add_nc_u32_e32 v41, v40, v43
	;; [unrolled: 3-line block ×3, first 2 shown]
	v_add_nc_u32_e32 v44, v43, v46
	s_delay_alu instid0(VALU_DEP_1)
	v_add_nc_u32_e32 v45, v44, v47
	ds_store_2addr_b32 v31, v29, v30 offset0:8 offset1:9
	ds_store_2addr_b32 v31, v40, v41 offset0:10 offset1:11
	;; [unrolled: 1-line block ×4, first 2 shown]
	v_add_nc_u32_e32 v46, v45, v48
	s_delay_alu instid0(VALU_DEP_1) | instskip(NEXT) | instid1(VALU_DEP_1)
	v_add_nc_u32_e32 v47, v46, v49
	v_add_nc_u32_e32 v48, v47, v50
	s_delay_alu instid0(VALU_DEP_1) | instskip(NEXT) | instid1(VALU_DEP_1)
	v_add_nc_u32_e32 v49, v48, v51
	;; [unrolled: 3-line block ×7, first 2 shown]
	v_add_nc_u32_e32 v6, v59, v62
	s_delay_alu instid0(VALU_DEP_1)
	v_add_nc_u32_e32 v7, v6, v63
	ds_store_2addr_b32 v31, v46, v47 offset0:16 offset1:17
	ds_store_2addr_b32 v31, v48, v49 offset0:18 offset1:19
	ds_store_2addr_b32 v31, v50, v51 offset0:20 offset1:21
	ds_store_2addr_b32 v31, v52, v53 offset0:22 offset1:23
	ds_store_2addr_b32 v31, v54, v55 offset0:24 offset1:25
	ds_store_2addr_b32 v31, v56, v57 offset0:26 offset1:27
	ds_store_2addr_b32 v31, v58, v59 offset0:28 offset1:29
	ds_store_2addr_b32 v31, v6, v7 offset0:30 offset1:31
.LBB15_100:
	s_or_b32 exec_lo, exec_lo, s8
	v_dual_mov_b32 v6, 0 :: v_dual_mov_b32 v7, 0
	s_waitcnt lgkmcnt(0)
	s_barrier
	buffer_gl0_inv
	s_and_saveexec_b32 s8, s3
	s_cbranch_execz .LBB15_102
; %bb.101:
	ds_load_b32 v7, v39
.LBB15_102:
	s_or_b32 exec_lo, exec_lo, s8
	s_waitcnt lgkmcnt(0)
	v_add_nc_u32_e32 v4, v7, v4
	s_barrier
	buffer_gl0_inv
	s_lshl_b32 s35, s25, 8
	v_add_nc_u32_e32 v5, v4, v5
	s_mov_b32 s34, 0
	s_delay_alu instid0(VALU_DEP_1) | instskip(NEXT) | instid1(VALU_DEP_1)
	v_add_nc_u32_e32 v2, v5, v2
	v_add_nc_u32_e32 v3, v2, v3
	ds_store_2addr_b32 v38, v4, v5 offset1:1
	ds_store_2addr_b32 v38, v2, v3 offset0:2 offset1:3
	s_waitcnt lgkmcnt(0)
	s_barrier
	buffer_gl0_inv
	ds_load_b32 v2, v34
	ds_load_b32 v3, v35 offset:4096
	ds_load_b32 v4, v36 offset:8192
	;; [unrolled: 1-line block ×3, first 2 shown]
	s_waitcnt lgkmcnt(3)
	flat_store_b32 v[14:15], v2 dlc
	s_waitcnt_vscnt null, 0x0
	s_waitcnt lgkmcnt(3)
	flat_store_b32 v[16:17], v3 dlc
	s_waitcnt_vscnt null, 0x0
	;; [unrolled: 3-line block ×4, first 2 shown]
	v_mov_b32_e32 v4, v33
	s_waitcnt lgkmcnt(0)
	s_barrier
	buffer_gl0_inv
	ds_load_b32 v2, v6 offset:12
	v_lshlrev_b32_e32 v3, 8, v0
	v_mov_b32_e32 v5, v0
	s_set_inst_prefetch_distance 0x1
	s_branch .LBB15_104
	.p2align	6
.LBB15_103:                             ;   in Loop: Header=BB15_104 Depth=1
	s_or_b32 exec_lo, exec_lo, s8
	v_add_nc_u32_e32 v5, s25, v5
	v_add_nc_u32_e32 v3, s35, v3
	v_add_nc_u32_e32 v4, s26, v4
	s_delay_alu instid0(VALU_DEP_3) | instskip(SKIP_1) | instid1(SALU_CYCLE_1)
	v_cmp_lt_u32_e32 vcc_lo, 0xfff, v5
	s_or_b32 s34, vcc_lo, s34
	s_and_not1_b32 exec_lo, exec_lo, s34
	s_cbranch_execz .LBB15_108
.LBB15_104:                             ; =>This Inner Loop Header: Depth=1
	v_mov_b32_e32 v7, 0
	s_mov_b32 s8, exec_lo
	v_cmpx_ne_u32_e32 0, v5
	s_cbranch_execz .LBB15_106
; %bb.105:                              ;   in Loop: Header=BB15_104 Depth=1
	ds_load_b32 v7, v4
.LBB15_106:                             ;   in Loop: Header=BB15_104 Depth=1
	s_or_b32 exec_lo, exec_lo, s8
	ds_load_b32 v8, v4 offset:4
	s_waitcnt lgkmcnt(1)
	v_cmp_gt_i32_e32 vcc_lo, v28, v7
	s_waitcnt lgkmcnt(0)
	v_cmp_ge_i32_e64 s8, v8, v28
	s_delay_alu instid0(VALU_DEP_1) | instskip(NEXT) | instid1(SALU_CYCLE_1)
	s_and_b32 s36, vcc_lo, s8
	s_and_saveexec_b32 s8, s36
	s_cbranch_execz .LBB15_103
; %bb.107:                              ;   in Loop: Header=BB15_104 Depth=1
	v_sub_nc_u32_e32 v9, v28, v7
	v_sub_nc_u32_e32 v10, v8, v7
	v_or_b32_e32 v2, v2, v3
	ds_store_b64 v6, v[9:10]
	ds_store_b32 v6, v2 offset:12
	s_branch .LBB15_103
.LBB15_108:
	s_set_inst_prefetch_distance 0x2
	s_or_b32 exec_lo, exec_lo, s34
	s_and_saveexec_b32 s8, s2
	s_cbranch_execz .LBB15_110
; %bb.109:
	v_mov_b32_e32 v2, 0
	ds_load_b32 v3, v2 offset:4
	s_waitcnt lgkmcnt(0)
	ds_store_b32 v2, v3 offset:8
.LBB15_110:
	s_or_b32 exec_lo, exec_lo, s8
	v_mov_b32_e32 v2, 0
	s_waitcnt lgkmcnt(0)
	s_barrier
	buffer_gl0_inv
	s_mov_b32 s34, 1
	ds_load_b64 v[28:29], v2
	s_waitcnt lgkmcnt(0)
	v_cmp_eq_u32_e32 vcc_lo, v29, v28
	s_cbranch_vccnz .LBB15_181
; %bb.111:
	v_mov_b32_e32 v3, v0
	s_mov_b32 s8, 0
.LBB15_112:                             ; =>This Inner Loop Header: Depth=1
	s_delay_alu instid0(VALU_DEP_1) | instskip(SKIP_4) | instid1(SALU_CYCLE_1)
	v_add_nc_u32_e32 v3, s25, v3
	ds_store_b32 v32, v2
	v_add_nc_u32_e32 v32, s26, v32
	v_cmp_lt_u32_e32 vcc_lo, 0xfff, v3
	s_or_b32 s8, vcc_lo, s8
	s_and_not1_b32 exec_lo, exec_lo, s8
	s_cbranch_execnz .LBB15_112
; %bb.113:
	s_or_b32 exec_lo, exec_lo, s8
	s_and_saveexec_b32 s8, s2
	s_cbranch_execz .LBB15_115
; %bb.114:
	v_mov_b32_e32 v2, 0
	ds_store_b32 v2, v2 offset:128
.LBB15_115:
	s_or_b32 exec_lo, exec_lo, s8
	v_dual_mov_b32 v2, 0 :: v_dual_mov_b32 v29, v0
	s_waitcnt lgkmcnt(0)
	s_barrier
	buffer_gl0_inv
	ds_load_b32 v13, v2 offset:12
	s_and_saveexec_b32 s8, s7
	s_cbranch_execz .LBB15_151
; %bb.116:
	v_mov_b32_e32 v30, v1
	v_dual_mov_b32 v32, 1 :: v_dual_mov_b32 v29, v0
	s_mov_b32 s7, 0
	s_branch .LBB15_118
.LBB15_117:                             ;   in Loop: Header=BB15_118 Depth=1
	s_or_b32 exec_lo, exec_lo, s34
	v_add_nc_u32_e32 v29, s26, v29
	s_delay_alu instid0(VALU_DEP_1) | instskip(SKIP_1) | instid1(VALU_DEP_2)
	v_ashrrev_i32_e32 v30, 31, v29
	v_add_co_u32 v22, vcc_lo, s28, v29
	v_add_co_ci_u32_e32 v23, vcc_lo, 0, v30, vcc_lo
	s_delay_alu instid0(VALU_DEP_1) | instskip(SKIP_1) | instid1(SALU_CYCLE_1)
	v_cmp_le_u64_e32 vcc_lo, s[20:21], v[22:23]
	s_or_b32 s7, vcc_lo, s7
	s_and_not1_b32 exec_lo, exec_lo, s7
	s_cbranch_execz .LBB15_150
.LBB15_118:                             ; =>This Inner Loop Header: Depth=1
	s_delay_alu instid0(VALU_DEP_1) | instskip(SKIP_1) | instid1(VALU_DEP_1)
	v_lshlrev_b64 v[9:10], 4, v[29:30]
	s_mov_b32 s34, exec_lo
	v_add_co_u32 v1, vcc_lo, s9, v9
	s_delay_alu instid0(VALU_DEP_2)
	v_add_co_ci_u32_e32 v2, vcc_lo, s27, v10, vcc_lo
	v_add_co_u32 v5, vcc_lo, s29, v9
	v_add_co_ci_u32_e32 v6, vcc_lo, s30, v10, vcc_lo
	s_clause 0x1
	global_load_b128 v[1:4], v[1:2], off
	global_load_b128 v[5:8], v[5:6], off
	s_waitcnt vmcnt(1)
	v_cmp_gt_i32_e32 vcc_lo, 0, v1
	v_cndmask_b32_e64 v11, 0x7fffffff, 0, vcc_lo
	s_delay_alu instid0(VALU_DEP_1) | instskip(NEXT) | instid1(VALU_DEP_1)
	v_xor_b32_e32 v1, v11, v1
	v_and_b32_e32 v11, 0xffffff00, v1
	s_waitcnt lgkmcnt(0)
	s_delay_alu instid0(VALU_DEP_1)
	v_cmpx_eq_u32_e64 v11, v13
	s_cbranch_execz .LBB15_120
; %bb.119:                              ;   in Loop: Header=BB15_118 Depth=1
	v_and_b32_e32 v1, 0xfff, v1
	s_delay_alu instid0(VALU_DEP_1)
	v_lshlrev_b32_e32 v1, 2, v1
	ds_add_u32 v1, v32 offset:17536
.LBB15_120:                             ;   in Loop: Header=BB15_118 Depth=1
	s_or_b32 exec_lo, exec_lo, s34
	v_cmp_gt_i32_e32 vcc_lo, 0, v2
	s_mov_b32 s34, exec_lo
	v_cndmask_b32_e64 v1, 0x7fffffff, 0, vcc_lo
	s_delay_alu instid0(VALU_DEP_1) | instskip(NEXT) | instid1(VALU_DEP_1)
	v_xor_b32_e32 v1, v1, v2
	v_and_b32_e32 v2, 0xffffff00, v1
	s_delay_alu instid0(VALU_DEP_1)
	v_cmpx_eq_u32_e64 v2, v13
	s_cbranch_execz .LBB15_122
; %bb.121:                              ;   in Loop: Header=BB15_118 Depth=1
	v_and_b32_e32 v1, 0xfff, v1
	s_delay_alu instid0(VALU_DEP_1)
	v_lshlrev_b32_e32 v1, 2, v1
	ds_add_u32 v1, v32 offset:17536
.LBB15_122:                             ;   in Loop: Header=BB15_118 Depth=1
	s_or_b32 exec_lo, exec_lo, s34
	v_cmp_gt_i32_e32 vcc_lo, 0, v3
	s_mov_b32 s34, exec_lo
	v_cndmask_b32_e64 v1, 0x7fffffff, 0, vcc_lo
	s_delay_alu instid0(VALU_DEP_1) | instskip(NEXT) | instid1(VALU_DEP_1)
	v_xor_b32_e32 v1, v1, v3
	v_and_b32_e32 v2, 0xffffff00, v1
	s_delay_alu instid0(VALU_DEP_1)
	v_cmpx_eq_u32_e64 v2, v13
	s_cbranch_execz .LBB15_124
; %bb.123:                              ;   in Loop: Header=BB15_118 Depth=1
	v_and_b32_e32 v1, 0xfff, v1
	s_delay_alu instid0(VALU_DEP_1)
	v_lshlrev_b32_e32 v1, 2, v1
	ds_add_u32 v1, v32 offset:17536
.LBB15_124:                             ;   in Loop: Header=BB15_118 Depth=1
	s_or_b32 exec_lo, exec_lo, s34
	v_cmp_gt_i32_e32 vcc_lo, 0, v4
	s_mov_b32 s34, exec_lo
	v_cndmask_b32_e64 v1, 0x7fffffff, 0, vcc_lo
	s_delay_alu instid0(VALU_DEP_1) | instskip(NEXT) | instid1(VALU_DEP_1)
	v_xor_b32_e32 v1, v1, v4
	v_and_b32_e32 v2, 0xffffff00, v1
	s_delay_alu instid0(VALU_DEP_1)
	v_cmpx_eq_u32_e64 v2, v13
	s_cbranch_execz .LBB15_126
; %bb.125:                              ;   in Loop: Header=BB15_118 Depth=1
	v_and_b32_e32 v1, 0xfff, v1
	s_delay_alu instid0(VALU_DEP_1)
	v_lshlrev_b32_e32 v1, 2, v1
	ds_add_u32 v1, v32 offset:17536
.LBB15_126:                             ;   in Loop: Header=BB15_118 Depth=1
	s_or_b32 exec_lo, exec_lo, s34
	v_lshlrev_b64 v[1:2], 4, v[22:23]
	v_add_co_u32 v3, vcc_lo, s31, v9
	v_add_co_ci_u32_e32 v4, vcc_lo, s33, v10, vcc_lo
	s_mov_b32 s34, exec_lo
	s_delay_alu instid0(VALU_DEP_3) | instskip(NEXT) | instid1(VALU_DEP_4)
	v_add_co_u32 v1, vcc_lo, s9, v1
	v_add_co_ci_u32_e32 v2, vcc_lo, s27, v2, vcc_lo
	s_waitcnt vmcnt(0)
	v_cmp_gt_i32_e32 vcc_lo, 0, v5
	s_clause 0x1
	global_load_b128 v[9:12], v[3:4], off
	global_load_b128 v[1:4], v[1:2], off
	v_cndmask_b32_e64 v22, 0x7fffffff, 0, vcc_lo
	s_delay_alu instid0(VALU_DEP_1) | instskip(NEXT) | instid1(VALU_DEP_1)
	v_xor_b32_e32 v5, v22, v5
	v_and_b32_e32 v22, 0xffffff00, v5
	s_delay_alu instid0(VALU_DEP_1)
	v_cmpx_eq_u32_e64 v22, v13
	s_cbranch_execz .LBB15_128
; %bb.127:                              ;   in Loop: Header=BB15_118 Depth=1
	v_and_b32_e32 v5, 0xfff, v5
	s_delay_alu instid0(VALU_DEP_1)
	v_lshlrev_b32_e32 v5, 2, v5
	ds_add_u32 v5, v32 offset:17536
.LBB15_128:                             ;   in Loop: Header=BB15_118 Depth=1
	s_or_b32 exec_lo, exec_lo, s34
	v_cmp_gt_i32_e32 vcc_lo, 0, v6
	s_mov_b32 s34, exec_lo
	v_cndmask_b32_e64 v5, 0x7fffffff, 0, vcc_lo
	s_delay_alu instid0(VALU_DEP_1) | instskip(NEXT) | instid1(VALU_DEP_1)
	v_xor_b32_e32 v5, v5, v6
	v_and_b32_e32 v6, 0xffffff00, v5
	s_delay_alu instid0(VALU_DEP_1)
	v_cmpx_eq_u32_e64 v6, v13
	s_cbranch_execz .LBB15_130
; %bb.129:                              ;   in Loop: Header=BB15_118 Depth=1
	v_and_b32_e32 v5, 0xfff, v5
	s_delay_alu instid0(VALU_DEP_1)
	v_lshlrev_b32_e32 v5, 2, v5
	ds_add_u32 v5, v32 offset:17536
.LBB15_130:                             ;   in Loop: Header=BB15_118 Depth=1
	s_or_b32 exec_lo, exec_lo, s34
	v_cmp_gt_i32_e32 vcc_lo, 0, v7
	s_mov_b32 s34, exec_lo
	;; [unrolled: 16-line block ×3, first 2 shown]
	v_cndmask_b32_e64 v5, 0x7fffffff, 0, vcc_lo
	s_delay_alu instid0(VALU_DEP_1) | instskip(NEXT) | instid1(VALU_DEP_1)
	v_xor_b32_e32 v5, v5, v8
	v_and_b32_e32 v6, 0xffffff00, v5
	s_delay_alu instid0(VALU_DEP_1)
	v_cmpx_eq_u32_e64 v6, v13
	s_cbranch_execz .LBB15_134
; %bb.133:                              ;   in Loop: Header=BB15_118 Depth=1
	v_and_b32_e32 v5, 0xfff, v5
	s_delay_alu instid0(VALU_DEP_1)
	v_lshlrev_b32_e32 v5, 2, v5
	ds_add_u32 v5, v32 offset:17536
.LBB15_134:                             ;   in Loop: Header=BB15_118 Depth=1
	s_or_b32 exec_lo, exec_lo, s34
	s_waitcnt vmcnt(1)
	v_cmp_gt_i32_e32 vcc_lo, 0, v9
	s_mov_b32 s34, exec_lo
	v_cndmask_b32_e64 v5, 0x7fffffff, 0, vcc_lo
	s_delay_alu instid0(VALU_DEP_1) | instskip(NEXT) | instid1(VALU_DEP_1)
	v_xor_b32_e32 v5, v5, v9
	v_and_b32_e32 v6, 0xffffff00, v5
	s_delay_alu instid0(VALU_DEP_1)
	v_cmpx_eq_u32_e64 v6, v13
	s_cbranch_execz .LBB15_136
; %bb.135:                              ;   in Loop: Header=BB15_118 Depth=1
	v_and_b32_e32 v5, 0xfff, v5
	s_delay_alu instid0(VALU_DEP_1)
	v_lshlrev_b32_e32 v5, 2, v5
	ds_add_u32 v5, v32 offset:17536
.LBB15_136:                             ;   in Loop: Header=BB15_118 Depth=1
	s_or_b32 exec_lo, exec_lo, s34
	v_cmp_gt_i32_e32 vcc_lo, 0, v10
	s_mov_b32 s34, exec_lo
	v_cndmask_b32_e64 v5, 0x7fffffff, 0, vcc_lo
	s_delay_alu instid0(VALU_DEP_1) | instskip(NEXT) | instid1(VALU_DEP_1)
	v_xor_b32_e32 v5, v5, v10
	v_and_b32_e32 v6, 0xffffff00, v5
	s_delay_alu instid0(VALU_DEP_1)
	v_cmpx_eq_u32_e64 v6, v13
	s_cbranch_execz .LBB15_138
; %bb.137:                              ;   in Loop: Header=BB15_118 Depth=1
	v_and_b32_e32 v5, 0xfff, v5
	s_delay_alu instid0(VALU_DEP_1)
	v_lshlrev_b32_e32 v5, 2, v5
	ds_add_u32 v5, v32 offset:17536
.LBB15_138:                             ;   in Loop: Header=BB15_118 Depth=1
	s_or_b32 exec_lo, exec_lo, s34
	;; [unrolled: 16-line block ×4, first 2 shown]
	s_waitcnt vmcnt(0)
	v_cmp_gt_i32_e32 vcc_lo, 0, v1
	s_mov_b32 s34, exec_lo
	v_cndmask_b32_e64 v5, 0x7fffffff, 0, vcc_lo
	s_delay_alu instid0(VALU_DEP_1) | instskip(NEXT) | instid1(VALU_DEP_1)
	v_xor_b32_e32 v1, v5, v1
	v_and_b32_e32 v5, 0xffffff00, v1
	s_delay_alu instid0(VALU_DEP_1)
	v_cmpx_eq_u32_e64 v5, v13
	s_cbranch_execz .LBB15_144
; %bb.143:                              ;   in Loop: Header=BB15_118 Depth=1
	v_and_b32_e32 v1, 0xfff, v1
	s_delay_alu instid0(VALU_DEP_1)
	v_lshlrev_b32_e32 v1, 2, v1
	ds_add_u32 v1, v32 offset:17536
.LBB15_144:                             ;   in Loop: Header=BB15_118 Depth=1
	s_or_b32 exec_lo, exec_lo, s34
	v_cmp_gt_i32_e32 vcc_lo, 0, v2
	s_mov_b32 s34, exec_lo
	v_cndmask_b32_e64 v1, 0x7fffffff, 0, vcc_lo
	s_delay_alu instid0(VALU_DEP_1) | instskip(NEXT) | instid1(VALU_DEP_1)
	v_xor_b32_e32 v1, v1, v2
	v_and_b32_e32 v2, 0xffffff00, v1
	s_delay_alu instid0(VALU_DEP_1)
	v_cmpx_eq_u32_e64 v2, v13
	s_cbranch_execz .LBB15_146
; %bb.145:                              ;   in Loop: Header=BB15_118 Depth=1
	v_and_b32_e32 v1, 0xfff, v1
	s_delay_alu instid0(VALU_DEP_1)
	v_lshlrev_b32_e32 v1, 2, v1
	ds_add_u32 v1, v32 offset:17536
.LBB15_146:                             ;   in Loop: Header=BB15_118 Depth=1
	s_or_b32 exec_lo, exec_lo, s34
	;; [unrolled: 16-line block ×3, first 2 shown]
	v_cmp_gt_i32_e32 vcc_lo, 0, v4
	s_mov_b32 s34, exec_lo
	v_cndmask_b32_e64 v1, 0x7fffffff, 0, vcc_lo
	s_delay_alu instid0(VALU_DEP_1) | instskip(NEXT) | instid1(VALU_DEP_1)
	v_xor_b32_e32 v1, v1, v4
	v_and_b32_e32 v2, 0xffffff00, v1
	s_delay_alu instid0(VALU_DEP_1)
	v_cmpx_eq_u32_e64 v2, v13
	s_cbranch_execz .LBB15_117
; %bb.149:                              ;   in Loop: Header=BB15_118 Depth=1
	v_and_b32_e32 v1, 0xfff, v1
	s_delay_alu instid0(VALU_DEP_1)
	v_lshlrev_b32_e32 v1, 2, v1
	ds_add_u32 v1, v32 offset:17536
	s_branch .LBB15_117
.LBB15_150:
	s_or_b32 exec_lo, exec_lo, s7
.LBB15_151:
	s_delay_alu instid0(SALU_CYCLE_1) | instskip(NEXT) | instid1(SALU_CYCLE_1)
	s_or_b32 exec_lo, exec_lo, s8
	s_mov_b32 s7, exec_lo
	v_cmpx_gt_i32_e64 s20, v29
	s_cbranch_execz .LBB15_162
; %bb.152:
	v_mov_b32_e32 v5, 1
	s_mov_b32 s8, 0
	s_branch .LBB15_154
.LBB15_153:                             ;   in Loop: Header=BB15_154 Depth=1
	s_or_b32 exec_lo, exec_lo, s21
	v_add_nc_u32_e32 v29, s25, v29
	s_delay_alu instid0(VALU_DEP_1) | instskip(SKIP_1) | instid1(SALU_CYCLE_1)
	v_cmp_le_i32_e32 vcc_lo, s20, v29
	s_or_b32 s8, vcc_lo, s8
	s_and_not1_b32 exec_lo, exec_lo, s8
	s_cbranch_execz .LBB15_162
.LBB15_154:                             ; =>This Inner Loop Header: Depth=1
	v_ashrrev_i32_e32 v30, 31, v29
	s_mov_b32 s21, exec_lo
	s_delay_alu instid0(VALU_DEP_1) | instskip(NEXT) | instid1(VALU_DEP_1)
	v_lshlrev_b64 v[1:2], 4, v[29:30]
	v_add_co_u32 v1, vcc_lo, s9, v1
	s_delay_alu instid0(VALU_DEP_2) | instskip(SKIP_4) | instid1(VALU_DEP_1)
	v_add_co_ci_u32_e32 v2, vcc_lo, s27, v2, vcc_lo
	global_load_b128 v[1:4], v[1:2], off
	s_waitcnt vmcnt(0)
	v_cmp_gt_i32_e32 vcc_lo, 0, v1
	v_cndmask_b32_e64 v6, 0x7fffffff, 0, vcc_lo
	v_xor_b32_e32 v1, v6, v1
	s_delay_alu instid0(VALU_DEP_1) | instskip(SKIP_1) | instid1(VALU_DEP_1)
	v_and_b32_e32 v6, 0xffffff00, v1
	s_waitcnt lgkmcnt(0)
	v_cmpx_eq_u32_e64 v6, v13
	s_cbranch_execz .LBB15_156
; %bb.155:                              ;   in Loop: Header=BB15_154 Depth=1
	v_and_b32_e32 v1, 0xfff, v1
	s_delay_alu instid0(VALU_DEP_1)
	v_lshlrev_b32_e32 v1, 2, v1
	ds_add_u32 v1, v5 offset:17536
.LBB15_156:                             ;   in Loop: Header=BB15_154 Depth=1
	s_or_b32 exec_lo, exec_lo, s21
	v_cmp_gt_i32_e32 vcc_lo, 0, v2
	s_mov_b32 s21, exec_lo
	v_cndmask_b32_e64 v1, 0x7fffffff, 0, vcc_lo
	s_delay_alu instid0(VALU_DEP_1) | instskip(NEXT) | instid1(VALU_DEP_1)
	v_xor_b32_e32 v1, v1, v2
	v_and_b32_e32 v2, 0xffffff00, v1
	s_delay_alu instid0(VALU_DEP_1)
	v_cmpx_eq_u32_e64 v2, v13
	s_cbranch_execz .LBB15_158
; %bb.157:                              ;   in Loop: Header=BB15_154 Depth=1
	v_and_b32_e32 v1, 0xfff, v1
	s_delay_alu instid0(VALU_DEP_1)
	v_lshlrev_b32_e32 v1, 2, v1
	ds_add_u32 v1, v5 offset:17536
.LBB15_158:                             ;   in Loop: Header=BB15_154 Depth=1
	s_or_b32 exec_lo, exec_lo, s21
	v_cmp_gt_i32_e32 vcc_lo, 0, v3
	s_mov_b32 s21, exec_lo
	v_cndmask_b32_e64 v1, 0x7fffffff, 0, vcc_lo
	s_delay_alu instid0(VALU_DEP_1) | instskip(NEXT) | instid1(VALU_DEP_1)
	v_xor_b32_e32 v1, v1, v3
	v_and_b32_e32 v2, 0xffffff00, v1
	s_delay_alu instid0(VALU_DEP_1)
	;; [unrolled: 16-line block ×3, first 2 shown]
	v_cmpx_eq_u32_e64 v2, v13
	s_cbranch_execz .LBB15_153
; %bb.161:                              ;   in Loop: Header=BB15_154 Depth=1
	v_and_b32_e32 v1, 0xfff, v1
	s_delay_alu instid0(VALU_DEP_1)
	v_lshlrev_b32_e32 v1, 2, v1
	ds_add_u32 v1, v5 offset:17536
	s_branch .LBB15_153
.LBB15_162:
	s_or_b32 exec_lo, exec_lo, s7
	s_and_saveexec_b32 s7, s4
	s_cbranch_execz .LBB15_165
; %bb.163:
	global_load_b32 v1, v[24:25], off
	s_waitcnt vmcnt(0)
	v_cmp_gt_i32_e32 vcc_lo, 0, v1
	v_cndmask_b32_e64 v2, 0x7fffffff, 0, vcc_lo
	s_delay_alu instid0(VALU_DEP_1) | instskip(NEXT) | instid1(VALU_DEP_1)
	v_xor_b32_e32 v1, v2, v1
	v_and_b32_e32 v2, 0xffffff00, v1
	s_waitcnt lgkmcnt(0)
	s_delay_alu instid0(VALU_DEP_1)
	v_cmp_eq_u32_e32 vcc_lo, v2, v13
	s_and_b32 exec_lo, exec_lo, vcc_lo
	s_cbranch_execz .LBB15_165
; %bb.164:
	v_dual_mov_b32 v2, 1 :: v_dual_and_b32 v1, 0xfff, v1
	s_delay_alu instid0(VALU_DEP_1)
	v_lshlrev_b32_e32 v1, 2, v1
	ds_add_u32 v1, v2 offset:17536
.LBB15_165:
	s_or_b32 exec_lo, exec_lo, s7
	s_and_saveexec_b32 s4, s5
	s_cbranch_execz .LBB15_168
; %bb.166:
	global_load_b32 v1, v[26:27], off
	s_waitcnt vmcnt(0)
	v_cmp_gt_i32_e32 vcc_lo, 0, v1
	v_cndmask_b32_e64 v2, 0x7fffffff, 0, vcc_lo
	s_delay_alu instid0(VALU_DEP_1) | instskip(NEXT) | instid1(VALU_DEP_1)
	v_xor_b32_e32 v1, v2, v1
	v_and_b32_e32 v2, 0xffffff00, v1
	s_waitcnt lgkmcnt(0)
	s_delay_alu instid0(VALU_DEP_1)
	v_cmp_eq_u32_e32 vcc_lo, v2, v13
	s_and_b32 exec_lo, exec_lo, vcc_lo
	s_cbranch_execz .LBB15_168
; %bb.167:
	v_dual_mov_b32 v2, 1 :: v_dual_and_b32 v1, 0xfff, v1
	s_delay_alu instid0(VALU_DEP_1)
	v_lshlrev_b32_e32 v1, 2, v1
	ds_add_u32 v1, v2 offset:17536
.LBB15_168:
	s_or_b32 exec_lo, exec_lo, s4
	s_waitcnt lgkmcnt(0)
	s_barrier
	buffer_gl0_inv
	flat_load_b32 v1, v[14:15] glc dlc
	s_waitcnt vmcnt(0)
	flat_load_b32 v2, v[16:17] glc dlc
	s_waitcnt vmcnt(0)
	;; [unrolled: 2-line block ×3, first 2 shown]
	flat_load_b32 v4, v[20:21] glc dlc
	s_waitcnt vmcnt(0) lgkmcnt(3)
	ds_store_b32 v34, v1
	s_waitcnt lgkmcnt(3)
	ds_store_b32 v35, v2 offset:4096
	s_waitcnt lgkmcnt(3)
	ds_store_b32 v36, v3 offset:8192
	;; [unrolled: 2-line block ×3, first 2 shown]
	s_waitcnt lgkmcnt(0)
	s_barrier
	buffer_gl0_inv
	ds_load_2addr_b32 v[3:4], v38 offset1:1
	ds_load_2addr_b32 v[1:2], v38 offset0:2 offset1:3
	s_waitcnt lgkmcnt(0)
	s_barrier
	buffer_gl0_inv
	v_add_nc_u32_e32 v5, v4, v3
	s_delay_alu instid0(VALU_DEP_1)
	v_add3_u32 v5, v5, v1, v2
	ds_store_b32 v34, v5
	s_waitcnt lgkmcnt(0)
	s_barrier
	buffer_gl0_inv
	s_and_saveexec_b32 s4, s6
	s_cbranch_execz .LBB15_170
; %bb.169:
	ds_load_2addr_b32 v[6:7], v31 offset1:1
	ds_load_2addr_b32 v[8:9], v31 offset0:2 offset1:3
	ds_load_2addr_b32 v[10:11], v31 offset0:4 offset1:5
	;; [unrolled: 1-line block ×10, first 2 shown]
	v_mbcnt_lo_u32_b32 v56, -1, 0
	s_delay_alu instid0(VALU_DEP_1) | instskip(SKIP_3) | instid1(VALU_DEP_1)
	v_bfe_i32 v59, v56, 4, 1
	s_waitcnt lgkmcnt(10)
	v_add_nc_u32_e32 v24, v7, v6
	s_waitcnt lgkmcnt(9)
	v_add3_u32 v26, v24, v8, v9
	ds_load_2addr_b32 v[24:25], v31 offset0:10 offset1:11
	s_waitcnt lgkmcnt(9)
	v_add3_u32 v29, v26, v10, v11
	ds_load_2addr_b32 v[26:27], v31 offset0:12 offset1:13
	;; [unrolled: 3-line block ×3, first 2 shown]
	ds_load_2addr_b32 v[52:53], v31 offset0:28 offset1:29
	ds_load_2addr_b32 v[54:55], v31 offset0:30 offset1:31
	s_waitcnt lgkmcnt(11)
	v_add3_u32 v32, v32, v22, v23
	s_waitcnt lgkmcnt(4)
	s_delay_alu instid0(VALU_DEP_1) | instskip(SKIP_1) | instid1(VALU_DEP_1)
	v_add3_u32 v32, v32, v24, v25
	s_waitcnt lgkmcnt(3)
	v_add3_u32 v32, v32, v26, v27
	s_waitcnt lgkmcnt(2)
	s_delay_alu instid0(VALU_DEP_1) | instskip(NEXT) | instid1(VALU_DEP_1)
	v_add3_u32 v32, v32, v29, v30
	v_add3_u32 v32, v32, v40, v41
	s_delay_alu instid0(VALU_DEP_1) | instskip(NEXT) | instid1(VALU_DEP_1)
	v_add3_u32 v32, v32, v42, v43
	v_add3_u32 v32, v32, v44, v45
	;; [unrolled: 3-line block ×3, first 2 shown]
	s_delay_alu instid0(VALU_DEP_1) | instskip(SKIP_1) | instid1(VALU_DEP_1)
	v_add3_u32 v32, v32, v50, v51
	s_waitcnt lgkmcnt(1)
	v_add3_u32 v32, v32, v52, v53
	s_waitcnt lgkmcnt(0)
	s_delay_alu instid0(VALU_DEP_1) | instskip(NEXT) | instid1(VALU_DEP_1)
	v_add3_u32 v32, v32, v54, v55
	v_mov_b32_dpp v58, v32 row_shr:1 row_mask:0xf bank_mask:0xf
	v_and_b32_e32 v57, 15, v56
	s_delay_alu instid0(VALU_DEP_1) | instskip(NEXT) | instid1(VALU_DEP_3)
	v_cmp_ne_u32_e32 vcc_lo, 0, v57
	v_cndmask_b32_e32 v58, 0, v58, vcc_lo
	v_cmp_lt_u32_e32 vcc_lo, 1, v57
	s_delay_alu instid0(VALU_DEP_2) | instskip(NEXT) | instid1(VALU_DEP_1)
	v_add_nc_u32_e32 v32, v58, v32
	v_mov_b32_dpp v58, v32 row_shr:2 row_mask:0xf bank_mask:0xf
	s_delay_alu instid0(VALU_DEP_1) | instskip(SKIP_1) | instid1(VALU_DEP_2)
	v_cndmask_b32_e32 v58, 0, v58, vcc_lo
	v_cmp_lt_u32_e32 vcc_lo, 3, v57
	v_add_nc_u32_e32 v32, v32, v58
	s_delay_alu instid0(VALU_DEP_1) | instskip(NEXT) | instid1(VALU_DEP_1)
	v_mov_b32_dpp v58, v32 row_shr:4 row_mask:0xf bank_mask:0xf
	v_cndmask_b32_e32 v58, 0, v58, vcc_lo
	v_cmp_lt_u32_e32 vcc_lo, 7, v57
	s_delay_alu instid0(VALU_DEP_2) | instskip(NEXT) | instid1(VALU_DEP_1)
	v_add_nc_u32_e32 v32, v32, v58
	v_mov_b32_dpp v58, v32 row_shr:8 row_mask:0xf bank_mask:0xf
	s_delay_alu instid0(VALU_DEP_1) | instskip(NEXT) | instid1(VALU_DEP_1)
	v_dual_cndmask_b32 v57, 0, v58 :: v_dual_add_nc_u32 v58, -1, v56
	v_add_nc_u32_e32 v32, v32, v57
	s_delay_alu instid0(VALU_DEP_2) | instskip(SKIP_2) | instid1(VALU_DEP_1)
	v_cmp_gt_i32_e32 vcc_lo, 0, v58
	ds_swizzle_b32 v57, v32 offset:swizzle(BROADCAST,32,15)
	v_cndmask_b32_e32 v56, v58, v56, vcc_lo
	v_lshlrev_b32_e32 v56, 2, v56
	s_waitcnt lgkmcnt(0)
	v_and_b32_e32 v57, v59, v57
	s_delay_alu instid0(VALU_DEP_1) | instskip(SKIP_3) | instid1(VALU_DEP_1)
	v_add_nc_u32_e32 v32, v32, v57
	ds_bpermute_b32 v32, v56, v32
	s_waitcnt lgkmcnt(0)
	v_add_nc_u32_e32 v6, v32, v6
	v_cndmask_b32_e64 v5, v6, v5, s2
	s_delay_alu instid0(VALU_DEP_1) | instskip(NEXT) | instid1(VALU_DEP_1)
	v_add_nc_u32_e32 v6, v5, v7
	v_add_nc_u32_e32 v7, v6, v8
	s_delay_alu instid0(VALU_DEP_1) | instskip(NEXT) | instid1(VALU_DEP_1)
	v_add_nc_u32_e32 v8, v7, v9
	v_add_nc_u32_e32 v9, v8, v10
	;; [unrolled: 3-line block ×3, first 2 shown]
	s_delay_alu instid0(VALU_DEP_1)
	v_add_nc_u32_e32 v12, v11, v13
	ds_store_2addr_b32 v31, v5, v6 offset1:1
	ds_store_2addr_b32 v31, v7, v8 offset0:2 offset1:3
	ds_store_2addr_b32 v31, v9, v10 offset0:4 offset1:5
	;; [unrolled: 1-line block ×3, first 2 shown]
	v_add_nc_u32_e32 v13, v12, v22
	s_delay_alu instid0(VALU_DEP_1) | instskip(NEXT) | instid1(VALU_DEP_1)
	v_add_nc_u32_e32 v22, v13, v23
	v_add_nc_u32_e32 v23, v22, v24
	s_delay_alu instid0(VALU_DEP_1) | instskip(NEXT) | instid1(VALU_DEP_1)
	v_add_nc_u32_e32 v24, v23, v25
	;; [unrolled: 3-line block ×3, first 2 shown]
	v_add_nc_u32_e32 v27, v26, v29
	s_delay_alu instid0(VALU_DEP_1)
	v_add_nc_u32_e32 v29, v27, v30
	ds_store_2addr_b32 v31, v13, v22 offset0:8 offset1:9
	ds_store_2addr_b32 v31, v23, v24 offset0:10 offset1:11
	;; [unrolled: 1-line block ×4, first 2 shown]
	v_add_nc_u32_e32 v30, v29, v40
	s_delay_alu instid0(VALU_DEP_1) | instskip(NEXT) | instid1(VALU_DEP_1)
	v_add_nc_u32_e32 v32, v30, v41
	v_add_nc_u32_e32 v40, v32, v42
	s_delay_alu instid0(VALU_DEP_1) | instskip(NEXT) | instid1(VALU_DEP_1)
	v_add_nc_u32_e32 v41, v40, v43
	;; [unrolled: 3-line block ×7, first 2 shown]
	v_add_nc_u32_e32 v5, v51, v54
	s_delay_alu instid0(VALU_DEP_1)
	v_add_nc_u32_e32 v6, v5, v55
	ds_store_2addr_b32 v31, v30, v32 offset0:16 offset1:17
	ds_store_2addr_b32 v31, v40, v41 offset0:18 offset1:19
	;; [unrolled: 1-line block ×8, first 2 shown]
.LBB15_170:
	s_or_b32 exec_lo, exec_lo, s4
	v_dual_mov_b32 v5, 0 :: v_dual_mov_b32 v6, 0
	s_waitcnt lgkmcnt(0)
	s_barrier
	buffer_gl0_inv
	s_and_saveexec_b32 s4, s3
	s_cbranch_execz .LBB15_172
; %bb.171:
	ds_load_b32 v6, v39
.LBB15_172:
	s_or_b32 exec_lo, exec_lo, s4
	s_waitcnt lgkmcnt(0)
	v_add_nc_u32_e32 v3, v6, v3
	s_barrier
	buffer_gl0_inv
	s_mov_b32 s4, 0
	v_add_nc_u32_e32 v4, v3, v4
	s_delay_alu instid0(VALU_DEP_1) | instskip(NEXT) | instid1(VALU_DEP_1)
	v_add_nc_u32_e32 v1, v4, v1
	v_add_nc_u32_e32 v2, v1, v2
	ds_store_2addr_b32 v38, v3, v4 offset1:1
	ds_store_2addr_b32 v38, v1, v2 offset0:2 offset1:3
	s_waitcnt lgkmcnt(0)
	s_barrier
	buffer_gl0_inv
	ds_load_b32 v1, v34
	ds_load_b32 v2, v35 offset:4096
	ds_load_b32 v3, v36 offset:8192
	;; [unrolled: 1-line block ×3, first 2 shown]
	s_waitcnt lgkmcnt(3)
	flat_store_b32 v[14:15], v1 dlc
	s_waitcnt_vscnt null, 0x0
	s_waitcnt lgkmcnt(3)
	flat_store_b32 v[16:17], v2 dlc
	s_waitcnt_vscnt null, 0x0
	;; [unrolled: 3-line block ×4, first 2 shown]
	v_mov_b32_e32 v2, v0
	s_waitcnt lgkmcnt(0)
	s_barrier
	buffer_gl0_inv
	ds_load_b32 v1, v5 offset:12
	s_set_inst_prefetch_distance 0x1
	s_branch .LBB15_174
	.p2align	6
.LBB15_173:                             ;   in Loop: Header=BB15_174 Depth=1
	s_or_b32 exec_lo, exec_lo, s3
	v_add_nc_u32_e32 v2, s25, v2
	v_add_nc_u32_e32 v33, s26, v33
	s_delay_alu instid0(VALU_DEP_2) | instskip(SKIP_1) | instid1(SALU_CYCLE_1)
	v_cmp_lt_u32_e32 vcc_lo, 0xfff, v2
	s_or_b32 s4, vcc_lo, s4
	s_and_not1_b32 exec_lo, exec_lo, s4
	s_cbranch_execz .LBB15_178
.LBB15_174:                             ; =>This Inner Loop Header: Depth=1
	v_mov_b32_e32 v3, 0
	s_mov_b32 s3, exec_lo
	v_cmpx_ne_u32_e32 0, v2
	s_cbranch_execz .LBB15_176
; %bb.175:                              ;   in Loop: Header=BB15_174 Depth=1
	ds_load_b32 v3, v33
.LBB15_176:                             ;   in Loop: Header=BB15_174 Depth=1
	s_or_b32 exec_lo, exec_lo, s3
	ds_load_b32 v4, v33 offset:4
	s_waitcnt lgkmcnt(1)
	v_cmp_gt_i32_e32 vcc_lo, v28, v3
	s_waitcnt lgkmcnt(0)
	v_cmp_ge_i32_e64 s3, v4, v28
	s_delay_alu instid0(VALU_DEP_1) | instskip(NEXT) | instid1(SALU_CYCLE_1)
	s_and_b32 s5, vcc_lo, s3
	s_and_saveexec_b32 s3, s5
	s_cbranch_execz .LBB15_173
; %bb.177:                              ;   in Loop: Header=BB15_174 Depth=1
	v_sub_nc_u32_e32 v6, v28, v3
	v_sub_nc_u32_e32 v7, v4, v3
	v_or_b32_e32 v1, v1, v2
	ds_store_b64 v5, v[6:7]
	ds_store_b32 v5, v1 offset:12
	s_branch .LBB15_173
.LBB15_178:
	s_set_inst_prefetch_distance 0x2
	s_or_b32 exec_lo, exec_lo, s4
	s_and_saveexec_b32 s3, s2
	s_cbranch_execz .LBB15_180
; %bb.179:
	v_mov_b32_e32 v1, 0
	ds_load_b32 v2, v1 offset:4
	s_waitcnt lgkmcnt(0)
	ds_store_b32 v1, v2 offset:8
.LBB15_180:
	s_or_b32 exec_lo, exec_lo, s3
	s_mov_b32 s34, 2
	s_waitcnt lgkmcnt(0)
	s_barrier
	buffer_gl0_inv
.LBB15_181:
	s_lshl_b64 s[2:3], s[16:17], 2
	v_dual_mov_b32 v31, v0 :: v_dual_mov_b32 v0, s24
	s_add_u32 s4, s12, s2
	s_addc_u32 s5, s13, s3
	s_add_u32 s2, s10, s18
	s_addc_u32 s3, s11, s19
	s_cmp_lg_u64 s[10:11], 0
	v_dual_mov_b32 v5, s5 :: v_dual_mov_b32 v6, s22
	s_cselect_b32 s6, s2, 0
	s_cselect_b32 s7, s3, 0
	s_add_u32 s8, s0, 0x58
	s_addc_u32 s9, s1, 0
	s_mov_b64 s[0:1], src_shared_base
	v_dual_mov_b32 v1, s23 :: v_dual_mov_b32 v2, s6
	v_dual_mov_b32 v3, s7 :: v_dual_mov_b32 v4, s4
	v_dual_mov_b32 v7, s14 :: v_dual_mov_b32 v8, 0
	v_dual_mov_b32 v9, s1 :: v_dual_mov_b32 v10, s34
	s_mov_b32 s12, s15
	s_getpc_b64 s[2:3]
	s_add_u32 s2, s2, _ZN5aiter2ob11last_filterIfiLi12ELb0ELb0EEEvPKT_PKT0_PS2_PS5_S5_S5_PNS0_7CounterIS2_S5_EEbib@rel32@lo+4
	s_addc_u32 s3, s3, _ZN5aiter2ob11last_filterIfiLi12ELb0ELb0EEEvPKT_PKT0_PS2_PS5_S5_S5_PNS0_7CounterIS2_S5_EEbib@rel32@hi+12
	s_delay_alu instid0(SALU_CYCLE_1)
	s_swappc_b64 s[30:31], s[2:3]
	s_endpgm
	.section	.rodata,"a",@progbits
	.p2align	6, 0x0
	.amdhsa_kernel _ZN5aiter2ob27radix_topk_one_block_kernelIfiLi12ELi1024ELb0ELb0ELNS0_5PhaseE1EEEvPKT_PKT0_lS8_S8_S6_PS3_PS6_bPci
		.amdhsa_group_segment_fixed_size 33920
		.amdhsa_private_segment_fixed_size 0
		.amdhsa_kernarg_size 344
		.amdhsa_user_sgpr_count 15
		.amdhsa_user_sgpr_dispatch_ptr 0
		.amdhsa_user_sgpr_queue_ptr 0
		.amdhsa_user_sgpr_kernarg_segment_ptr 1
		.amdhsa_user_sgpr_dispatch_id 0
		.amdhsa_user_sgpr_private_segment_size 0
		.amdhsa_wavefront_size32 1
		.amdhsa_uses_dynamic_stack 0
		.amdhsa_enable_private_segment 0
		.amdhsa_system_sgpr_workgroup_id_x 1
		.amdhsa_system_sgpr_workgroup_id_y 0
		.amdhsa_system_sgpr_workgroup_id_z 0
		.amdhsa_system_sgpr_workgroup_info 0
		.amdhsa_system_vgpr_workitem_id 0
		.amdhsa_next_free_vgpr 81
		.amdhsa_next_free_sgpr 37
		.amdhsa_reserve_vcc 1
		.amdhsa_float_round_mode_32 0
		.amdhsa_float_round_mode_16_64 0
		.amdhsa_float_denorm_mode_32 3
		.amdhsa_float_denorm_mode_16_64 3
		.amdhsa_dx10_clamp 1
		.amdhsa_ieee_mode 1
		.amdhsa_fp16_overflow 0
		.amdhsa_workgroup_processor_mode 1
		.amdhsa_memory_ordered 1
		.amdhsa_forward_progress 0
		.amdhsa_shared_vgpr_count 0
		.amdhsa_exception_fp_ieee_invalid_op 0
		.amdhsa_exception_fp_denorm_src 0
		.amdhsa_exception_fp_ieee_div_zero 0
		.amdhsa_exception_fp_ieee_overflow 0
		.amdhsa_exception_fp_ieee_underflow 0
		.amdhsa_exception_fp_ieee_inexact 0
		.amdhsa_exception_int_div_zero 0
	.end_amdhsa_kernel
	.section	.text._ZN5aiter2ob27radix_topk_one_block_kernelIfiLi12ELi1024ELb0ELb0ELNS0_5PhaseE1EEEvPKT_PKT0_lS8_S8_S6_PS3_PS6_bPci,"axG",@progbits,_ZN5aiter2ob27radix_topk_one_block_kernelIfiLi12ELi1024ELb0ELb0ELNS0_5PhaseE1EEEvPKT_PKT0_lS8_S8_S6_PS3_PS6_bPci,comdat
.Lfunc_end15:
	.size	_ZN5aiter2ob27radix_topk_one_block_kernelIfiLi12ELi1024ELb0ELb0ELNS0_5PhaseE1EEEvPKT_PKT0_lS8_S8_S6_PS3_PS6_bPci, .Lfunc_end15-_ZN5aiter2ob27radix_topk_one_block_kernelIfiLi12ELi1024ELb0ELb0ELNS0_5PhaseE1EEEvPKT_PKT0_lS8_S8_S6_PS3_PS6_bPci
                                        ; -- End function
	.section	.AMDGPU.csdata,"",@progbits
; Kernel info:
; codeLenInByte = 12364
; NumSgprs: 39
; NumVgprs: 81
; ScratchSize: 0
; MemoryBound: 0
; FloatMode: 240
; IeeeMode: 1
; LDSByteSize: 33920 bytes/workgroup (compile time only)
; SGPRBlocks: 4
; VGPRBlocks: 10
; NumSGPRsForWavesPerEU: 39
; NumVGPRsForWavesPerEU: 81
; Occupancy: 16
; WaveLimiterHint : 1
; COMPUTE_PGM_RSRC2:SCRATCH_EN: 0
; COMPUTE_PGM_RSRC2:USER_SGPR: 15
; COMPUTE_PGM_RSRC2:TRAP_HANDLER: 0
; COMPUTE_PGM_RSRC2:TGID_X_EN: 1
; COMPUTE_PGM_RSRC2:TGID_Y_EN: 0
; COMPUTE_PGM_RSRC2:TGID_Z_EN: 0
; COMPUTE_PGM_RSRC2:TIDIG_COMP_CNT: 0
	.section	.text._ZN5aiter2ob27radix_topk_one_block_kernelIfiLi11ELi1024ELb0ELb0ELNS0_5PhaseE1EEEvPKT_PKT0_lS8_S8_S6_PS3_PS6_bPci,"axG",@progbits,_ZN5aiter2ob27radix_topk_one_block_kernelIfiLi11ELi1024ELb0ELb0ELNS0_5PhaseE1EEEvPKT_PKT0_lS8_S8_S6_PS3_PS6_bPci,comdat
	.protected	_ZN5aiter2ob27radix_topk_one_block_kernelIfiLi11ELi1024ELb0ELb0ELNS0_5PhaseE1EEEvPKT_PKT0_lS8_S8_S6_PS3_PS6_bPci ; -- Begin function _ZN5aiter2ob27radix_topk_one_block_kernelIfiLi11ELi1024ELb0ELb0ELNS0_5PhaseE1EEEvPKT_PKT0_lS8_S8_S6_PS3_PS6_bPci
	.globl	_ZN5aiter2ob27radix_topk_one_block_kernelIfiLi11ELi1024ELb0ELb0ELNS0_5PhaseE1EEEvPKT_PKT0_lS8_S8_S6_PS3_PS6_bPci
	.p2align	8
	.type	_ZN5aiter2ob27radix_topk_one_block_kernelIfiLi11ELi1024ELb0ELb0ELNS0_5PhaseE1EEEvPKT_PKT0_lS8_S8_S6_PS3_PS6_bPci,@function
_ZN5aiter2ob27radix_topk_one_block_kernelIfiLi11ELi1024ELb0ELb0ELNS0_5PhaseE1EEEvPKT_PKT0_lS8_S8_S6_PS3_PS6_bPci: ; @_ZN5aiter2ob27radix_topk_one_block_kernelIfiLi11ELi1024ELb0ELb0ELNS0_5PhaseE1EEEvPKT_PKT0_lS8_S8_S6_PS3_PS6_bPci
; %bb.0:
	s_load_b32 s8, s[0:1], 0x50
	s_mov_b32 s2, 0
	s_mov_b32 s32, 0
	s_waitcnt lgkmcnt(0)
	s_ashr_i32 s6, s8, 31
	s_delay_alu instid0(SALU_CYCLE_1) | instskip(NEXT) | instid1(SALU_CYCLE_1)
	s_mov_b32 s3, s6
	s_cmp_lg_u64 s[2:3], 0
	s_cbranch_scc0 .LBB16_79
; %bb.1:
	s_add_u32 s10, s8, s6
	s_mov_b32 s4, s6
	s_mov_b32 s5, s6
	s_addc_u32 s11, s6, s6
	s_delay_alu instid0(SALU_CYCLE_1) | instskip(NEXT) | instid1(SALU_CYCLE_1)
	s_xor_b64 s[6:7], s[10:11], s[4:5]
	v_cvt_f32_u32_e32 v1, s6
	v_cvt_f32_u32_e32 v2, s7
	s_sub_u32 s10, 0, s6
	s_subb_u32 s11, 0, s7
	s_delay_alu instid0(VALU_DEP_1) | instskip(NEXT) | instid1(VALU_DEP_1)
	v_fmamk_f32 v1, v2, 0x4f800000, v1
	v_rcp_f32_e32 v1, v1
	s_waitcnt_depctr 0xfff
	v_mul_f32_e32 v1, 0x5f7ffffc, v1
	s_delay_alu instid0(VALU_DEP_1) | instskip(NEXT) | instid1(VALU_DEP_1)
	v_mul_f32_e32 v2, 0x2f800000, v1
	v_trunc_f32_e32 v2, v2
	s_delay_alu instid0(VALU_DEP_1) | instskip(SKIP_1) | instid1(VALU_DEP_2)
	v_fmamk_f32 v1, v2, 0xcf800000, v1
	v_cvt_u32_f32_e32 v2, v2
	v_cvt_u32_f32_e32 v1, v1
	s_delay_alu instid0(VALU_DEP_2) | instskip(NEXT) | instid1(VALU_DEP_2)
	v_readfirstlane_b32 s3, v2
	v_readfirstlane_b32 s9, v1
	s_delay_alu instid0(VALU_DEP_2) | instskip(NEXT) | instid1(VALU_DEP_1)
	s_mul_i32 s12, s10, s3
	s_mul_hi_u32 s14, s10, s9
	s_mul_i32 s13, s11, s9
	s_add_i32 s12, s14, s12
	s_mul_i32 s16, s10, s9
	s_add_i32 s12, s12, s13
	s_mul_hi_u32 s14, s9, s16
	s_mul_hi_u32 s17, s3, s16
	s_mul_i32 s13, s3, s16
	s_mul_hi_u32 s16, s9, s12
	s_mul_i32 s9, s9, s12
	s_mul_hi_u32 s18, s3, s12
	s_add_u32 s9, s14, s9
	s_addc_u32 s14, 0, s16
	s_add_u32 s9, s9, s13
	s_mul_i32 s12, s3, s12
	s_addc_u32 s9, s14, s17
	s_addc_u32 s13, s18, 0
	s_add_u32 s9, s9, s12
	s_addc_u32 s12, 0, s13
	v_add_co_u32 v1, s9, v1, s9
	s_delay_alu instid0(VALU_DEP_1) | instskip(SKIP_1) | instid1(VALU_DEP_1)
	s_cmp_lg_u32 s9, 0
	s_addc_u32 s3, s3, s12
	v_readfirstlane_b32 s9, v1
	s_mul_i32 s12, s10, s3
	s_delay_alu instid0(VALU_DEP_1)
	s_mul_hi_u32 s13, s10, s9
	s_mul_i32 s11, s11, s9
	s_add_i32 s12, s13, s12
	s_mul_i32 s10, s10, s9
	s_add_i32 s12, s12, s11
	s_mul_hi_u32 s13, s3, s10
	s_mul_i32 s14, s3, s10
	s_mul_hi_u32 s10, s9, s10
	s_mul_hi_u32 s16, s9, s12
	s_mul_i32 s9, s9, s12
	s_mul_hi_u32 s11, s3, s12
	s_add_u32 s9, s10, s9
	s_addc_u32 s10, 0, s16
	s_add_u32 s9, s9, s14
	s_mul_i32 s12, s3, s12
	s_addc_u32 s9, s10, s13
	s_addc_u32 s10, s11, 0
	s_add_u32 s9, s9, s12
	s_addc_u32 s10, 0, s10
	v_add_co_u32 v1, s9, v1, s9
	s_delay_alu instid0(VALU_DEP_1) | instskip(SKIP_1) | instid1(VALU_DEP_1)
	s_cmp_lg_u32 s9, 0
	s_addc_u32 s3, s3, s10
	v_readfirstlane_b32 s9, v1
	s_mul_i32 s10, s15, s3
	s_mul_hi_u32 s3, s15, s3
	s_delay_alu instid0(VALU_DEP_1) | instskip(NEXT) | instid1(SALU_CYCLE_1)
	s_mul_hi_u32 s9, s15, s9
	s_add_u32 s9, s9, s10
	s_addc_u32 s3, 0, s3
	s_add_u32 s9, s9, 0
	s_addc_u32 s3, s3, 0
	s_addc_u32 s9, 0, 0
	s_add_u32 s3, s3, 0
	s_addc_u32 s9, 0, s9
	s_mul_hi_u32 s10, s6, s3
	s_mul_i32 s12, s6, s9
	s_mul_i32 s13, s6, s3
	s_add_i32 s10, s10, s12
	v_sub_co_u32 v1, s12, s15, s13
	s_mul_i32 s11, s7, s3
	s_delay_alu instid0(SALU_CYCLE_1) | instskip(NEXT) | instid1(VALU_DEP_1)
	s_add_i32 s10, s10, s11
	v_sub_co_u32 v2, s13, v1, s6
	s_sub_i32 s11, 0, s10
	s_cmp_lg_u32 s12, 0
	s_subb_u32 s11, s11, s7
	s_cmp_lg_u32 s13, 0
	v_readfirstlane_b32 s13, v2
	s_subb_u32 s11, s11, 0
	s_delay_alu instid0(SALU_CYCLE_1) | instskip(SKIP_1) | instid1(VALU_DEP_1)
	s_cmp_ge_u32 s11, s7
	s_cselect_b32 s14, -1, 0
	s_cmp_ge_u32 s13, s6
	s_cselect_b32 s13, -1, 0
	s_cmp_eq_u32 s11, s7
	s_cselect_b32 s11, s13, s14
	s_add_u32 s13, s3, 1
	s_addc_u32 s14, s9, 0
	s_add_u32 s16, s3, 2
	s_addc_u32 s17, s9, 0
	s_cmp_lg_u32 s11, 0
	s_cselect_b32 s11, s16, s13
	s_cselect_b32 s13, s17, s14
	s_cmp_lg_u32 s12, 0
	v_readfirstlane_b32 s12, v1
	s_subb_u32 s10, 0, s10
	s_delay_alu instid0(SALU_CYCLE_1) | instskip(SKIP_1) | instid1(VALU_DEP_1)
	s_cmp_ge_u32 s10, s7
	s_cselect_b32 s14, -1, 0
	s_cmp_ge_u32 s12, s6
	s_cselect_b32 s6, -1, 0
	s_cmp_eq_u32 s10, s7
	s_cselect_b32 s6, s6, s14
	s_delay_alu instid0(SALU_CYCLE_1) | instskip(SKIP_2) | instid1(SALU_CYCLE_1)
	s_cmp_lg_u32 s6, 0
	s_cselect_b32 s7, s13, s9
	s_cselect_b32 s6, s11, s3
	s_xor_b64 s[6:7], s[6:7], s[4:5]
	s_delay_alu instid0(SALU_CYCLE_1)
	s_sub_u32 s4, s6, s4
	s_subb_u32 s5, s7, s5
	s_and_not1_b32 vcc_lo, exec_lo, s2
	s_cbranch_vccnz .LBB16_3
.LBB16_2:
	v_cvt_f32_u32_e32 v1, s8
	s_sub_i32 s3, 0, s8
	s_delay_alu instid0(VALU_DEP_1) | instskip(SKIP_2) | instid1(VALU_DEP_1)
	v_rcp_iflag_f32_e32 v1, v1
	s_waitcnt_depctr 0xfff
	v_mul_f32_e32 v1, 0x4f7ffffe, v1
	v_cvt_u32_f32_e32 v1, v1
	s_delay_alu instid0(VALU_DEP_1) | instskip(NEXT) | instid1(VALU_DEP_1)
	v_readfirstlane_b32 s2, v1
	s_mul_i32 s3, s3, s2
	s_delay_alu instid0(SALU_CYCLE_1) | instskip(NEXT) | instid1(SALU_CYCLE_1)
	s_mul_hi_u32 s3, s2, s3
	s_add_i32 s2, s2, s3
	s_delay_alu instid0(SALU_CYCLE_1) | instskip(NEXT) | instid1(SALU_CYCLE_1)
	s_mul_hi_u32 s2, s15, s2
	s_mul_i32 s3, s2, s8
	s_add_i32 s4, s2, 1
	s_sub_i32 s3, s15, s3
	s_delay_alu instid0(SALU_CYCLE_1)
	s_sub_i32 s5, s3, s8
	s_cmp_ge_u32 s3, s8
	s_cselect_b32 s2, s4, s2
	s_cselect_b32 s3, s5, s3
	s_add_i32 s4, s2, 1
	s_cmp_ge_u32 s3, s8
	s_mov_b32 s5, 0
	s_cselect_b32 s4, s4, s2
.LBB16_3:
	s_clause 0x1
	s_load_b64 s[2:3], s[0:1], 0x20
	s_load_b32 s14, s[0:1], 0x28
	s_lshl_b64 s[6:7], s[4:5], 2
	s_waitcnt lgkmcnt(0)
	s_add_u32 s2, s2, s6
	s_addc_u32 s3, s3, s7
	s_load_b32 s2, s[2:3], 0x0
	s_mul_i32 s3, s4, s8
	s_delay_alu instid0(SALU_CYCLE_1)
	s_sub_i32 s4, s15, s3
	v_cmp_ne_u32_e64 s3, 0, v0
	s_waitcnt lgkmcnt(0)
	s_sub_i32 s5, s2, s8
	v_cmp_eq_u32_e64 s2, 0, v0
	s_add_i32 s22, s5, s4
	s_delay_alu instid0(SALU_CYCLE_1) | instskip(NEXT) | instid1(VALU_DEP_1)
	s_add_i32 s22, s22, 1
	s_and_saveexec_b32 s4, s2
	s_cbranch_execz .LBB16_5
; %bb.4:
	v_dual_mov_b32 v2, s22 :: v_dual_mov_b32 v1, s14
	v_dual_mov_b32 v4, 0 :: v_dual_mov_b32 v3, s22
	ds_store_b128 v4, v[1:4]
	ds_store_2addr_b32 v4, v4, v4 offset0:96 offset1:128
.LBB16_5:
	s_or_b32 exec_lo, exec_lo, s4
	s_load_b64 s[12:13], s[0:1], 0x38
	s_ashr_i32 s4, s14, 31
	s_mul_hi_u32 s5, s14, s15
	s_mul_i32 s4, s4, s15
	s_mul_i32 s16, s14, s15
	s_add_i32 s17, s5, s4
	s_cmp_gt_i32 s22, s14
	s_mov_b32 s4, -1
	s_waitcnt lgkmcnt(0)
	s_barrier
	buffer_gl0_inv
	s_cbranch_scc0 .LBB16_8
; %bb.6:
	s_and_not1_b32 vcc_lo, exec_lo, s4
	s_cbranch_vccz .LBB16_12
.LBB16_7:
	s_nop 0
	s_sendmsg sendmsg(MSG_DEALLOC_VGPRS)
	s_endpgm
.LBB16_8:
	s_mov_b32 s5, exec_lo
	v_cmpx_gt_i32_e64 s14, v0
	s_cbranch_execz .LBB16_11
; %bb.9:
	v_lshlrev_b32_e32 v1, 2, v0
	s_lshl_b64 s[6:7], s[16:17], 2
	v_mov_b32_e32 v3, v0
	s_add_u32 s4, s12, s6
	s_addc_u32 s6, s13, s7
	v_add_co_u32 v1, s4, s4, v1
	s_delay_alu instid0(VALU_DEP_1)
	v_add_co_ci_u32_e64 v2, null, s6, 0, s4
	s_mov_b32 s6, 0
.LBB16_10:                              ; =>This Inner Loop Header: Depth=1
	v_cmp_gt_i32_e32 vcc_lo, s22, v3
	v_cndmask_b32_e32 v4, -1, v3, vcc_lo
	v_add_nc_u32_e32 v3, 0x400, v3
	global_store_b32 v[1:2], v4, off
	v_cmp_le_i32_e32 vcc_lo, s14, v3
	v_add_co_u32 v1, s4, 0x1000, v1
	s_delay_alu instid0(VALU_DEP_1) | instskip(SKIP_1) | instid1(SALU_CYCLE_1)
	v_add_co_ci_u32_e64 v2, s4, 0, v2, s4
	s_or_b32 s6, vcc_lo, s6
	s_and_not1_b32 exec_lo, exec_lo, s6
	s_cbranch_execnz .LBB16_10
.LBB16_11:
	s_or_b32 exec_lo, exec_lo, s5
	s_cbranch_execnz .LBB16_7
.LBB16_12:
	s_load_b32 s4, s[0:1], 0x64
	v_dual_mov_b32 v1, 0 :: v_dual_lshlrev_b32 v6, 2, v0
	s_delay_alu instid0(VALU_DEP_1) | instskip(NEXT) | instid1(VALU_DEP_1)
	v_dual_mov_b32 v2, v0 :: v_dual_add_nc_u32 v29, 0x2380, v6
	v_mov_b32_e32 v3, v29
	s_waitcnt lgkmcnt(0)
	s_and_b32 s25, s4, 0xffff
	s_mov_b32 s4, 0
	s_lshl_b32 s26, s25, 2
.LBB16_13:                              ; =>This Inner Loop Header: Depth=1
	v_add_nc_u32_e32 v2, s25, v2
	ds_store_b32 v3, v1
	v_add_nc_u32_e32 v3, s26, v3
	v_cmp_lt_u32_e32 vcc_lo, 0x7ff, v2
	s_or_b32 s4, vcc_lo, s4
	s_delay_alu instid0(SALU_CYCLE_1)
	s_and_not1_b32 exec_lo, exec_lo, s4
	s_cbranch_execnz .LBB16_13
; %bb.14:
	s_or_b32 exec_lo, exec_lo, s4
	s_and_saveexec_b32 s4, s2
	s_cbranch_execz .LBB16_16
; %bb.15:
	v_mov_b32_e32 v1, 0
	ds_store_b32 v1, v1 offset:128
.LBB16_16:
	s_or_b32 exec_lo, exec_lo, s4
	s_clause 0x1
	s_load_b64 s[4:5], s[0:1], 0x10
	s_load_b128 s[8:11], s[0:1], 0x0
	s_mul_i32 s28, s25, 3
	v_dual_mov_b32 v1, 0 :: v_dual_mov_b32 v2, v0
	s_waitcnt lgkmcnt(0)
	s_waitcnt_vscnt null, 0x0
	s_barrier
	buffer_gl0_inv
	s_mul_i32 s5, s15, s5
	s_mul_hi_u32 s6, s15, s4
	s_mul_i32 s4, s15, s4
	s_add_i32 s5, s6, s5
	s_delay_alu instid0(SALU_CYCLE_1) | instskip(SKIP_4) | instid1(SALU_CYCLE_1)
	s_lshl_b64 s[18:19], s[4:5], 2
	s_mov_b32 s5, 0
	s_add_u32 s24, s8, s18
	s_addc_u32 s23, s9, s19
	s_and_b32 s4, s24, 15
	s_sub_i32 s6, 16, s4
	s_delay_alu instid0(SALU_CYCLE_1) | instskip(SKIP_2) | instid1(SALU_CYCLE_1)
	s_lshr_b32 s6, s6, 2
	s_cmp_lg_u64 s[4:5], 0
	s_cselect_b32 s4, s6, 0
	s_min_i32 s6, s4, s22
	s_delay_alu instid0(SALU_CYCLE_1) | instskip(NEXT) | instid1(SALU_CYCLE_1)
	s_ashr_i32 s7, s6, 31
	s_lshl_b64 s[20:21], s[6:7], 2
	s_delay_alu instid0(SALU_CYCLE_1) | instskip(SKIP_2) | instid1(SALU_CYCLE_1)
	s_add_u32 s9, s24, s20
	s_addc_u32 s27, s23, s21
	s_sub_i32 s4, s22, s6
	s_ashr_i32 s7, s4, 31
	s_delay_alu instid0(SALU_CYCLE_1) | instskip(NEXT) | instid1(SALU_CYCLE_1)
	s_lshr_b32 s7, s7, 30
	s_add_i32 s4, s4, s7
	v_add_co_u32 v18, s7, s28, v0
	s_delay_alu instid0(VALU_DEP_1)
	v_add_co_ci_u32_e64 v19, null, 0, 0, s7
	s_ashr_i32 s20, s4, 2
	s_lshl_b32 s4, s25, 4
	s_ashr_i32 s21, s20, 31
	s_add_u32 s29, s9, s4
	v_cmp_gt_u64_e64 s7, s[20:21], v[18:19]
	s_addc_u32 s30, s27, 0
	s_add_u32 s31, s29, s4
	s_addc_u32 s33, s30, 0
	s_delay_alu instid0(VALU_DEP_1)
	s_and_saveexec_b32 s4, s7
	s_cbranch_execz .LBB16_20
; %bb.17:
	v_dual_mov_b32 v7, 1 :: v_dual_mov_b32 v4, v18
	v_mov_b32_e32 v3, v1
	v_dual_mov_b32 v5, v19 :: v_dual_mov_b32 v2, v0
.LBB16_18:                              ; =>This Inner Loop Header: Depth=1
	s_delay_alu instid0(VALU_DEP_1) | instskip(NEXT) | instid1(VALU_DEP_2)
	v_lshlrev_b64 v[12:13], 4, v[2:3]
	v_lshlrev_b64 v[3:4], 4, v[4:5]
	v_add_nc_u32_e32 v2, s26, v2
	s_delay_alu instid0(VALU_DEP_3) | instskip(NEXT) | instid1(VALU_DEP_4)
	v_add_co_u32 v8, vcc_lo, s9, v12
	v_add_co_ci_u32_e32 v9, vcc_lo, s27, v13, vcc_lo
	v_add_co_u32 v14, vcc_lo, s29, v12
	v_add_co_ci_u32_e32 v15, vcc_lo, s30, v13, vcc_lo
	global_load_b128 v[8:11], v[8:9], off
	v_add_co_u32 v16, vcc_lo, s31, v12
	v_add_co_ci_u32_e32 v17, vcc_lo, s33, v13, vcc_lo
	global_load_b128 v[12:15], v[14:15], off
	v_add_co_u32 v3, vcc_lo, s9, v3
	v_add_co_ci_u32_e32 v4, vcc_lo, s27, v4, vcc_lo
	s_waitcnt vmcnt(1)
	v_cmp_gt_i32_e32 vcc_lo, 0, v8
	v_cndmask_b32_e64 v5, 0x7fe00000, 0, vcc_lo
	v_cmp_gt_i32_e32 vcc_lo, 0, v9
	s_delay_alu instid0(VALU_DEP_2) | instskip(SKIP_2) | instid1(VALU_DEP_3)
	v_xor_b32_e32 v5, v5, v8
	v_cndmask_b32_e64 v20, 0x7fe00000, 0, vcc_lo
	v_cmp_gt_i32_e32 vcc_lo, 0, v10
	v_lshrrev_b32_e32 v5, 19, v5
	s_delay_alu instid0(VALU_DEP_3) | instskip(SKIP_2) | instid1(VALU_DEP_4)
	v_xor_b32_e32 v8, v20, v9
	v_cndmask_b32_e64 v21, 0x7fe00000, 0, vcc_lo
	v_cmp_gt_i32_e32 vcc_lo, 0, v11
	v_and_b32_e32 v5, 0x1ffc, v5
	s_delay_alu instid0(VALU_DEP_4) | instskip(NEXT) | instid1(VALU_DEP_4)
	v_lshrrev_b32_e32 v8, 19, v8
	v_xor_b32_e32 v9, v21, v10
	v_cndmask_b32_e64 v22, 0x7fe00000, 0, vcc_lo
	s_waitcnt vmcnt(0)
	v_cmp_gt_i32_e32 vcc_lo, 0, v12
	v_and_b32_e32 v8, 0x1ffc, v8
	v_lshrrev_b32_e32 v9, 19, v9
	v_xor_b32_e32 v10, v22, v11
	s_delay_alu instid0(VALU_DEP_2) | instskip(NEXT) | instid1(VALU_DEP_2)
	v_and_b32_e32 v9, 0x1ffc, v9
	v_lshrrev_b32_e32 v10, 19, v10
	s_delay_alu instid0(VALU_DEP_1)
	v_and_b32_e32 v10, 0x1ffc, v10
	ds_add_u32 v5, v7 offset:9088
	ds_add_u32 v8, v7 offset:9088
	;; [unrolled: 1-line block ×4, first 2 shown]
	s_clause 0x1
	global_load_b128 v[8:11], v[16:17], off
	global_load_b128 v[20:23], v[3:4], off
	v_cndmask_b32_e64 v3, 0x7fe00000, 0, vcc_lo
	v_cmp_gt_i32_e32 vcc_lo, 0, v13
	s_delay_alu instid0(VALU_DEP_2) | instskip(SKIP_2) | instid1(VALU_DEP_3)
	v_xor_b32_e32 v3, v3, v12
	v_cndmask_b32_e64 v4, 0x7fe00000, 0, vcc_lo
	v_cmp_gt_i32_e32 vcc_lo, 0, v14
	v_lshrrev_b32_e32 v3, 19, v3
	s_delay_alu instid0(VALU_DEP_3) | instskip(SKIP_2) | instid1(VALU_DEP_4)
	v_xor_b32_e32 v4, v4, v13
	v_cndmask_b32_e64 v5, 0x7fe00000, 0, vcc_lo
	v_cmp_gt_i32_e32 vcc_lo, 0, v15
	v_and_b32_e32 v3, 0x1ffc, v3
	s_delay_alu instid0(VALU_DEP_4) | instskip(NEXT) | instid1(VALU_DEP_4)
	v_lshrrev_b32_e32 v4, 19, v4
	v_xor_b32_e32 v5, v5, v14
	v_cndmask_b32_e64 v16, 0x7fe00000, 0, vcc_lo
	s_delay_alu instid0(VALU_DEP_3) | instskip(NEXT) | instid1(VALU_DEP_3)
	v_and_b32_e32 v4, 0x1ffc, v4
	v_lshrrev_b32_e32 v5, 19, v5
	s_delay_alu instid0(VALU_DEP_3) | instskip(NEXT) | instid1(VALU_DEP_2)
	v_xor_b32_e32 v12, v16, v15
	v_and_b32_e32 v5, 0x1ffc, v5
	s_delay_alu instid0(VALU_DEP_2) | instskip(NEXT) | instid1(VALU_DEP_1)
	v_lshrrev_b32_e32 v12, 19, v12
	v_and_b32_e32 v12, 0x1ffc, v12
	ds_add_u32 v3, v7 offset:9088
	ds_add_u32 v4, v7 offset:9088
	ds_add_u32 v5, v7 offset:9088
	ds_add_u32 v12, v7 offset:9088
	s_waitcnt vmcnt(1)
	v_cmp_gt_i32_e32 vcc_lo, 0, v8
	v_cndmask_b32_e64 v3, 0x7fe00000, 0, vcc_lo
	v_cmp_gt_i32_e32 vcc_lo, 0, v9
	s_delay_alu instid0(VALU_DEP_2) | instskip(SKIP_2) | instid1(VALU_DEP_3)
	v_xor_b32_e32 v3, v3, v8
	v_cndmask_b32_e64 v4, 0x7fe00000, 0, vcc_lo
	v_cmp_gt_i32_e32 vcc_lo, 0, v10
	v_lshrrev_b32_e32 v3, 19, v3
	s_delay_alu instid0(VALU_DEP_3) | instskip(SKIP_2) | instid1(VALU_DEP_4)
	v_xor_b32_e32 v4, v4, v9
	v_cndmask_b32_e64 v5, 0x7fe00000, 0, vcc_lo
	v_cmp_gt_i32_e32 vcc_lo, 0, v11
	v_and_b32_e32 v3, 0x1ffc, v3
	s_delay_alu instid0(VALU_DEP_4) | instskip(NEXT) | instid1(VALU_DEP_4)
	v_lshrrev_b32_e32 v4, 19, v4
	v_xor_b32_e32 v5, v5, v10
	v_cndmask_b32_e64 v12, 0x7fe00000, 0, vcc_lo
	s_waitcnt vmcnt(0)
	v_cmp_gt_i32_e32 vcc_lo, 0, v20
	v_and_b32_e32 v4, 0x1ffc, v4
	v_lshrrev_b32_e32 v5, 19, v5
	v_xor_b32_e32 v8, v12, v11
	v_cndmask_b32_e64 v13, 0x7fe00000, 0, vcc_lo
	v_cmp_gt_i32_e32 vcc_lo, 0, v21
	s_delay_alu instid0(VALU_DEP_4) | instskip(NEXT) | instid1(VALU_DEP_4)
	v_and_b32_e32 v5, 0x1ffc, v5
	v_lshrrev_b32_e32 v8, 19, v8
	s_delay_alu instid0(VALU_DEP_4) | instskip(SKIP_2) | instid1(VALU_DEP_4)
	v_xor_b32_e32 v9, v13, v20
	v_cndmask_b32_e64 v14, 0x7fe00000, 0, vcc_lo
	v_cmp_gt_i32_e32 vcc_lo, 0, v22
	v_and_b32_e32 v8, 0x1ffc, v8
	s_delay_alu instid0(VALU_DEP_4) | instskip(NEXT) | instid1(VALU_DEP_4)
	v_lshrrev_b32_e32 v9, 19, v9
	v_xor_b32_e32 v10, v14, v21
	v_cndmask_b32_e64 v15, 0x7fe00000, 0, vcc_lo
	v_cmp_gt_i32_e32 vcc_lo, 0, v23
	s_delay_alu instid0(VALU_DEP_4) | instskip(NEXT) | instid1(VALU_DEP_4)
	v_and_b32_e32 v9, 0x1ffc, v9
	v_lshrrev_b32_e32 v10, 19, v10
	s_delay_alu instid0(VALU_DEP_4) | instskip(SKIP_1) | instid1(VALU_DEP_3)
	v_xor_b32_e32 v11, v15, v22
	v_cndmask_b32_e64 v16, 0x7fe00000, 0, vcc_lo
	v_and_b32_e32 v10, 0x1ffc, v10
	s_delay_alu instid0(VALU_DEP_3) | instskip(NEXT) | instid1(VALU_DEP_3)
	v_lshrrev_b32_e32 v11, 19, v11
	v_xor_b32_e32 v12, v16, v23
	s_delay_alu instid0(VALU_DEP_2) | instskip(NEXT) | instid1(VALU_DEP_2)
	v_and_b32_e32 v11, 0x1ffc, v11
	v_lshrrev_b32_e32 v12, 19, v12
	s_delay_alu instid0(VALU_DEP_1)
	v_and_b32_e32 v12, 0x1ffc, v12
	ds_add_u32 v3, v7 offset:9088
	ds_add_u32 v4, v7 offset:9088
	;; [unrolled: 1-line block ×8, first 2 shown]
	v_ashrrev_i32_e32 v3, 31, v2
	v_add_co_u32 v4, vcc_lo, s28, v2
	s_delay_alu instid0(VALU_DEP_2) | instskip(NEXT) | instid1(VALU_DEP_1)
	v_add_co_ci_u32_e32 v5, vcc_lo, 0, v3, vcc_lo
	v_cmp_le_u64_e32 vcc_lo, s[20:21], v[4:5]
	s_or_b32 s5, vcc_lo, s5
	s_delay_alu instid0(SALU_CYCLE_1)
	s_and_not1_b32 exec_lo, exec_lo, s5
	s_cbranch_execnz .LBB16_18
; %bb.19:
	s_or_b32 exec_lo, exec_lo, s5
.LBB16_20:
	s_delay_alu instid0(SALU_CYCLE_1) | instskip(NEXT) | instid1(SALU_CYCLE_1)
	s_or_b32 exec_lo, exec_lo, s4
	s_mov_b32 s4, exec_lo
	v_cmpx_gt_i32_e64 s20, v2
	s_cbranch_execz .LBB16_23
; %bb.21:
	v_mov_b32_e32 v4, 1
	s_mov_b32 s5, 0
.LBB16_22:                              ; =>This Inner Loop Header: Depth=1
	v_ashrrev_i32_e32 v3, 31, v2
	s_delay_alu instid0(VALU_DEP_1) | instskip(SKIP_1) | instid1(VALU_DEP_2)
	v_lshlrev_b64 v[7:8], 4, v[2:3]
	v_add_nc_u32_e32 v2, s25, v2
	v_add_co_u32 v7, vcc_lo, s9, v7
	s_delay_alu instid0(VALU_DEP_3)
	v_add_co_ci_u32_e32 v8, vcc_lo, s27, v8, vcc_lo
	global_load_b128 v[7:10], v[7:8], off
	s_waitcnt vmcnt(0)
	v_cmp_gt_i32_e32 vcc_lo, 0, v7
	v_cndmask_b32_e64 v3, 0x7fe00000, 0, vcc_lo
	v_cmp_gt_i32_e32 vcc_lo, 0, v8
	s_delay_alu instid0(VALU_DEP_2) | instskip(SKIP_2) | instid1(VALU_DEP_3)
	v_xor_b32_e32 v3, v3, v7
	v_cndmask_b32_e64 v5, 0x7fe00000, 0, vcc_lo
	v_cmp_gt_i32_e32 vcc_lo, 0, v9
	v_lshrrev_b32_e32 v3, 19, v3
	s_delay_alu instid0(VALU_DEP_3) | instskip(SKIP_2) | instid1(VALU_DEP_4)
	v_xor_b32_e32 v5, v5, v8
	v_cndmask_b32_e64 v11, 0x7fe00000, 0, vcc_lo
	v_cmp_gt_i32_e32 vcc_lo, 0, v10
	v_and_b32_e32 v3, 0x1ffc, v3
	s_delay_alu instid0(VALU_DEP_4) | instskip(NEXT) | instid1(VALU_DEP_4)
	v_lshrrev_b32_e32 v5, 19, v5
	v_xor_b32_e32 v7, v11, v9
	v_cndmask_b32_e64 v12, 0x7fe00000, 0, vcc_lo
	v_cmp_le_i32_e32 vcc_lo, s20, v2
	s_delay_alu instid0(VALU_DEP_4) | instskip(NEXT) | instid1(VALU_DEP_4)
	v_and_b32_e32 v5, 0x1ffc, v5
	v_lshrrev_b32_e32 v7, 19, v7
	s_delay_alu instid0(VALU_DEP_4) | instskip(SKIP_1) | instid1(VALU_DEP_2)
	v_xor_b32_e32 v8, v12, v10
	s_or_b32 s5, vcc_lo, s5
	v_and_b32_e32 v7, 0x1ffc, v7
	s_delay_alu instid0(VALU_DEP_2) | instskip(NEXT) | instid1(VALU_DEP_1)
	v_lshrrev_b32_e32 v8, 19, v8
	v_and_b32_e32 v8, 0x1ffc, v8
	ds_add_u32 v3, v4 offset:9088
	ds_add_u32 v5, v4 offset:9088
	;; [unrolled: 1-line block ×4, first 2 shown]
	s_and_not1_b32 exec_lo, exec_lo, s5
	s_cbranch_execnz .LBB16_22
.LBB16_23:
	s_or_b32 exec_lo, exec_lo, s4
	v_lshlrev_b32_e32 v2, 2, v0
	v_cmp_gt_u32_e64 s4, s6, v0
	s_delay_alu instid0(VALU_DEP_2) | instskip(NEXT) | instid1(VALU_DEP_1)
	v_add_co_u32 v20, s5, s24, v2
	v_add_co_ci_u32_e64 v21, null, s23, 0, s5
	s_delay_alu instid0(VALU_DEP_3)
	s_and_saveexec_b32 s5, s4
	s_cbranch_execz .LBB16_25
; %bb.24:
	global_load_b32 v2, v[20:21], off
	s_waitcnt vmcnt(0)
	v_cmp_gt_i32_e32 vcc_lo, 0, v2
	v_cndmask_b32_e64 v3, 0x7fe00000, 0, vcc_lo
	s_delay_alu instid0(VALU_DEP_1) | instskip(SKIP_1) | instid1(VALU_DEP_2)
	v_xor_b32_e32 v2, v3, v2
	v_mov_b32_e32 v3, 1
	v_lshrrev_b32_e32 v2, 19, v2
	s_delay_alu instid0(VALU_DEP_1)
	v_and_b32_e32 v2, 0x1ffc, v2
	ds_add_u32 v2, v3 offset:9088
.LBB16_25:
	s_or_b32 exec_lo, exec_lo, s5
	s_lshl_b32 s5, s20, 2
	s_delay_alu instid0(SALU_CYCLE_1) | instskip(NEXT) | instid1(VALU_DEP_1)
	v_add3_u32 v2, s5, s6, v0
	v_ashrrev_i32_e32 v3, 31, v2
	v_cmp_gt_i32_e64 s5, s22, v2
	s_delay_alu instid0(VALU_DEP_2) | instskip(NEXT) | instid1(VALU_DEP_1)
	v_lshlrev_b64 v[3:4], 2, v[2:3]
	v_add_co_u32 v22, vcc_lo, s24, v3
	s_delay_alu instid0(VALU_DEP_2) | instskip(NEXT) | instid1(VALU_DEP_4)
	v_add_co_ci_u32_e32 v23, vcc_lo, s23, v4, vcc_lo
	s_and_saveexec_b32 s6, s5
	s_cbranch_execz .LBB16_27
; %bb.26:
	global_load_b32 v2, v[22:23], off
	s_waitcnt vmcnt(0)
	v_cmp_gt_i32_e32 vcc_lo, 0, v2
	v_cndmask_b32_e64 v3, 0x7fe00000, 0, vcc_lo
	s_delay_alu instid0(VALU_DEP_1) | instskip(SKIP_1) | instid1(VALU_DEP_2)
	v_xor_b32_e32 v2, v3, v2
	v_mov_b32_e32 v3, 1
	v_lshrrev_b32_e32 v2, 19, v2
	s_delay_alu instid0(VALU_DEP_1)
	v_and_b32_e32 v2, 0x1ffc, v2
	ds_add_u32 v2, v3 offset:9088
.LBB16_27:
	s_or_b32 exec_lo, exec_lo, s6
	s_mov_b64 s[34:35], src_shared_base
	s_delay_alu instid0(SALU_CYCLE_1)
	v_dual_mov_b32 v17, s35 :: v_dual_add_nc_u32 v16, 0x3380, v6
	v_dual_mov_b32 v15, s35 :: v_dual_add_nc_u32 v14, 0x2380, v6
	s_waitcnt lgkmcnt(0)
	s_barrier
	buffer_gl0_inv
	flat_load_b32 v2, v[14:15] glc dlc
	s_waitcnt vmcnt(0)
	flat_load_b32 v3, v[16:17] glc dlc
	s_waitcnt vmcnt(0)
	v_or_b32_e32 v4, 0x400, v0
	v_lshrrev_b32_e32 v5, 3, v0
	v_lshlrev_b32_e32 v8, 1, v0
	v_lshrrev_b32_e32 v9, 4, v0
	v_cmp_gt_u32_e64 s6, 32, v0
	v_lshrrev_b32_e32 v4, 3, v4
	v_and_b32_e32 v5, 0x7c, v5
	s_delay_alu instid0(VALU_DEP_2) | instskip(NEXT) | instid1(VALU_DEP_2)
	v_and_b32_e32 v7, 0xfc, v4
	v_add_nc_u32_e32 v4, v6, v5
	s_delay_alu instid0(VALU_DEP_2)
	v_add_nc_u32_e32 v5, v7, v6
	v_add_lshl_u32 v7, v9, v8, 2
	v_mul_u32_u24_e32 v9, 33, v0
	s_waitcnt lgkmcnt(1)
	ds_store_b32 v4, v2 offset:640
	s_waitcnt lgkmcnt(1)
	ds_store_b32 v5, v3 offset:4736
	s_waitcnt lgkmcnt(0)
	s_barrier
	buffer_gl0_inv
	ds_load_2addr_b32 v[2:3], v7 offset0:160 offset1:161
	v_lshl_add_u32 v27, v9, 2, 0x280
	s_waitcnt lgkmcnt(0)
	s_barrier
	buffer_gl0_inv
	v_add_nc_u32_e32 v8, v3, v2
	ds_store_b32 v4, v8 offset:640
	s_waitcnt lgkmcnt(0)
	s_barrier
	buffer_gl0_inv
	s_and_saveexec_b32 s8, s6
	s_cbranch_execz .LBB16_29
; %bb.28:
	ds_load_2addr_b32 v[9:10], v27 offset1:1
	ds_load_2addr_b32 v[11:12], v27 offset0:2 offset1:3
	ds_load_2addr_b32 v[24:25], v27 offset0:4 offset1:5
	;; [unrolled: 1-line block ×3, first 2 shown]
	v_mbcnt_lo_u32_b32 v26, -1, 0
	ds_load_2addr_b32 v[32:33], v27 offset0:8 offset1:9
	ds_load_2addr_b32 v[34:35], v27 offset0:10 offset1:11
	;; [unrolled: 1-line block ×4, first 2 shown]
	v_and_b32_e32 v28, 15, v26
	ds_load_2addr_b32 v[40:41], v27 offset0:16 offset1:17
	ds_load_2addr_b32 v[42:43], v27 offset0:18 offset1:19
	;; [unrolled: 1-line block ×4, first 2 shown]
	v_cmp_ne_u32_e32 vcc_lo, 0, v28
	ds_load_2addr_b32 v[48:49], v27 offset0:24 offset1:25
	ds_load_2addr_b32 v[50:51], v27 offset0:26 offset1:27
	;; [unrolled: 1-line block ×4, first 2 shown]
	v_bfe_i32 v57, v26, 4, 1
	s_waitcnt lgkmcnt(15)
	v_add_nc_u32_e32 v13, v10, v9
	s_waitcnt lgkmcnt(14)
	s_delay_alu instid0(VALU_DEP_1) | instskip(SKIP_1) | instid1(VALU_DEP_1)
	v_add3_u32 v13, v13, v11, v12
	s_waitcnt lgkmcnt(13)
	v_add3_u32 v13, v13, v24, v25
	s_waitcnt lgkmcnt(12)
	s_delay_alu instid0(VALU_DEP_1) | instskip(SKIP_1) | instid1(VALU_DEP_1)
	v_add3_u32 v13, v13, v30, v31
	s_waitcnt lgkmcnt(11)
	v_add3_u32 v13, v13, v32, v33
	;; [unrolled: 5-line block ×7, first 2 shown]
	s_waitcnt lgkmcnt(0)
	s_delay_alu instid0(VALU_DEP_1) | instskip(NEXT) | instid1(VALU_DEP_1)
	v_add3_u32 v13, v13, v54, v55
	v_mov_b32_dpp v56, v13 row_shr:1 row_mask:0xf bank_mask:0xf
	s_delay_alu instid0(VALU_DEP_1) | instskip(SKIP_1) | instid1(VALU_DEP_2)
	v_cndmask_b32_e32 v56, 0, v56, vcc_lo
	v_cmp_lt_u32_e32 vcc_lo, 1, v28
	v_add_nc_u32_e32 v13, v56, v13
	s_delay_alu instid0(VALU_DEP_1) | instskip(NEXT) | instid1(VALU_DEP_1)
	v_mov_b32_dpp v56, v13 row_shr:2 row_mask:0xf bank_mask:0xf
	v_cndmask_b32_e32 v56, 0, v56, vcc_lo
	v_cmp_lt_u32_e32 vcc_lo, 3, v28
	s_delay_alu instid0(VALU_DEP_2) | instskip(NEXT) | instid1(VALU_DEP_1)
	v_add_nc_u32_e32 v13, v13, v56
	v_mov_b32_dpp v56, v13 row_shr:4 row_mask:0xf bank_mask:0xf
	s_delay_alu instid0(VALU_DEP_1) | instskip(SKIP_1) | instid1(VALU_DEP_2)
	v_cndmask_b32_e32 v56, 0, v56, vcc_lo
	v_cmp_lt_u32_e32 vcc_lo, 7, v28
	v_add_nc_u32_e32 v13, v13, v56
	s_delay_alu instid0(VALU_DEP_1) | instskip(NEXT) | instid1(VALU_DEP_1)
	v_mov_b32_dpp v56, v13 row_shr:8 row_mask:0xf bank_mask:0xf
	v_cndmask_b32_e32 v28, 0, v56, vcc_lo
	v_add_nc_u32_e32 v56, -1, v26
	s_delay_alu instid0(VALU_DEP_2) | instskip(NEXT) | instid1(VALU_DEP_2)
	v_add_nc_u32_e32 v13, v13, v28
	v_cmp_gt_i32_e32 vcc_lo, 0, v56
	ds_swizzle_b32 v28, v13 offset:swizzle(BROADCAST,32,15)
	v_cndmask_b32_e32 v26, v56, v26, vcc_lo
	s_delay_alu instid0(VALU_DEP_1) | instskip(SKIP_2) | instid1(VALU_DEP_1)
	v_lshlrev_b32_e32 v26, 2, v26
	s_waitcnt lgkmcnt(0)
	v_and_b32_e32 v28, v57, v28
	v_add_nc_u32_e32 v13, v13, v28
	ds_bpermute_b32 v13, v26, v13
	s_waitcnt lgkmcnt(0)
	v_add_nc_u32_e32 v9, v13, v9
	s_delay_alu instid0(VALU_DEP_1) | instskip(NEXT) | instid1(VALU_DEP_1)
	v_cndmask_b32_e64 v8, v9, v8, s2
	v_add_nc_u32_e32 v9, v8, v10
	s_delay_alu instid0(VALU_DEP_1) | instskip(NEXT) | instid1(VALU_DEP_1)
	v_add_nc_u32_e32 v10, v9, v11
	v_add_nc_u32_e32 v11, v10, v12
	s_delay_alu instid0(VALU_DEP_1) | instskip(NEXT) | instid1(VALU_DEP_1)
	v_add_nc_u32_e32 v12, v11, v24
	;; [unrolled: 3-line block ×3, first 2 shown]
	v_add_nc_u32_e32 v25, v24, v31
	ds_store_2addr_b32 v27, v8, v9 offset1:1
	ds_store_2addr_b32 v27, v10, v11 offset0:2 offset1:3
	ds_store_2addr_b32 v27, v12, v13 offset0:4 offset1:5
	;; [unrolled: 1-line block ×3, first 2 shown]
	v_add_nc_u32_e32 v26, v25, v32
	s_delay_alu instid0(VALU_DEP_1) | instskip(NEXT) | instid1(VALU_DEP_1)
	v_add_nc_u32_e32 v28, v26, v33
	v_add_nc_u32_e32 v30, v28, v34
	s_delay_alu instid0(VALU_DEP_1) | instskip(NEXT) | instid1(VALU_DEP_1)
	v_add_nc_u32_e32 v31, v30, v35
	;; [unrolled: 3-line block ×3, first 2 shown]
	v_add_nc_u32_e32 v34, v33, v38
	s_delay_alu instid0(VALU_DEP_1)
	v_add_nc_u32_e32 v35, v34, v39
	ds_store_2addr_b32 v27, v26, v28 offset0:8 offset1:9
	ds_store_2addr_b32 v27, v30, v31 offset0:10 offset1:11
	;; [unrolled: 1-line block ×4, first 2 shown]
	v_add_nc_u32_e32 v36, v35, v40
	s_delay_alu instid0(VALU_DEP_1) | instskip(NEXT) | instid1(VALU_DEP_1)
	v_add_nc_u32_e32 v37, v36, v41
	v_add_nc_u32_e32 v38, v37, v42
	s_delay_alu instid0(VALU_DEP_1) | instskip(NEXT) | instid1(VALU_DEP_1)
	v_add_nc_u32_e32 v39, v38, v43
	;; [unrolled: 3-line block ×7, first 2 shown]
	v_add_nc_u32_e32 v8, v49, v54
	s_delay_alu instid0(VALU_DEP_1)
	v_add_nc_u32_e32 v9, v8, v55
	ds_store_2addr_b32 v27, v36, v37 offset0:16 offset1:17
	ds_store_2addr_b32 v27, v38, v39 offset0:18 offset1:19
	;; [unrolled: 1-line block ×8, first 2 shown]
.LBB16_29:
	s_or_b32 exec_lo, exec_lo, s8
	v_add_nc_u32_e32 v8, -1, v0
	v_add_nc_u32_e32 v31, 0x280, v5
	v_dual_mov_b32 v5, 0 :: v_dual_add_nc_u32 v30, 0x280, v4
	v_mov_b32_e32 v4, 0
	s_delay_alu instid0(VALU_DEP_4)
	v_lshrrev_b32_e32 v9, 5, v8
	v_add_nc_u32_e32 v32, 0x280, v7
	s_waitcnt lgkmcnt(0)
	s_barrier
	buffer_gl0_inv
	v_add_nc_u32_e32 v8, v9, v8
	s_delay_alu instid0(VALU_DEP_1)
	v_lshl_add_u32 v33, v8, 2, 0x280
	s_and_saveexec_b32 s8, s3
	s_cbranch_execz .LBB16_31
; %bb.30:
	ds_load_b32 v5, v33
.LBB16_31:
	s_or_b32 exec_lo, exec_lo, s8
	v_add_nc_u32_e32 v28, 0x237c, v6
	s_waitcnt lgkmcnt(0)
	v_add_nc_u32_e32 v2, v5, v2
	s_barrier
	buffer_gl0_inv
	v_mov_b32_e32 v5, v28
	v_dual_mov_b32 v6, v0 :: v_dual_add_nc_u32 v3, v2, v3
	s_lshl_b32 s35, s25, 21
	s_mov_b32 s34, 0
	ds_store_2addr_b32 v32, v2, v3 offset1:1
	s_waitcnt lgkmcnt(0)
	s_barrier
	buffer_gl0_inv
	ds_load_b32 v2, v30
	ds_load_b32 v3, v31 offset:4096
	s_waitcnt lgkmcnt(1)
	flat_store_b32 v[14:15], v2 dlc
	s_waitcnt_vscnt null, 0x0
	s_waitcnt lgkmcnt(1)
	flat_store_b32 v[16:17], v3 dlc
	s_waitcnt_vscnt null, 0x0
	s_waitcnt lgkmcnt(0)
	s_barrier
	buffer_gl0_inv
	ds_load_b32 v2, v4 offset:12
	v_lshlrev_b32_e32 v3, 21, v0
	s_set_inst_prefetch_distance 0x1
	s_branch .LBB16_33
	.p2align	6
.LBB16_32:                              ;   in Loop: Header=BB16_33 Depth=1
	s_or_b32 exec_lo, exec_lo, s8
	v_add_nc_u32_e32 v6, s25, v6
	v_add_nc_u32_e32 v5, s26, v5
	;; [unrolled: 1-line block ×3, first 2 shown]
	s_delay_alu instid0(VALU_DEP_3) | instskip(SKIP_1) | instid1(SALU_CYCLE_1)
	v_cmp_lt_u32_e32 vcc_lo, 0x7ff, v6
	s_or_b32 s34, vcc_lo, s34
	s_and_not1_b32 exec_lo, exec_lo, s34
	s_cbranch_execz .LBB16_37
.LBB16_33:                              ; =>This Inner Loop Header: Depth=1
	v_mov_b32_e32 v7, 0
	s_mov_b32 s8, exec_lo
	v_cmpx_ne_u32_e32 0, v6
	s_cbranch_execz .LBB16_35
; %bb.34:                               ;   in Loop: Header=BB16_33 Depth=1
	ds_load_b32 v7, v5
.LBB16_35:                              ;   in Loop: Header=BB16_33 Depth=1
	s_or_b32 exec_lo, exec_lo, s8
	ds_load_b32 v8, v5 offset:4
	s_waitcnt lgkmcnt(1)
	v_cmp_gt_i32_e32 vcc_lo, s14, v7
	s_waitcnt lgkmcnt(0)
	v_cmp_le_i32_e64 s8, s14, v8
	s_delay_alu instid0(VALU_DEP_1) | instskip(NEXT) | instid1(SALU_CYCLE_1)
	s_and_b32 s36, vcc_lo, s8
	s_and_saveexec_b32 s8, s36
	s_cbranch_execz .LBB16_32
; %bb.36:                               ;   in Loop: Header=BB16_33 Depth=1
	v_sub_nc_u32_e32 v9, s14, v7
	v_sub_nc_u32_e32 v10, v8, v7
	v_or_b32_e32 v2, v2, v3
	ds_store_b64 v4, v[9:10]
	ds_store_b32 v4, v2 offset:12
	s_branch .LBB16_32
.LBB16_37:
	s_set_inst_prefetch_distance 0x2
	s_or_b32 exec_lo, exec_lo, s34
	s_and_saveexec_b32 s8, s2
	s_cbranch_execz .LBB16_39
; %bb.38:
	v_mov_b32_e32 v2, 0
	ds_load_b32 v3, v2 offset:4
	s_waitcnt lgkmcnt(0)
	ds_store_b32 v2, v3 offset:8
.LBB16_39:
	s_or_b32 exec_lo, exec_lo, s8
	v_mov_b32_e32 v2, 0
	s_waitcnt lgkmcnt(0)
	s_barrier
	buffer_gl0_inv
	s_mov_b32 s34, 0
	ds_load_b64 v[24:25], v2
	s_waitcnt lgkmcnt(0)
	v_cmp_eq_u32_e32 vcc_lo, v25, v24
	s_cbranch_vccnz .LBB16_181
; %bb.40:
	v_dual_mov_b32 v3, v29 :: v_dual_mov_b32 v4, v0
	s_mov_b32 s8, 0
.LBB16_41:                              ; =>This Inner Loop Header: Depth=1
	s_delay_alu instid0(VALU_DEP_1) | instskip(SKIP_4) | instid1(SALU_CYCLE_1)
	v_add_nc_u32_e32 v4, s25, v4
	ds_store_b32 v3, v2
	v_add_nc_u32_e32 v3, s26, v3
	v_cmp_lt_u32_e32 vcc_lo, 0x7ff, v4
	s_or_b32 s8, vcc_lo, s8
	s_and_not1_b32 exec_lo, exec_lo, s8
	s_cbranch_execnz .LBB16_41
; %bb.42:
	s_or_b32 exec_lo, exec_lo, s8
	s_and_saveexec_b32 s8, s2
	s_cbranch_execz .LBB16_44
; %bb.43:
	v_mov_b32_e32 v2, 0
	ds_store_b32 v2, v2 offset:128
.LBB16_44:
	s_or_b32 exec_lo, exec_lo, s8
	v_dual_mov_b32 v2, 0 :: v_dual_mov_b32 v25, v0
	s_waitcnt lgkmcnt(0)
	s_barrier
	buffer_gl0_inv
	ds_load_b32 v34, v2 offset:12
	s_and_saveexec_b32 s8, s7
	s_cbranch_execz .LBB16_81
; %bb.45:
	v_dual_mov_b32 v35, 1 :: v_dual_mov_b32 v10, v18
	v_dual_mov_b32 v11, v19 :: v_dual_mov_b32 v26, v1
	v_mov_b32_e32 v25, v0
	s_mov_b32 s34, 0
	s_branch .LBB16_47
.LBB16_46:                              ;   in Loop: Header=BB16_47 Depth=1
	s_or_b32 exec_lo, exec_lo, s35
	v_add_nc_u32_e32 v25, s26, v25
	s_delay_alu instid0(VALU_DEP_1) | instskip(SKIP_1) | instid1(VALU_DEP_2)
	v_ashrrev_i32_e32 v26, 31, v25
	v_add_co_u32 v10, vcc_lo, s28, v25
	v_add_co_ci_u32_e32 v11, vcc_lo, 0, v26, vcc_lo
	s_delay_alu instid0(VALU_DEP_1) | instskip(SKIP_1) | instid1(SALU_CYCLE_1)
	v_cmp_le_u64_e32 vcc_lo, s[20:21], v[10:11]
	s_or_b32 s34, vcc_lo, s34
	s_and_not1_b32 exec_lo, exec_lo, s34
	s_cbranch_execz .LBB16_80
.LBB16_47:                              ; =>This Inner Loop Header: Depth=1
	s_delay_alu instid0(VALU_DEP_1) | instskip(SKIP_1) | instid1(VALU_DEP_1)
	v_lshlrev_b64 v[12:13], 4, v[25:26]
	s_mov_b32 s35, exec_lo
	v_add_co_u32 v2, vcc_lo, s9, v12
	s_delay_alu instid0(VALU_DEP_2)
	v_add_co_ci_u32_e32 v3, vcc_lo, s27, v13, vcc_lo
	v_add_co_u32 v6, vcc_lo, s29, v12
	v_add_co_ci_u32_e32 v7, vcc_lo, s30, v13, vcc_lo
	s_clause 0x1
	global_load_b128 v[2:5], v[2:3], off
	global_load_b128 v[6:9], v[6:7], off
	s_waitcnt vmcnt(1)
	v_cmp_gt_i32_e32 vcc_lo, 0, v2
	v_cndmask_b32_e64 v26, 0x7fffffff, 0, vcc_lo
	s_delay_alu instid0(VALU_DEP_1) | instskip(NEXT) | instid1(VALU_DEP_1)
	v_xor_b32_e32 v2, v26, v2
	v_and_b32_e32 v26, 0xffe00000, v2
	s_waitcnt lgkmcnt(0)
	s_delay_alu instid0(VALU_DEP_1)
	v_cmpx_eq_u32_e64 v26, v34
	s_cbranch_execz .LBB16_49
; %bb.48:                               ;   in Loop: Header=BB16_47 Depth=1
	v_lshrrev_b32_e32 v2, 8, v2
	s_delay_alu instid0(VALU_DEP_1)
	v_and_b32_e32 v2, 0x1ffc, v2
	ds_add_u32 v2, v35 offset:9088
.LBB16_49:                              ;   in Loop: Header=BB16_47 Depth=1
	s_or_b32 exec_lo, exec_lo, s35
	v_cmp_gt_i32_e32 vcc_lo, 0, v3
	s_mov_b32 s35, exec_lo
	v_cndmask_b32_e64 v2, 0x7fffffff, 0, vcc_lo
	s_delay_alu instid0(VALU_DEP_1) | instskip(NEXT) | instid1(VALU_DEP_1)
	v_xor_b32_e32 v2, v2, v3
	v_and_b32_e32 v3, 0xffe00000, v2
	s_delay_alu instid0(VALU_DEP_1)
	v_cmpx_eq_u32_e64 v3, v34
	s_cbranch_execz .LBB16_51
; %bb.50:                               ;   in Loop: Header=BB16_47 Depth=1
	v_lshrrev_b32_e32 v2, 8, v2
	s_delay_alu instid0(VALU_DEP_1)
	v_and_b32_e32 v2, 0x1ffc, v2
	ds_add_u32 v2, v35 offset:9088
.LBB16_51:                              ;   in Loop: Header=BB16_47 Depth=1
	s_or_b32 exec_lo, exec_lo, s35
	v_cmp_gt_i32_e32 vcc_lo, 0, v4
	s_mov_b32 s35, exec_lo
	v_cndmask_b32_e64 v2, 0x7fffffff, 0, vcc_lo
	s_delay_alu instid0(VALU_DEP_1) | instskip(NEXT) | instid1(VALU_DEP_1)
	v_xor_b32_e32 v2, v2, v4
	v_and_b32_e32 v3, 0xffe00000, v2
	;; [unrolled: 16-line block ×3, first 2 shown]
	s_delay_alu instid0(VALU_DEP_1)
	v_cmpx_eq_u32_e64 v3, v34
	s_cbranch_execz .LBB16_55
; %bb.54:                               ;   in Loop: Header=BB16_47 Depth=1
	v_lshrrev_b32_e32 v2, 8, v2
	s_delay_alu instid0(VALU_DEP_1)
	v_and_b32_e32 v2, 0x1ffc, v2
	ds_add_u32 v2, v35 offset:9088
.LBB16_55:                              ;   in Loop: Header=BB16_47 Depth=1
	s_or_b32 exec_lo, exec_lo, s35
	v_lshlrev_b64 v[2:3], 4, v[10:11]
	v_add_co_u32 v4, vcc_lo, s31, v12
	v_add_co_ci_u32_e32 v5, vcc_lo, s33, v13, vcc_lo
	s_mov_b32 s35, exec_lo
	s_delay_alu instid0(VALU_DEP_3) | instskip(NEXT) | instid1(VALU_DEP_4)
	v_add_co_u32 v2, vcc_lo, s9, v2
	v_add_co_ci_u32_e32 v3, vcc_lo, s27, v3, vcc_lo
	s_waitcnt vmcnt(0)
	v_cmp_gt_i32_e32 vcc_lo, 0, v6
	s_clause 0x1
	global_load_b128 v[10:13], v[4:5], off
	global_load_b128 v[2:5], v[2:3], off
	v_cndmask_b32_e64 v26, 0x7fffffff, 0, vcc_lo
	s_delay_alu instid0(VALU_DEP_1) | instskip(NEXT) | instid1(VALU_DEP_1)
	v_xor_b32_e32 v6, v26, v6
	v_and_b32_e32 v26, 0xffe00000, v6
	s_delay_alu instid0(VALU_DEP_1)
	v_cmpx_eq_u32_e64 v26, v34
	s_cbranch_execz .LBB16_57
; %bb.56:                               ;   in Loop: Header=BB16_47 Depth=1
	v_lshrrev_b32_e32 v6, 8, v6
	s_delay_alu instid0(VALU_DEP_1)
	v_and_b32_e32 v6, 0x1ffc, v6
	ds_add_u32 v6, v35 offset:9088
.LBB16_57:                              ;   in Loop: Header=BB16_47 Depth=1
	s_or_b32 exec_lo, exec_lo, s35
	v_cmp_gt_i32_e32 vcc_lo, 0, v7
	s_mov_b32 s35, exec_lo
	v_cndmask_b32_e64 v6, 0x7fffffff, 0, vcc_lo
	s_delay_alu instid0(VALU_DEP_1) | instskip(NEXT) | instid1(VALU_DEP_1)
	v_xor_b32_e32 v6, v6, v7
	v_and_b32_e32 v7, 0xffe00000, v6
	s_delay_alu instid0(VALU_DEP_1)
	v_cmpx_eq_u32_e64 v7, v34
	s_cbranch_execz .LBB16_59
; %bb.58:                               ;   in Loop: Header=BB16_47 Depth=1
	v_lshrrev_b32_e32 v6, 8, v6
	s_delay_alu instid0(VALU_DEP_1)
	v_and_b32_e32 v6, 0x1ffc, v6
	ds_add_u32 v6, v35 offset:9088
.LBB16_59:                              ;   in Loop: Header=BB16_47 Depth=1
	s_or_b32 exec_lo, exec_lo, s35
	v_cmp_gt_i32_e32 vcc_lo, 0, v8
	s_mov_b32 s35, exec_lo
	;; [unrolled: 16-line block ×3, first 2 shown]
	v_cndmask_b32_e64 v6, 0x7fffffff, 0, vcc_lo
	s_delay_alu instid0(VALU_DEP_1) | instskip(NEXT) | instid1(VALU_DEP_1)
	v_xor_b32_e32 v6, v6, v9
	v_and_b32_e32 v7, 0xffe00000, v6
	s_delay_alu instid0(VALU_DEP_1)
	v_cmpx_eq_u32_e64 v7, v34
	s_cbranch_execz .LBB16_63
; %bb.62:                               ;   in Loop: Header=BB16_47 Depth=1
	v_lshrrev_b32_e32 v6, 8, v6
	s_delay_alu instid0(VALU_DEP_1)
	v_and_b32_e32 v6, 0x1ffc, v6
	ds_add_u32 v6, v35 offset:9088
.LBB16_63:                              ;   in Loop: Header=BB16_47 Depth=1
	s_or_b32 exec_lo, exec_lo, s35
	s_waitcnt vmcnt(1)
	v_cmp_gt_i32_e32 vcc_lo, 0, v10
	s_mov_b32 s35, exec_lo
	v_cndmask_b32_e64 v6, 0x7fffffff, 0, vcc_lo
	s_delay_alu instid0(VALU_DEP_1) | instskip(NEXT) | instid1(VALU_DEP_1)
	v_xor_b32_e32 v6, v6, v10
	v_and_b32_e32 v7, 0xffe00000, v6
	s_delay_alu instid0(VALU_DEP_1)
	v_cmpx_eq_u32_e64 v7, v34
	s_cbranch_execz .LBB16_65
; %bb.64:                               ;   in Loop: Header=BB16_47 Depth=1
	v_lshrrev_b32_e32 v6, 8, v6
	s_delay_alu instid0(VALU_DEP_1)
	v_and_b32_e32 v6, 0x1ffc, v6
	ds_add_u32 v6, v35 offset:9088
.LBB16_65:                              ;   in Loop: Header=BB16_47 Depth=1
	s_or_b32 exec_lo, exec_lo, s35
	v_cmp_gt_i32_e32 vcc_lo, 0, v11
	s_mov_b32 s35, exec_lo
	v_cndmask_b32_e64 v6, 0x7fffffff, 0, vcc_lo
	s_delay_alu instid0(VALU_DEP_1) | instskip(NEXT) | instid1(VALU_DEP_1)
	v_xor_b32_e32 v6, v6, v11
	v_and_b32_e32 v7, 0xffe00000, v6
	s_delay_alu instid0(VALU_DEP_1)
	v_cmpx_eq_u32_e64 v7, v34
	s_cbranch_execz .LBB16_67
; %bb.66:                               ;   in Loop: Header=BB16_47 Depth=1
	v_lshrrev_b32_e32 v6, 8, v6
	s_delay_alu instid0(VALU_DEP_1)
	v_and_b32_e32 v6, 0x1ffc, v6
	ds_add_u32 v6, v35 offset:9088
.LBB16_67:                              ;   in Loop: Header=BB16_47 Depth=1
	s_or_b32 exec_lo, exec_lo, s35
	;; [unrolled: 16-line block ×4, first 2 shown]
	s_waitcnt vmcnt(0)
	v_cmp_gt_i32_e32 vcc_lo, 0, v2
	s_mov_b32 s35, exec_lo
	v_cndmask_b32_e64 v6, 0x7fffffff, 0, vcc_lo
	s_delay_alu instid0(VALU_DEP_1) | instskip(NEXT) | instid1(VALU_DEP_1)
	v_xor_b32_e32 v2, v6, v2
	v_and_b32_e32 v6, 0xffe00000, v2
	s_delay_alu instid0(VALU_DEP_1)
	v_cmpx_eq_u32_e64 v6, v34
	s_cbranch_execz .LBB16_73
; %bb.72:                               ;   in Loop: Header=BB16_47 Depth=1
	v_lshrrev_b32_e32 v2, 8, v2
	s_delay_alu instid0(VALU_DEP_1)
	v_and_b32_e32 v2, 0x1ffc, v2
	ds_add_u32 v2, v35 offset:9088
.LBB16_73:                              ;   in Loop: Header=BB16_47 Depth=1
	s_or_b32 exec_lo, exec_lo, s35
	v_cmp_gt_i32_e32 vcc_lo, 0, v3
	s_mov_b32 s35, exec_lo
	v_cndmask_b32_e64 v2, 0x7fffffff, 0, vcc_lo
	s_delay_alu instid0(VALU_DEP_1) | instskip(NEXT) | instid1(VALU_DEP_1)
	v_xor_b32_e32 v2, v2, v3
	v_and_b32_e32 v3, 0xffe00000, v2
	s_delay_alu instid0(VALU_DEP_1)
	v_cmpx_eq_u32_e64 v3, v34
	s_cbranch_execz .LBB16_75
; %bb.74:                               ;   in Loop: Header=BB16_47 Depth=1
	v_lshrrev_b32_e32 v2, 8, v2
	s_delay_alu instid0(VALU_DEP_1)
	v_and_b32_e32 v2, 0x1ffc, v2
	ds_add_u32 v2, v35 offset:9088
.LBB16_75:                              ;   in Loop: Header=BB16_47 Depth=1
	s_or_b32 exec_lo, exec_lo, s35
	;; [unrolled: 16-line block ×3, first 2 shown]
	v_cmp_gt_i32_e32 vcc_lo, 0, v5
	s_mov_b32 s35, exec_lo
	v_cndmask_b32_e64 v2, 0x7fffffff, 0, vcc_lo
	s_delay_alu instid0(VALU_DEP_1) | instskip(NEXT) | instid1(VALU_DEP_1)
	v_xor_b32_e32 v2, v2, v5
	v_and_b32_e32 v3, 0xffe00000, v2
	s_delay_alu instid0(VALU_DEP_1)
	v_cmpx_eq_u32_e64 v3, v34
	s_cbranch_execz .LBB16_46
; %bb.78:                               ;   in Loop: Header=BB16_47 Depth=1
	v_lshrrev_b32_e32 v2, 8, v2
	s_delay_alu instid0(VALU_DEP_1)
	v_and_b32_e32 v2, 0x1ffc, v2
	ds_add_u32 v2, v35 offset:9088
	s_branch .LBB16_46
.LBB16_79:
                                        ; implicit-def: $sgpr4_sgpr5
	s_branch .LBB16_2
.LBB16_80:
	s_or_b32 exec_lo, exec_lo, s34
.LBB16_81:
	s_delay_alu instid0(SALU_CYCLE_1) | instskip(NEXT) | instid1(SALU_CYCLE_1)
	s_or_b32 exec_lo, exec_lo, s8
	s_mov_b32 s8, exec_lo
	v_cmpx_gt_i32_e64 s20, v25
	s_cbranch_execz .LBB16_92
; %bb.82:
	v_mov_b32_e32 v6, 1
	s_mov_b32 s34, 0
	s_branch .LBB16_84
.LBB16_83:                              ;   in Loop: Header=BB16_84 Depth=1
	s_or_b32 exec_lo, exec_lo, s35
	v_add_nc_u32_e32 v25, s25, v25
	s_delay_alu instid0(VALU_DEP_1) | instskip(SKIP_1) | instid1(SALU_CYCLE_1)
	v_cmp_le_i32_e32 vcc_lo, s20, v25
	s_or_b32 s34, vcc_lo, s34
	s_and_not1_b32 exec_lo, exec_lo, s34
	s_cbranch_execz .LBB16_92
.LBB16_84:                              ; =>This Inner Loop Header: Depth=1
	v_ashrrev_i32_e32 v26, 31, v25
	s_mov_b32 s35, exec_lo
	s_delay_alu instid0(VALU_DEP_1) | instskip(NEXT) | instid1(VALU_DEP_1)
	v_lshlrev_b64 v[2:3], 4, v[25:26]
	v_add_co_u32 v2, vcc_lo, s9, v2
	s_delay_alu instid0(VALU_DEP_2) | instskip(SKIP_4) | instid1(VALU_DEP_1)
	v_add_co_ci_u32_e32 v3, vcc_lo, s27, v3, vcc_lo
	global_load_b128 v[2:5], v[2:3], off
	s_waitcnt vmcnt(0)
	v_cmp_gt_i32_e32 vcc_lo, 0, v2
	v_cndmask_b32_e64 v7, 0x7fffffff, 0, vcc_lo
	v_xor_b32_e32 v2, v7, v2
	s_delay_alu instid0(VALU_DEP_1) | instskip(SKIP_1) | instid1(VALU_DEP_1)
	v_and_b32_e32 v7, 0xffe00000, v2
	s_waitcnt lgkmcnt(0)
	v_cmpx_eq_u32_e64 v7, v34
	s_cbranch_execz .LBB16_86
; %bb.85:                               ;   in Loop: Header=BB16_84 Depth=1
	v_lshrrev_b32_e32 v2, 8, v2
	s_delay_alu instid0(VALU_DEP_1)
	v_and_b32_e32 v2, 0x1ffc, v2
	ds_add_u32 v2, v6 offset:9088
.LBB16_86:                              ;   in Loop: Header=BB16_84 Depth=1
	s_or_b32 exec_lo, exec_lo, s35
	v_cmp_gt_i32_e32 vcc_lo, 0, v3
	s_mov_b32 s35, exec_lo
	v_cndmask_b32_e64 v2, 0x7fffffff, 0, vcc_lo
	s_delay_alu instid0(VALU_DEP_1) | instskip(NEXT) | instid1(VALU_DEP_1)
	v_xor_b32_e32 v2, v2, v3
	v_and_b32_e32 v3, 0xffe00000, v2
	s_delay_alu instid0(VALU_DEP_1)
	v_cmpx_eq_u32_e64 v3, v34
	s_cbranch_execz .LBB16_88
; %bb.87:                               ;   in Loop: Header=BB16_84 Depth=1
	v_lshrrev_b32_e32 v2, 8, v2
	s_delay_alu instid0(VALU_DEP_1)
	v_and_b32_e32 v2, 0x1ffc, v2
	ds_add_u32 v2, v6 offset:9088
.LBB16_88:                              ;   in Loop: Header=BB16_84 Depth=1
	s_or_b32 exec_lo, exec_lo, s35
	v_cmp_gt_i32_e32 vcc_lo, 0, v4
	s_mov_b32 s35, exec_lo
	v_cndmask_b32_e64 v2, 0x7fffffff, 0, vcc_lo
	s_delay_alu instid0(VALU_DEP_1) | instskip(NEXT) | instid1(VALU_DEP_1)
	v_xor_b32_e32 v2, v2, v4
	v_and_b32_e32 v3, 0xffe00000, v2
	s_delay_alu instid0(VALU_DEP_1)
	;; [unrolled: 16-line block ×3, first 2 shown]
	v_cmpx_eq_u32_e64 v3, v34
	s_cbranch_execz .LBB16_83
; %bb.91:                               ;   in Loop: Header=BB16_84 Depth=1
	v_lshrrev_b32_e32 v2, 8, v2
	s_delay_alu instid0(VALU_DEP_1)
	v_and_b32_e32 v2, 0x1ffc, v2
	ds_add_u32 v2, v6 offset:9088
	s_branch .LBB16_83
.LBB16_92:
	s_or_b32 exec_lo, exec_lo, s8
	s_and_saveexec_b32 s8, s4
	s_cbranch_execz .LBB16_95
; %bb.93:
	global_load_b32 v2, v[20:21], off
	s_waitcnt vmcnt(0)
	v_cmp_gt_i32_e32 vcc_lo, 0, v2
	v_cndmask_b32_e64 v3, 0x7fffffff, 0, vcc_lo
	s_delay_alu instid0(VALU_DEP_1) | instskip(NEXT) | instid1(VALU_DEP_1)
	v_xor_b32_e32 v2, v3, v2
	v_and_b32_e32 v3, 0xffe00000, v2
	s_waitcnt lgkmcnt(0)
	s_delay_alu instid0(VALU_DEP_1)
	v_cmp_eq_u32_e32 vcc_lo, v3, v34
	s_and_b32 exec_lo, exec_lo, vcc_lo
	s_cbranch_execz .LBB16_95
; %bb.94:
	v_lshrrev_b32_e32 v2, 8, v2
	s_delay_alu instid0(VALU_DEP_1)
	v_dual_mov_b32 v3, 1 :: v_dual_and_b32 v2, 0x1ffc, v2
	ds_add_u32 v2, v3 offset:9088
.LBB16_95:
	s_or_b32 exec_lo, exec_lo, s8
	s_and_saveexec_b32 s8, s5
	s_cbranch_execz .LBB16_98
; %bb.96:
	global_load_b32 v2, v[22:23], off
	s_waitcnt vmcnt(0)
	v_cmp_gt_i32_e32 vcc_lo, 0, v2
	v_cndmask_b32_e64 v3, 0x7fffffff, 0, vcc_lo
	s_delay_alu instid0(VALU_DEP_1) | instskip(NEXT) | instid1(VALU_DEP_1)
	v_xor_b32_e32 v2, v3, v2
	v_and_b32_e32 v3, 0xffe00000, v2
	s_waitcnt lgkmcnt(0)
	s_delay_alu instid0(VALU_DEP_1)
	v_cmp_eq_u32_e32 vcc_lo, v3, v34
	s_and_b32 exec_lo, exec_lo, vcc_lo
	s_cbranch_execz .LBB16_98
; %bb.97:
	v_lshrrev_b32_e32 v2, 8, v2
	s_delay_alu instid0(VALU_DEP_1)
	v_dual_mov_b32 v3, 1 :: v_dual_and_b32 v2, 0x1ffc, v2
	ds_add_u32 v2, v3 offset:9088
.LBB16_98:
	s_or_b32 exec_lo, exec_lo, s8
	s_waitcnt lgkmcnt(0)
	s_barrier
	buffer_gl0_inv
	flat_load_b32 v2, v[14:15] glc dlc
	s_waitcnt vmcnt(0)
	flat_load_b32 v3, v[16:17] glc dlc
	s_waitcnt vmcnt(0) lgkmcnt(1)
	ds_store_b32 v30, v2
	s_waitcnt lgkmcnt(1)
	ds_store_b32 v31, v3 offset:4096
	s_waitcnt lgkmcnt(0)
	s_barrier
	buffer_gl0_inv
	ds_load_2addr_b32 v[2:3], v32 offset1:1
	s_waitcnt lgkmcnt(0)
	s_barrier
	buffer_gl0_inv
	v_add_nc_u32_e32 v4, v3, v2
	ds_store_b32 v30, v4
	s_waitcnt lgkmcnt(0)
	s_barrier
	buffer_gl0_inv
	s_and_saveexec_b32 s8, s6
	s_cbranch_execz .LBB16_100
; %bb.99:
	ds_load_2addr_b32 v[5:6], v27 offset1:1
	ds_load_2addr_b32 v[7:8], v27 offset0:2 offset1:3
	ds_load_2addr_b32 v[9:10], v27 offset0:4 offset1:5
	;; [unrolled: 1-line block ×3, first 2 shown]
	v_mbcnt_lo_u32_b32 v56, -1, 0
	ds_load_2addr_b32 v[25:26], v27 offset0:8 offset1:9
	ds_load_2addr_b32 v[34:35], v27 offset0:10 offset1:11
	;; [unrolled: 1-line block ×4, first 2 shown]
	v_and_b32_e32 v57, 15, v56
	ds_load_2addr_b32 v[40:41], v27 offset0:16 offset1:17
	ds_load_2addr_b32 v[42:43], v27 offset0:18 offset1:19
	;; [unrolled: 1-line block ×4, first 2 shown]
	v_cmp_ne_u32_e32 vcc_lo, 0, v57
	ds_load_2addr_b32 v[48:49], v27 offset0:24 offset1:25
	ds_load_2addr_b32 v[50:51], v27 offset0:26 offset1:27
	;; [unrolled: 1-line block ×4, first 2 shown]
	v_bfe_i32 v59, v56, 4, 1
	s_waitcnt lgkmcnt(15)
	v_add_nc_u32_e32 v13, v6, v5
	s_waitcnt lgkmcnt(14)
	s_delay_alu instid0(VALU_DEP_1) | instskip(SKIP_1) | instid1(VALU_DEP_1)
	v_add3_u32 v13, v13, v7, v8
	s_waitcnt lgkmcnt(13)
	v_add3_u32 v13, v13, v9, v10
	s_waitcnt lgkmcnt(12)
	s_delay_alu instid0(VALU_DEP_1) | instskip(SKIP_1) | instid1(VALU_DEP_1)
	v_add3_u32 v13, v13, v11, v12
	s_waitcnt lgkmcnt(11)
	v_add3_u32 v13, v13, v25, v26
	;; [unrolled: 5-line block ×7, first 2 shown]
	s_waitcnt lgkmcnt(0)
	s_delay_alu instid0(VALU_DEP_1) | instskip(NEXT) | instid1(VALU_DEP_1)
	v_add3_u32 v13, v13, v54, v55
	v_mov_b32_dpp v58, v13 row_shr:1 row_mask:0xf bank_mask:0xf
	s_delay_alu instid0(VALU_DEP_1) | instskip(SKIP_1) | instid1(VALU_DEP_2)
	v_cndmask_b32_e32 v58, 0, v58, vcc_lo
	v_cmp_lt_u32_e32 vcc_lo, 1, v57
	v_add_nc_u32_e32 v13, v58, v13
	s_delay_alu instid0(VALU_DEP_1) | instskip(NEXT) | instid1(VALU_DEP_1)
	v_mov_b32_dpp v58, v13 row_shr:2 row_mask:0xf bank_mask:0xf
	v_cndmask_b32_e32 v58, 0, v58, vcc_lo
	v_cmp_lt_u32_e32 vcc_lo, 3, v57
	s_delay_alu instid0(VALU_DEP_2) | instskip(NEXT) | instid1(VALU_DEP_1)
	v_add_nc_u32_e32 v13, v13, v58
	v_mov_b32_dpp v58, v13 row_shr:4 row_mask:0xf bank_mask:0xf
	s_delay_alu instid0(VALU_DEP_1) | instskip(SKIP_1) | instid1(VALU_DEP_2)
	v_cndmask_b32_e32 v58, 0, v58, vcc_lo
	v_cmp_lt_u32_e32 vcc_lo, 7, v57
	v_add_nc_u32_e32 v13, v13, v58
	s_delay_alu instid0(VALU_DEP_1) | instskip(NEXT) | instid1(VALU_DEP_1)
	v_mov_b32_dpp v58, v13 row_shr:8 row_mask:0xf bank_mask:0xf
	v_dual_cndmask_b32 v57, 0, v58 :: v_dual_add_nc_u32 v58, -1, v56
	s_delay_alu instid0(VALU_DEP_1) | instskip(NEXT) | instid1(VALU_DEP_2)
	v_add_nc_u32_e32 v13, v13, v57
	v_cmp_gt_i32_e32 vcc_lo, 0, v58
	ds_swizzle_b32 v57, v13 offset:swizzle(BROADCAST,32,15)
	v_cndmask_b32_e32 v56, v58, v56, vcc_lo
	s_delay_alu instid0(VALU_DEP_1) | instskip(SKIP_2) | instid1(VALU_DEP_1)
	v_lshlrev_b32_e32 v56, 2, v56
	s_waitcnt lgkmcnt(0)
	v_and_b32_e32 v57, v59, v57
	v_add_nc_u32_e32 v13, v13, v57
	ds_bpermute_b32 v13, v56, v13
	s_waitcnt lgkmcnt(0)
	v_add_nc_u32_e32 v5, v13, v5
	s_delay_alu instid0(VALU_DEP_1) | instskip(NEXT) | instid1(VALU_DEP_1)
	v_cndmask_b32_e64 v4, v5, v4, s2
	v_add_nc_u32_e32 v5, v4, v6
	s_delay_alu instid0(VALU_DEP_1) | instskip(NEXT) | instid1(VALU_DEP_1)
	v_add_nc_u32_e32 v6, v5, v7
	v_add_nc_u32_e32 v7, v6, v8
	s_delay_alu instid0(VALU_DEP_1) | instskip(NEXT) | instid1(VALU_DEP_1)
	v_add_nc_u32_e32 v8, v7, v9
	;; [unrolled: 3-line block ×3, first 2 shown]
	v_add_nc_u32_e32 v11, v10, v12
	ds_store_2addr_b32 v27, v4, v5 offset1:1
	ds_store_2addr_b32 v27, v6, v7 offset0:2 offset1:3
	ds_store_2addr_b32 v27, v8, v9 offset0:4 offset1:5
	;; [unrolled: 1-line block ×3, first 2 shown]
	v_add_nc_u32_e32 v12, v11, v25
	s_delay_alu instid0(VALU_DEP_1) | instskip(NEXT) | instid1(VALU_DEP_1)
	v_add_nc_u32_e32 v13, v12, v26
	v_add_nc_u32_e32 v25, v13, v34
	s_delay_alu instid0(VALU_DEP_1) | instskip(NEXT) | instid1(VALU_DEP_1)
	v_add_nc_u32_e32 v26, v25, v35
	;; [unrolled: 3-line block ×3, first 2 shown]
	v_add_nc_u32_e32 v36, v35, v38
	s_delay_alu instid0(VALU_DEP_1)
	v_add_nc_u32_e32 v37, v36, v39
	ds_store_2addr_b32 v27, v12, v13 offset0:8 offset1:9
	ds_store_2addr_b32 v27, v25, v26 offset0:10 offset1:11
	ds_store_2addr_b32 v27, v34, v35 offset0:12 offset1:13
	ds_store_2addr_b32 v27, v36, v37 offset0:14 offset1:15
	v_add_nc_u32_e32 v38, v37, v40
	s_delay_alu instid0(VALU_DEP_1) | instskip(NEXT) | instid1(VALU_DEP_1)
	v_add_nc_u32_e32 v39, v38, v41
	v_add_nc_u32_e32 v40, v39, v42
	s_delay_alu instid0(VALU_DEP_1) | instskip(NEXT) | instid1(VALU_DEP_1)
	v_add_nc_u32_e32 v41, v40, v43
	;; [unrolled: 3-line block ×7, first 2 shown]
	v_add_nc_u32_e32 v4, v51, v54
	s_delay_alu instid0(VALU_DEP_1)
	v_add_nc_u32_e32 v5, v4, v55
	ds_store_2addr_b32 v27, v38, v39 offset0:16 offset1:17
	ds_store_2addr_b32 v27, v40, v41 offset0:18 offset1:19
	;; [unrolled: 1-line block ×8, first 2 shown]
.LBB16_100:
	s_or_b32 exec_lo, exec_lo, s8
	v_dual_mov_b32 v4, 0 :: v_dual_mov_b32 v5, 0
	s_waitcnt lgkmcnt(0)
	s_barrier
	buffer_gl0_inv
	s_and_saveexec_b32 s8, s3
	s_cbranch_execz .LBB16_102
; %bb.101:
	ds_load_b32 v5, v33
.LBB16_102:
	s_or_b32 exec_lo, exec_lo, s8
	s_waitcnt lgkmcnt(0)
	v_dual_mov_b32 v5, v28 :: v_dual_add_nc_u32 v2, v5, v2
	s_barrier
	buffer_gl0_inv
	v_dual_mov_b32 v6, v0 :: v_dual_add_nc_u32 v3, v2, v3
	s_lshl_b32 s35, s25, 10
	s_mov_b32 s34, 0
	ds_store_2addr_b32 v32, v2, v3 offset1:1
	s_waitcnt lgkmcnt(0)
	s_barrier
	buffer_gl0_inv
	ds_load_b32 v2, v30
	ds_load_b32 v3, v31 offset:4096
	s_waitcnt lgkmcnt(1)
	flat_store_b32 v[14:15], v2 dlc
	s_waitcnt_vscnt null, 0x0
	s_waitcnt lgkmcnt(1)
	flat_store_b32 v[16:17], v3 dlc
	s_waitcnt_vscnt null, 0x0
	s_waitcnt lgkmcnt(0)
	s_barrier
	buffer_gl0_inv
	ds_load_b32 v2, v4 offset:12
	v_lshlrev_b32_e32 v3, 10, v0
	s_set_inst_prefetch_distance 0x1
	s_branch .LBB16_104
	.p2align	6
.LBB16_103:                             ;   in Loop: Header=BB16_104 Depth=1
	s_or_b32 exec_lo, exec_lo, s8
	v_add_nc_u32_e32 v6, s25, v6
	v_add_nc_u32_e32 v3, s35, v3
	;; [unrolled: 1-line block ×3, first 2 shown]
	s_delay_alu instid0(VALU_DEP_3) | instskip(SKIP_1) | instid1(SALU_CYCLE_1)
	v_cmp_lt_u32_e32 vcc_lo, 0x7ff, v6
	s_or_b32 s34, vcc_lo, s34
	s_and_not1_b32 exec_lo, exec_lo, s34
	s_cbranch_execz .LBB16_108
.LBB16_104:                             ; =>This Inner Loop Header: Depth=1
	v_mov_b32_e32 v7, 0
	s_mov_b32 s8, exec_lo
	v_cmpx_ne_u32_e32 0, v6
	s_cbranch_execz .LBB16_106
; %bb.105:                              ;   in Loop: Header=BB16_104 Depth=1
	ds_load_b32 v7, v5
.LBB16_106:                             ;   in Loop: Header=BB16_104 Depth=1
	s_or_b32 exec_lo, exec_lo, s8
	ds_load_b32 v8, v5 offset:4
	s_waitcnt lgkmcnt(1)
	v_cmp_gt_i32_e32 vcc_lo, v24, v7
	s_waitcnt lgkmcnt(0)
	v_cmp_ge_i32_e64 s8, v8, v24
	s_delay_alu instid0(VALU_DEP_1) | instskip(NEXT) | instid1(SALU_CYCLE_1)
	s_and_b32 s36, vcc_lo, s8
	s_and_saveexec_b32 s8, s36
	s_cbranch_execz .LBB16_103
; %bb.107:                              ;   in Loop: Header=BB16_104 Depth=1
	v_sub_nc_u32_e32 v9, v24, v7
	v_sub_nc_u32_e32 v10, v8, v7
	v_or_b32_e32 v2, v2, v3
	ds_store_b64 v4, v[9:10]
	ds_store_b32 v4, v2 offset:12
	s_branch .LBB16_103
.LBB16_108:
	s_set_inst_prefetch_distance 0x2
	s_or_b32 exec_lo, exec_lo, s34
	s_and_saveexec_b32 s8, s2
	s_cbranch_execz .LBB16_110
; %bb.109:
	v_mov_b32_e32 v2, 0
	ds_load_b32 v3, v2 offset:4
	s_waitcnt lgkmcnt(0)
	ds_store_b32 v2, v3 offset:8
.LBB16_110:
	s_or_b32 exec_lo, exec_lo, s8
	v_mov_b32_e32 v2, 0
	s_waitcnt lgkmcnt(0)
	s_barrier
	buffer_gl0_inv
	s_mov_b32 s34, 1
	ds_load_b64 v[24:25], v2
	s_waitcnt lgkmcnt(0)
	v_cmp_eq_u32_e32 vcc_lo, v25, v24
	s_cbranch_vccnz .LBB16_181
; %bb.111:
	v_mov_b32_e32 v3, v0
	s_mov_b32 s8, 0
.LBB16_112:                             ; =>This Inner Loop Header: Depth=1
	s_delay_alu instid0(VALU_DEP_1) | instskip(SKIP_4) | instid1(SALU_CYCLE_1)
	v_add_nc_u32_e32 v3, s25, v3
	ds_store_b32 v29, v2
	v_add_nc_u32_e32 v29, s26, v29
	v_cmp_lt_u32_e32 vcc_lo, 0x7ff, v3
	s_or_b32 s8, vcc_lo, s8
	s_and_not1_b32 exec_lo, exec_lo, s8
	s_cbranch_execnz .LBB16_112
; %bb.113:
	s_or_b32 exec_lo, exec_lo, s8
	s_and_saveexec_b32 s8, s2
	s_cbranch_execz .LBB16_115
; %bb.114:
	v_mov_b32_e32 v2, 0
	ds_store_b32 v2, v2 offset:128
.LBB16_115:
	s_or_b32 exec_lo, exec_lo, s8
	v_dual_mov_b32 v2, 0 :: v_dual_mov_b32 v25, v0
	s_waitcnt lgkmcnt(0)
	s_barrier
	buffer_gl0_inv
	ds_load_b32 v13, v2 offset:12
	s_and_saveexec_b32 s8, s7
	s_cbranch_execz .LBB16_151
; %bb.116:
	v_dual_mov_b32 v29, 1 :: v_dual_mov_b32 v26, v1
	v_mov_b32_e32 v25, v0
	s_mov_b32 s7, 0
	s_branch .LBB16_118
.LBB16_117:                             ;   in Loop: Header=BB16_118 Depth=1
	s_or_b32 exec_lo, exec_lo, s34
	v_add_nc_u32_e32 v25, s26, v25
	s_delay_alu instid0(VALU_DEP_1) | instskip(SKIP_1) | instid1(VALU_DEP_2)
	v_ashrrev_i32_e32 v26, 31, v25
	v_add_co_u32 v18, vcc_lo, s28, v25
	v_add_co_ci_u32_e32 v19, vcc_lo, 0, v26, vcc_lo
	s_delay_alu instid0(VALU_DEP_1) | instskip(SKIP_1) | instid1(SALU_CYCLE_1)
	v_cmp_le_u64_e32 vcc_lo, s[20:21], v[18:19]
	s_or_b32 s7, vcc_lo, s7
	s_and_not1_b32 exec_lo, exec_lo, s7
	s_cbranch_execz .LBB16_150
.LBB16_118:                             ; =>This Inner Loop Header: Depth=1
	s_delay_alu instid0(VALU_DEP_1) | instskip(SKIP_1) | instid1(VALU_DEP_1)
	v_lshlrev_b64 v[9:10], 4, v[25:26]
	s_mov_b32 s34, exec_lo
	v_add_co_u32 v1, vcc_lo, s9, v9
	s_delay_alu instid0(VALU_DEP_2)
	v_add_co_ci_u32_e32 v2, vcc_lo, s27, v10, vcc_lo
	v_add_co_u32 v5, vcc_lo, s29, v9
	v_add_co_ci_u32_e32 v6, vcc_lo, s30, v10, vcc_lo
	s_clause 0x1
	global_load_b128 v[1:4], v[1:2], off
	global_load_b128 v[5:8], v[5:6], off
	s_waitcnt vmcnt(1)
	v_cmp_gt_i32_e32 vcc_lo, 0, v1
	v_cndmask_b32_e64 v11, 0x7fffffff, 0, vcc_lo
	s_delay_alu instid0(VALU_DEP_1) | instskip(NEXT) | instid1(VALU_DEP_1)
	v_xor_b32_e32 v1, v11, v1
	v_and_b32_e32 v11, 0xfffffc00, v1
	s_waitcnt lgkmcnt(0)
	s_delay_alu instid0(VALU_DEP_1)
	v_cmpx_eq_u32_e64 v11, v13
	s_cbranch_execz .LBB16_120
; %bb.119:                              ;   in Loop: Header=BB16_118 Depth=1
	v_and_b32_e32 v1, 0x7ff, v1
	s_delay_alu instid0(VALU_DEP_1)
	v_lshlrev_b32_e32 v1, 2, v1
	ds_add_u32 v1, v29 offset:9088
.LBB16_120:                             ;   in Loop: Header=BB16_118 Depth=1
	s_or_b32 exec_lo, exec_lo, s34
	v_cmp_gt_i32_e32 vcc_lo, 0, v2
	s_mov_b32 s34, exec_lo
	v_cndmask_b32_e64 v1, 0x7fffffff, 0, vcc_lo
	s_delay_alu instid0(VALU_DEP_1) | instskip(NEXT) | instid1(VALU_DEP_1)
	v_xor_b32_e32 v1, v1, v2
	v_and_b32_e32 v2, 0xfffffc00, v1
	s_delay_alu instid0(VALU_DEP_1)
	v_cmpx_eq_u32_e64 v2, v13
	s_cbranch_execz .LBB16_122
; %bb.121:                              ;   in Loop: Header=BB16_118 Depth=1
	v_and_b32_e32 v1, 0x7ff, v1
	s_delay_alu instid0(VALU_DEP_1)
	v_lshlrev_b32_e32 v1, 2, v1
	ds_add_u32 v1, v29 offset:9088
.LBB16_122:                             ;   in Loop: Header=BB16_118 Depth=1
	s_or_b32 exec_lo, exec_lo, s34
	v_cmp_gt_i32_e32 vcc_lo, 0, v3
	s_mov_b32 s34, exec_lo
	v_cndmask_b32_e64 v1, 0x7fffffff, 0, vcc_lo
	s_delay_alu instid0(VALU_DEP_1) | instskip(NEXT) | instid1(VALU_DEP_1)
	v_xor_b32_e32 v1, v1, v3
	v_and_b32_e32 v2, 0xfffffc00, v1
	;; [unrolled: 16-line block ×3, first 2 shown]
	s_delay_alu instid0(VALU_DEP_1)
	v_cmpx_eq_u32_e64 v2, v13
	s_cbranch_execz .LBB16_126
; %bb.125:                              ;   in Loop: Header=BB16_118 Depth=1
	v_and_b32_e32 v1, 0x7ff, v1
	s_delay_alu instid0(VALU_DEP_1)
	v_lshlrev_b32_e32 v1, 2, v1
	ds_add_u32 v1, v29 offset:9088
.LBB16_126:                             ;   in Loop: Header=BB16_118 Depth=1
	s_or_b32 exec_lo, exec_lo, s34
	v_lshlrev_b64 v[1:2], 4, v[18:19]
	v_add_co_u32 v3, vcc_lo, s31, v9
	v_add_co_ci_u32_e32 v4, vcc_lo, s33, v10, vcc_lo
	s_mov_b32 s34, exec_lo
	s_delay_alu instid0(VALU_DEP_3) | instskip(NEXT) | instid1(VALU_DEP_4)
	v_add_co_u32 v1, vcc_lo, s9, v1
	v_add_co_ci_u32_e32 v2, vcc_lo, s27, v2, vcc_lo
	s_waitcnt vmcnt(0)
	v_cmp_gt_i32_e32 vcc_lo, 0, v5
	s_clause 0x1
	global_load_b128 v[9:12], v[3:4], off
	global_load_b128 v[1:4], v[1:2], off
	v_cndmask_b32_e64 v18, 0x7fffffff, 0, vcc_lo
	s_delay_alu instid0(VALU_DEP_1) | instskip(NEXT) | instid1(VALU_DEP_1)
	v_xor_b32_e32 v5, v18, v5
	v_and_b32_e32 v18, 0xfffffc00, v5
	s_delay_alu instid0(VALU_DEP_1)
	v_cmpx_eq_u32_e64 v18, v13
	s_cbranch_execz .LBB16_128
; %bb.127:                              ;   in Loop: Header=BB16_118 Depth=1
	v_and_b32_e32 v5, 0x7ff, v5
	s_delay_alu instid0(VALU_DEP_1)
	v_lshlrev_b32_e32 v5, 2, v5
	ds_add_u32 v5, v29 offset:9088
.LBB16_128:                             ;   in Loop: Header=BB16_118 Depth=1
	s_or_b32 exec_lo, exec_lo, s34
	v_cmp_gt_i32_e32 vcc_lo, 0, v6
	s_mov_b32 s34, exec_lo
	v_cndmask_b32_e64 v5, 0x7fffffff, 0, vcc_lo
	s_delay_alu instid0(VALU_DEP_1) | instskip(NEXT) | instid1(VALU_DEP_1)
	v_xor_b32_e32 v5, v5, v6
	v_and_b32_e32 v6, 0xfffffc00, v5
	s_delay_alu instid0(VALU_DEP_1)
	v_cmpx_eq_u32_e64 v6, v13
	s_cbranch_execz .LBB16_130
; %bb.129:                              ;   in Loop: Header=BB16_118 Depth=1
	v_and_b32_e32 v5, 0x7ff, v5
	s_delay_alu instid0(VALU_DEP_1)
	v_lshlrev_b32_e32 v5, 2, v5
	ds_add_u32 v5, v29 offset:9088
.LBB16_130:                             ;   in Loop: Header=BB16_118 Depth=1
	s_or_b32 exec_lo, exec_lo, s34
	v_cmp_gt_i32_e32 vcc_lo, 0, v7
	s_mov_b32 s34, exec_lo
	;; [unrolled: 16-line block ×3, first 2 shown]
	v_cndmask_b32_e64 v5, 0x7fffffff, 0, vcc_lo
	s_delay_alu instid0(VALU_DEP_1) | instskip(NEXT) | instid1(VALU_DEP_1)
	v_xor_b32_e32 v5, v5, v8
	v_and_b32_e32 v6, 0xfffffc00, v5
	s_delay_alu instid0(VALU_DEP_1)
	v_cmpx_eq_u32_e64 v6, v13
	s_cbranch_execz .LBB16_134
; %bb.133:                              ;   in Loop: Header=BB16_118 Depth=1
	v_and_b32_e32 v5, 0x7ff, v5
	s_delay_alu instid0(VALU_DEP_1)
	v_lshlrev_b32_e32 v5, 2, v5
	ds_add_u32 v5, v29 offset:9088
.LBB16_134:                             ;   in Loop: Header=BB16_118 Depth=1
	s_or_b32 exec_lo, exec_lo, s34
	s_waitcnt vmcnt(1)
	v_cmp_gt_i32_e32 vcc_lo, 0, v9
	s_mov_b32 s34, exec_lo
	v_cndmask_b32_e64 v5, 0x7fffffff, 0, vcc_lo
	s_delay_alu instid0(VALU_DEP_1) | instskip(NEXT) | instid1(VALU_DEP_1)
	v_xor_b32_e32 v5, v5, v9
	v_and_b32_e32 v6, 0xfffffc00, v5
	s_delay_alu instid0(VALU_DEP_1)
	v_cmpx_eq_u32_e64 v6, v13
	s_cbranch_execz .LBB16_136
; %bb.135:                              ;   in Loop: Header=BB16_118 Depth=1
	v_and_b32_e32 v5, 0x7ff, v5
	s_delay_alu instid0(VALU_DEP_1)
	v_lshlrev_b32_e32 v5, 2, v5
	ds_add_u32 v5, v29 offset:9088
.LBB16_136:                             ;   in Loop: Header=BB16_118 Depth=1
	s_or_b32 exec_lo, exec_lo, s34
	v_cmp_gt_i32_e32 vcc_lo, 0, v10
	s_mov_b32 s34, exec_lo
	v_cndmask_b32_e64 v5, 0x7fffffff, 0, vcc_lo
	s_delay_alu instid0(VALU_DEP_1) | instskip(NEXT) | instid1(VALU_DEP_1)
	v_xor_b32_e32 v5, v5, v10
	v_and_b32_e32 v6, 0xfffffc00, v5
	s_delay_alu instid0(VALU_DEP_1)
	v_cmpx_eq_u32_e64 v6, v13
	s_cbranch_execz .LBB16_138
; %bb.137:                              ;   in Loop: Header=BB16_118 Depth=1
	v_and_b32_e32 v5, 0x7ff, v5
	s_delay_alu instid0(VALU_DEP_1)
	v_lshlrev_b32_e32 v5, 2, v5
	ds_add_u32 v5, v29 offset:9088
.LBB16_138:                             ;   in Loop: Header=BB16_118 Depth=1
	s_or_b32 exec_lo, exec_lo, s34
	v_cmp_gt_i32_e32 vcc_lo, 0, v11
	s_mov_b32 s34, exec_lo
	v_cndmask_b32_e64 v5, 0x7fffffff, 0, vcc_lo
	s_delay_alu instid0(VALU_DEP_1) | instskip(NEXT) | instid1(VALU_DEP_1)
	v_xor_b32_e32 v5, v5, v11
	v_and_b32_e32 v6, 0xfffffc00, v5
	s_delay_alu instid0(VALU_DEP_1)
	v_cmpx_eq_u32_e64 v6, v13
	s_cbranch_execz .LBB16_140
; %bb.139:                              ;   in Loop: Header=BB16_118 Depth=1
	v_and_b32_e32 v5, 0x7ff, v5
	s_delay_alu instid0(VALU_DEP_1)
	v_lshlrev_b32_e32 v5, 2, v5
	ds_add_u32 v5, v29 offset:9088
.LBB16_140:                             ;   in Loop: Header=BB16_118 Depth=1
	s_or_b32 exec_lo, exec_lo, s34
	v_cmp_gt_i32_e32 vcc_lo, 0, v12
	s_mov_b32 s34, exec_lo
	v_cndmask_b32_e64 v5, 0x7fffffff, 0, vcc_lo
	s_delay_alu instid0(VALU_DEP_1) | instskip(NEXT) | instid1(VALU_DEP_1)
	v_xor_b32_e32 v5, v5, v12
	v_and_b32_e32 v6, 0xfffffc00, v5
	s_delay_alu instid0(VALU_DEP_1)
	v_cmpx_eq_u32_e64 v6, v13
	s_cbranch_execz .LBB16_142
; %bb.141:                              ;   in Loop: Header=BB16_118 Depth=1
	v_and_b32_e32 v5, 0x7ff, v5
	s_delay_alu instid0(VALU_DEP_1)
	v_lshlrev_b32_e32 v5, 2, v5
	ds_add_u32 v5, v29 offset:9088
.LBB16_142:                             ;   in Loop: Header=BB16_118 Depth=1
	s_or_b32 exec_lo, exec_lo, s34
	s_waitcnt vmcnt(0)
	v_cmp_gt_i32_e32 vcc_lo, 0, v1
	s_mov_b32 s34, exec_lo
	v_cndmask_b32_e64 v5, 0x7fffffff, 0, vcc_lo
	s_delay_alu instid0(VALU_DEP_1) | instskip(NEXT) | instid1(VALU_DEP_1)
	v_xor_b32_e32 v1, v5, v1
	v_and_b32_e32 v5, 0xfffffc00, v1
	s_delay_alu instid0(VALU_DEP_1)
	v_cmpx_eq_u32_e64 v5, v13
	s_cbranch_execz .LBB16_144
; %bb.143:                              ;   in Loop: Header=BB16_118 Depth=1
	v_and_b32_e32 v1, 0x7ff, v1
	s_delay_alu instid0(VALU_DEP_1)
	v_lshlrev_b32_e32 v1, 2, v1
	ds_add_u32 v1, v29 offset:9088
.LBB16_144:                             ;   in Loop: Header=BB16_118 Depth=1
	s_or_b32 exec_lo, exec_lo, s34
	v_cmp_gt_i32_e32 vcc_lo, 0, v2
	s_mov_b32 s34, exec_lo
	v_cndmask_b32_e64 v1, 0x7fffffff, 0, vcc_lo
	s_delay_alu instid0(VALU_DEP_1) | instskip(NEXT) | instid1(VALU_DEP_1)
	v_xor_b32_e32 v1, v1, v2
	v_and_b32_e32 v2, 0xfffffc00, v1
	s_delay_alu instid0(VALU_DEP_1)
	v_cmpx_eq_u32_e64 v2, v13
	s_cbranch_execz .LBB16_146
; %bb.145:                              ;   in Loop: Header=BB16_118 Depth=1
	v_and_b32_e32 v1, 0x7ff, v1
	s_delay_alu instid0(VALU_DEP_1)
	v_lshlrev_b32_e32 v1, 2, v1
	ds_add_u32 v1, v29 offset:9088
.LBB16_146:                             ;   in Loop: Header=BB16_118 Depth=1
	s_or_b32 exec_lo, exec_lo, s34
	;; [unrolled: 16-line block ×3, first 2 shown]
	v_cmp_gt_i32_e32 vcc_lo, 0, v4
	s_mov_b32 s34, exec_lo
	v_cndmask_b32_e64 v1, 0x7fffffff, 0, vcc_lo
	s_delay_alu instid0(VALU_DEP_1) | instskip(NEXT) | instid1(VALU_DEP_1)
	v_xor_b32_e32 v1, v1, v4
	v_and_b32_e32 v2, 0xfffffc00, v1
	s_delay_alu instid0(VALU_DEP_1)
	v_cmpx_eq_u32_e64 v2, v13
	s_cbranch_execz .LBB16_117
; %bb.149:                              ;   in Loop: Header=BB16_118 Depth=1
	v_and_b32_e32 v1, 0x7ff, v1
	s_delay_alu instid0(VALU_DEP_1)
	v_lshlrev_b32_e32 v1, 2, v1
	ds_add_u32 v1, v29 offset:9088
	s_branch .LBB16_117
.LBB16_150:
	s_or_b32 exec_lo, exec_lo, s7
.LBB16_151:
	s_delay_alu instid0(SALU_CYCLE_1) | instskip(NEXT) | instid1(SALU_CYCLE_1)
	s_or_b32 exec_lo, exec_lo, s8
	s_mov_b32 s7, exec_lo
	v_cmpx_gt_i32_e64 s20, v25
	s_cbranch_execz .LBB16_162
; %bb.152:
	v_mov_b32_e32 v5, 1
	s_mov_b32 s8, 0
	s_branch .LBB16_154
.LBB16_153:                             ;   in Loop: Header=BB16_154 Depth=1
	s_or_b32 exec_lo, exec_lo, s21
	v_add_nc_u32_e32 v25, s25, v25
	s_delay_alu instid0(VALU_DEP_1) | instskip(SKIP_1) | instid1(SALU_CYCLE_1)
	v_cmp_le_i32_e32 vcc_lo, s20, v25
	s_or_b32 s8, vcc_lo, s8
	s_and_not1_b32 exec_lo, exec_lo, s8
	s_cbranch_execz .LBB16_162
.LBB16_154:                             ; =>This Inner Loop Header: Depth=1
	v_ashrrev_i32_e32 v26, 31, v25
	s_mov_b32 s21, exec_lo
	s_delay_alu instid0(VALU_DEP_1) | instskip(NEXT) | instid1(VALU_DEP_1)
	v_lshlrev_b64 v[1:2], 4, v[25:26]
	v_add_co_u32 v1, vcc_lo, s9, v1
	s_delay_alu instid0(VALU_DEP_2) | instskip(SKIP_4) | instid1(VALU_DEP_1)
	v_add_co_ci_u32_e32 v2, vcc_lo, s27, v2, vcc_lo
	global_load_b128 v[1:4], v[1:2], off
	s_waitcnt vmcnt(0)
	v_cmp_gt_i32_e32 vcc_lo, 0, v1
	v_cndmask_b32_e64 v6, 0x7fffffff, 0, vcc_lo
	v_xor_b32_e32 v1, v6, v1
	s_delay_alu instid0(VALU_DEP_1) | instskip(SKIP_1) | instid1(VALU_DEP_1)
	v_and_b32_e32 v6, 0xfffffc00, v1
	s_waitcnt lgkmcnt(0)
	v_cmpx_eq_u32_e64 v6, v13
	s_cbranch_execz .LBB16_156
; %bb.155:                              ;   in Loop: Header=BB16_154 Depth=1
	v_and_b32_e32 v1, 0x7ff, v1
	s_delay_alu instid0(VALU_DEP_1)
	v_lshlrev_b32_e32 v1, 2, v1
	ds_add_u32 v1, v5 offset:9088
.LBB16_156:                             ;   in Loop: Header=BB16_154 Depth=1
	s_or_b32 exec_lo, exec_lo, s21
	v_cmp_gt_i32_e32 vcc_lo, 0, v2
	s_mov_b32 s21, exec_lo
	v_cndmask_b32_e64 v1, 0x7fffffff, 0, vcc_lo
	s_delay_alu instid0(VALU_DEP_1) | instskip(NEXT) | instid1(VALU_DEP_1)
	v_xor_b32_e32 v1, v1, v2
	v_and_b32_e32 v2, 0xfffffc00, v1
	s_delay_alu instid0(VALU_DEP_1)
	v_cmpx_eq_u32_e64 v2, v13
	s_cbranch_execz .LBB16_158
; %bb.157:                              ;   in Loop: Header=BB16_154 Depth=1
	v_and_b32_e32 v1, 0x7ff, v1
	s_delay_alu instid0(VALU_DEP_1)
	v_lshlrev_b32_e32 v1, 2, v1
	ds_add_u32 v1, v5 offset:9088
.LBB16_158:                             ;   in Loop: Header=BB16_154 Depth=1
	s_or_b32 exec_lo, exec_lo, s21
	v_cmp_gt_i32_e32 vcc_lo, 0, v3
	s_mov_b32 s21, exec_lo
	v_cndmask_b32_e64 v1, 0x7fffffff, 0, vcc_lo
	s_delay_alu instid0(VALU_DEP_1) | instskip(NEXT) | instid1(VALU_DEP_1)
	v_xor_b32_e32 v1, v1, v3
	v_and_b32_e32 v2, 0xfffffc00, v1
	s_delay_alu instid0(VALU_DEP_1)
	;; [unrolled: 16-line block ×3, first 2 shown]
	v_cmpx_eq_u32_e64 v2, v13
	s_cbranch_execz .LBB16_153
; %bb.161:                              ;   in Loop: Header=BB16_154 Depth=1
	v_and_b32_e32 v1, 0x7ff, v1
	s_delay_alu instid0(VALU_DEP_1)
	v_lshlrev_b32_e32 v1, 2, v1
	ds_add_u32 v1, v5 offset:9088
	s_branch .LBB16_153
.LBB16_162:
	s_or_b32 exec_lo, exec_lo, s7
	s_and_saveexec_b32 s7, s4
	s_cbranch_execz .LBB16_165
; %bb.163:
	global_load_b32 v1, v[20:21], off
	s_waitcnt vmcnt(0)
	v_cmp_gt_i32_e32 vcc_lo, 0, v1
	v_cndmask_b32_e64 v2, 0x7fffffff, 0, vcc_lo
	s_delay_alu instid0(VALU_DEP_1) | instskip(NEXT) | instid1(VALU_DEP_1)
	v_xor_b32_e32 v1, v2, v1
	v_and_b32_e32 v2, 0xfffffc00, v1
	s_waitcnt lgkmcnt(0)
	s_delay_alu instid0(VALU_DEP_1)
	v_cmp_eq_u32_e32 vcc_lo, v2, v13
	s_and_b32 exec_lo, exec_lo, vcc_lo
	s_cbranch_execz .LBB16_165
; %bb.164:
	v_dual_mov_b32 v2, 1 :: v_dual_and_b32 v1, 0x7ff, v1
	s_delay_alu instid0(VALU_DEP_1)
	v_lshlrev_b32_e32 v1, 2, v1
	ds_add_u32 v1, v2 offset:9088
.LBB16_165:
	s_or_b32 exec_lo, exec_lo, s7
	s_and_saveexec_b32 s4, s5
	s_cbranch_execz .LBB16_168
; %bb.166:
	global_load_b32 v1, v[22:23], off
	s_waitcnt vmcnt(0)
	v_cmp_gt_i32_e32 vcc_lo, 0, v1
	v_cndmask_b32_e64 v2, 0x7fffffff, 0, vcc_lo
	s_delay_alu instid0(VALU_DEP_1) | instskip(NEXT) | instid1(VALU_DEP_1)
	v_xor_b32_e32 v1, v2, v1
	v_and_b32_e32 v2, 0xfffffc00, v1
	s_waitcnt lgkmcnt(0)
	s_delay_alu instid0(VALU_DEP_1)
	v_cmp_eq_u32_e32 vcc_lo, v2, v13
	s_and_b32 exec_lo, exec_lo, vcc_lo
	s_cbranch_execz .LBB16_168
; %bb.167:
	v_dual_mov_b32 v2, 1 :: v_dual_and_b32 v1, 0x7ff, v1
	s_delay_alu instid0(VALU_DEP_1)
	v_lshlrev_b32_e32 v1, 2, v1
	ds_add_u32 v1, v2 offset:9088
.LBB16_168:
	s_or_b32 exec_lo, exec_lo, s4
	s_waitcnt lgkmcnt(0)
	s_barrier
	buffer_gl0_inv
	flat_load_b32 v1, v[14:15] glc dlc
	s_waitcnt vmcnt(0)
	flat_load_b32 v2, v[16:17] glc dlc
	s_waitcnt vmcnt(0) lgkmcnt(1)
	ds_store_b32 v30, v1
	s_waitcnt lgkmcnt(1)
	ds_store_b32 v31, v2 offset:4096
	s_waitcnt lgkmcnt(0)
	s_barrier
	buffer_gl0_inv
	ds_load_2addr_b32 v[1:2], v32 offset1:1
	s_waitcnt lgkmcnt(0)
	s_barrier
	buffer_gl0_inv
	v_add_nc_u32_e32 v3, v2, v1
	ds_store_b32 v30, v3
	s_waitcnt lgkmcnt(0)
	s_barrier
	buffer_gl0_inv
	s_and_saveexec_b32 s4, s6
	s_cbranch_execz .LBB16_170
; %bb.169:
	ds_load_2addr_b32 v[4:5], v27 offset1:1
	ds_load_2addr_b32 v[6:7], v27 offset0:2 offset1:3
	ds_load_2addr_b32 v[8:9], v27 offset0:4 offset1:5
	;; [unrolled: 1-line block ×6, first 2 shown]
	v_mbcnt_lo_u32_b32 v48, -1, 0
	ds_load_2addr_b32 v[34:35], v27 offset0:18 offset1:19
	ds_load_2addr_b32 v[36:37], v27 offset0:20 offset1:21
	;; [unrolled: 1-line block ×3, first 2 shown]
	v_bfe_i32 v51, v48, 4, 1
	s_waitcnt lgkmcnt(9)
	v_add_nc_u32_e32 v18, v5, v4
	s_waitcnt lgkmcnt(8)
	s_delay_alu instid0(VALU_DEP_1)
	v_add3_u32 v20, v18, v6, v7
	ds_load_2addr_b32 v[18:19], v27 offset0:10 offset1:11
	s_waitcnt lgkmcnt(8)
	v_add3_u32 v22, v20, v8, v9
	ds_load_2addr_b32 v[20:21], v27 offset0:12 offset1:13
	s_waitcnt lgkmcnt(8)
	;; [unrolled: 3-line block ×3, first 2 shown]
	v_add3_u32 v29, v25, v12, v13
	ds_load_2addr_b32 v[25:26], v27 offset0:16 offset1:17
	ds_load_2addr_b32 v[44:45], v27 offset0:28 offset1:29
	;; [unrolled: 1-line block ×3, first 2 shown]
	s_waitcnt lgkmcnt(5)
	v_add3_u32 v29, v29, v18, v19
	s_waitcnt lgkmcnt(4)
	s_delay_alu instid0(VALU_DEP_1) | instskip(SKIP_1) | instid1(VALU_DEP_1)
	v_add3_u32 v29, v29, v20, v21
	s_waitcnt lgkmcnt(3)
	v_add3_u32 v29, v29, v22, v23
	s_waitcnt lgkmcnt(2)
	s_delay_alu instid0(VALU_DEP_1) | instskip(NEXT) | instid1(VALU_DEP_1)
	v_add3_u32 v29, v29, v25, v26
	v_add3_u32 v29, v29, v34, v35
	s_delay_alu instid0(VALU_DEP_1) | instskip(NEXT) | instid1(VALU_DEP_1)
	v_add3_u32 v29, v29, v36, v37
	v_add3_u32 v29, v29, v38, v39
	;; [unrolled: 3-line block ×3, first 2 shown]
	s_waitcnt lgkmcnt(1)
	s_delay_alu instid0(VALU_DEP_1) | instskip(SKIP_1) | instid1(VALU_DEP_1)
	v_add3_u32 v29, v29, v44, v45
	s_waitcnt lgkmcnt(0)
	v_add3_u32 v29, v29, v46, v47
	s_delay_alu instid0(VALU_DEP_1) | instskip(SKIP_1) | instid1(VALU_DEP_1)
	v_mov_b32_dpp v50, v29 row_shr:1 row_mask:0xf bank_mask:0xf
	v_and_b32_e32 v49, 15, v48
	v_cmp_ne_u32_e32 vcc_lo, 0, v49
	s_delay_alu instid0(VALU_DEP_3) | instskip(SKIP_1) | instid1(VALU_DEP_2)
	v_cndmask_b32_e32 v50, 0, v50, vcc_lo
	v_cmp_lt_u32_e32 vcc_lo, 1, v49
	v_add_nc_u32_e32 v29, v50, v29
	s_delay_alu instid0(VALU_DEP_1) | instskip(NEXT) | instid1(VALU_DEP_1)
	v_mov_b32_dpp v50, v29 row_shr:2 row_mask:0xf bank_mask:0xf
	v_cndmask_b32_e32 v50, 0, v50, vcc_lo
	v_cmp_lt_u32_e32 vcc_lo, 3, v49
	s_delay_alu instid0(VALU_DEP_2) | instskip(NEXT) | instid1(VALU_DEP_1)
	v_add_nc_u32_e32 v29, v29, v50
	v_mov_b32_dpp v50, v29 row_shr:4 row_mask:0xf bank_mask:0xf
	s_delay_alu instid0(VALU_DEP_1) | instskip(SKIP_1) | instid1(VALU_DEP_2)
	v_cndmask_b32_e32 v50, 0, v50, vcc_lo
	v_cmp_lt_u32_e32 vcc_lo, 7, v49
	v_add_nc_u32_e32 v29, v29, v50
	s_delay_alu instid0(VALU_DEP_1) | instskip(NEXT) | instid1(VALU_DEP_1)
	v_mov_b32_dpp v50, v29 row_shr:8 row_mask:0xf bank_mask:0xf
	v_dual_cndmask_b32 v49, 0, v50 :: v_dual_add_nc_u32 v50, -1, v48
	s_delay_alu instid0(VALU_DEP_1) | instskip(NEXT) | instid1(VALU_DEP_2)
	v_add_nc_u32_e32 v29, v29, v49
	v_cmp_gt_i32_e32 vcc_lo, 0, v50
	ds_swizzle_b32 v49, v29 offset:swizzle(BROADCAST,32,15)
	v_cndmask_b32_e32 v48, v50, v48, vcc_lo
	s_delay_alu instid0(VALU_DEP_1) | instskip(SKIP_2) | instid1(VALU_DEP_1)
	v_lshlrev_b32_e32 v48, 2, v48
	s_waitcnt lgkmcnt(0)
	v_and_b32_e32 v49, v51, v49
	v_add_nc_u32_e32 v29, v29, v49
	ds_bpermute_b32 v29, v48, v29
	s_waitcnt lgkmcnt(0)
	v_add_nc_u32_e32 v4, v29, v4
	s_delay_alu instid0(VALU_DEP_1) | instskip(NEXT) | instid1(VALU_DEP_1)
	v_cndmask_b32_e64 v3, v4, v3, s2
	v_add_nc_u32_e32 v4, v3, v5
	s_delay_alu instid0(VALU_DEP_1) | instskip(NEXT) | instid1(VALU_DEP_1)
	v_add_nc_u32_e32 v5, v4, v6
	v_add_nc_u32_e32 v6, v5, v7
	s_delay_alu instid0(VALU_DEP_1) | instskip(NEXT) | instid1(VALU_DEP_1)
	v_add_nc_u32_e32 v7, v6, v8
	;; [unrolled: 3-line block ×3, first 2 shown]
	v_add_nc_u32_e32 v10, v9, v11
	ds_store_2addr_b32 v27, v3, v4 offset1:1
	ds_store_2addr_b32 v27, v5, v6 offset0:2 offset1:3
	ds_store_2addr_b32 v27, v7, v8 offset0:4 offset1:5
	ds_store_2addr_b32 v27, v9, v10 offset0:6 offset1:7
	v_add_nc_u32_e32 v11, v10, v12
	s_delay_alu instid0(VALU_DEP_1) | instskip(NEXT) | instid1(VALU_DEP_1)
	v_add_nc_u32_e32 v12, v11, v13
	v_add_nc_u32_e32 v13, v12, v18
	s_delay_alu instid0(VALU_DEP_1) | instskip(NEXT) | instid1(VALU_DEP_1)
	v_add_nc_u32_e32 v18, v13, v19
	;; [unrolled: 3-line block ×3, first 2 shown]
	v_add_nc_u32_e32 v21, v20, v22
	s_delay_alu instid0(VALU_DEP_1)
	v_add_nc_u32_e32 v22, v21, v23
	ds_store_2addr_b32 v27, v11, v12 offset0:8 offset1:9
	ds_store_2addr_b32 v27, v13, v18 offset0:10 offset1:11
	;; [unrolled: 1-line block ×4, first 2 shown]
	v_add_nc_u32_e32 v23, v22, v25
	s_delay_alu instid0(VALU_DEP_1) | instskip(NEXT) | instid1(VALU_DEP_1)
	v_add_nc_u32_e32 v25, v23, v26
	v_add_nc_u32_e32 v26, v25, v34
	s_delay_alu instid0(VALU_DEP_1) | instskip(NEXT) | instid1(VALU_DEP_1)
	v_add_nc_u32_e32 v29, v26, v35
	;; [unrolled: 3-line block ×7, first 2 shown]
	v_add_nc_u32_e32 v3, v43, v46
	s_delay_alu instid0(VALU_DEP_1)
	v_add_nc_u32_e32 v4, v3, v47
	ds_store_2addr_b32 v27, v23, v25 offset0:16 offset1:17
	ds_store_2addr_b32 v27, v26, v29 offset0:18 offset1:19
	;; [unrolled: 1-line block ×8, first 2 shown]
.LBB16_170:
	s_or_b32 exec_lo, exec_lo, s4
	v_dual_mov_b32 v3, 0 :: v_dual_mov_b32 v4, 0
	s_waitcnt lgkmcnt(0)
	s_barrier
	buffer_gl0_inv
	s_and_saveexec_b32 s4, s3
	s_cbranch_execz .LBB16_172
; %bb.171:
	ds_load_b32 v4, v33
.LBB16_172:
	s_or_b32 exec_lo, exec_lo, s4
	s_waitcnt lgkmcnt(0)
	v_add_nc_u32_e32 v1, v4, v1
	s_barrier
	buffer_gl0_inv
	s_mov_b32 s4, 0
	v_add_nc_u32_e32 v2, v1, v2
	ds_store_2addr_b32 v32, v1, v2 offset1:1
	s_waitcnt lgkmcnt(0)
	s_barrier
	buffer_gl0_inv
	ds_load_b32 v1, v30
	ds_load_b32 v2, v31 offset:4096
	s_waitcnt lgkmcnt(1)
	flat_store_b32 v[14:15], v1 dlc
	s_waitcnt_vscnt null, 0x0
	s_waitcnt lgkmcnt(1)
	flat_store_b32 v[16:17], v2 dlc
	s_waitcnt_vscnt null, 0x0
	s_waitcnt lgkmcnt(0)
	s_barrier
	buffer_gl0_inv
	ds_load_b32 v1, v3 offset:12
	v_mov_b32_e32 v2, v0
	s_set_inst_prefetch_distance 0x1
	s_branch .LBB16_174
	.p2align	6
.LBB16_173:                             ;   in Loop: Header=BB16_174 Depth=1
	s_or_b32 exec_lo, exec_lo, s3
	v_add_nc_u32_e32 v2, s25, v2
	v_add_nc_u32_e32 v28, s26, v28
	s_delay_alu instid0(VALU_DEP_2) | instskip(SKIP_1) | instid1(SALU_CYCLE_1)
	v_cmp_lt_u32_e32 vcc_lo, 0x7ff, v2
	s_or_b32 s4, vcc_lo, s4
	s_and_not1_b32 exec_lo, exec_lo, s4
	s_cbranch_execz .LBB16_178
.LBB16_174:                             ; =>This Inner Loop Header: Depth=1
	v_mov_b32_e32 v4, 0
	s_mov_b32 s3, exec_lo
	v_cmpx_ne_u32_e32 0, v2
	s_cbranch_execz .LBB16_176
; %bb.175:                              ;   in Loop: Header=BB16_174 Depth=1
	ds_load_b32 v4, v28
.LBB16_176:                             ;   in Loop: Header=BB16_174 Depth=1
	s_or_b32 exec_lo, exec_lo, s3
	ds_load_b32 v5, v28 offset:4
	s_waitcnt lgkmcnt(1)
	v_cmp_gt_i32_e32 vcc_lo, v24, v4
	s_waitcnt lgkmcnt(0)
	v_cmp_ge_i32_e64 s3, v5, v24
	s_delay_alu instid0(VALU_DEP_1) | instskip(NEXT) | instid1(SALU_CYCLE_1)
	s_and_b32 s5, vcc_lo, s3
	s_and_saveexec_b32 s3, s5
	s_cbranch_execz .LBB16_173
; %bb.177:                              ;   in Loop: Header=BB16_174 Depth=1
	v_sub_nc_u32_e32 v6, v24, v4
	v_sub_nc_u32_e32 v7, v5, v4
	v_or_b32_e32 v1, v1, v2
	ds_store_b64 v3, v[6:7]
	ds_store_b32 v3, v1 offset:12
	s_branch .LBB16_173
.LBB16_178:
	s_set_inst_prefetch_distance 0x2
	s_or_b32 exec_lo, exec_lo, s4
	s_and_saveexec_b32 s3, s2
	s_cbranch_execz .LBB16_180
; %bb.179:
	v_mov_b32_e32 v1, 0
	ds_load_b32 v2, v1 offset:4
	s_waitcnt lgkmcnt(0)
	ds_store_b32 v1, v2 offset:8
.LBB16_180:
	s_or_b32 exec_lo, exec_lo, s3
	s_mov_b32 s34, 2
	s_waitcnt lgkmcnt(0)
	s_barrier
	buffer_gl0_inv
.LBB16_181:
	s_lshl_b64 s[2:3], s[16:17], 2
	v_dual_mov_b32 v31, v0 :: v_dual_mov_b32 v0, s24
	s_add_u32 s4, s12, s2
	s_addc_u32 s5, s13, s3
	s_add_u32 s2, s10, s18
	s_addc_u32 s3, s11, s19
	s_cmp_lg_u64 s[10:11], 0
	v_dual_mov_b32 v5, s5 :: v_dual_mov_b32 v6, s22
	s_cselect_b32 s6, s2, 0
	s_cselect_b32 s7, s3, 0
	s_add_u32 s8, s0, 0x58
	s_addc_u32 s9, s1, 0
	s_mov_b64 s[0:1], src_shared_base
	v_dual_mov_b32 v1, s23 :: v_dual_mov_b32 v2, s6
	v_dual_mov_b32 v3, s7 :: v_dual_mov_b32 v4, s4
	;; [unrolled: 1-line block ×4, first 2 shown]
	s_mov_b32 s12, s15
	s_getpc_b64 s[2:3]
	s_add_u32 s2, s2, _ZN5aiter2ob11last_filterIfiLi11ELb0ELb0EEEvPKT_PKT0_PS2_PS5_S5_S5_PNS0_7CounterIS2_S5_EEbib@rel32@lo+4
	s_addc_u32 s3, s3, _ZN5aiter2ob11last_filterIfiLi11ELb0ELb0EEEvPKT_PKT0_PS2_PS5_S5_S5_PNS0_7CounterIS2_S5_EEbib@rel32@hi+12
	s_delay_alu instid0(SALU_CYCLE_1)
	s_swappc_b64 s[30:31], s[2:3]
	s_endpgm
	.section	.rodata,"a",@progbits
	.p2align	6, 0x0
	.amdhsa_kernel _ZN5aiter2ob27radix_topk_one_block_kernelIfiLi11ELi1024ELb0ELb0ELNS0_5PhaseE1EEEvPKT_PKT0_lS8_S8_S6_PS3_PS6_bPci
		.amdhsa_group_segment_fixed_size 17280
		.amdhsa_private_segment_fixed_size 0
		.amdhsa_kernarg_size 344
		.amdhsa_user_sgpr_count 15
		.amdhsa_user_sgpr_dispatch_ptr 0
		.amdhsa_user_sgpr_queue_ptr 0
		.amdhsa_user_sgpr_kernarg_segment_ptr 1
		.amdhsa_user_sgpr_dispatch_id 0
		.amdhsa_user_sgpr_private_segment_size 0
		.amdhsa_wavefront_size32 1
		.amdhsa_uses_dynamic_stack 0
		.amdhsa_enable_private_segment 0
		.amdhsa_system_sgpr_workgroup_id_x 1
		.amdhsa_system_sgpr_workgroup_id_y 0
		.amdhsa_system_sgpr_workgroup_id_z 0
		.amdhsa_system_sgpr_workgroup_info 0
		.amdhsa_system_vgpr_workitem_id 0
		.amdhsa_next_free_vgpr 81
		.amdhsa_next_free_sgpr 37
		.amdhsa_reserve_vcc 1
		.amdhsa_float_round_mode_32 0
		.amdhsa_float_round_mode_16_64 0
		.amdhsa_float_denorm_mode_32 3
		.amdhsa_float_denorm_mode_16_64 3
		.amdhsa_dx10_clamp 1
		.amdhsa_ieee_mode 1
		.amdhsa_fp16_overflow 0
		.amdhsa_workgroup_processor_mode 1
		.amdhsa_memory_ordered 1
		.amdhsa_forward_progress 0
		.amdhsa_shared_vgpr_count 0
		.amdhsa_exception_fp_ieee_invalid_op 0
		.amdhsa_exception_fp_denorm_src 0
		.amdhsa_exception_fp_ieee_div_zero 0
		.amdhsa_exception_fp_ieee_overflow 0
		.amdhsa_exception_fp_ieee_underflow 0
		.amdhsa_exception_fp_ieee_inexact 0
		.amdhsa_exception_int_div_zero 0
	.end_amdhsa_kernel
	.section	.text._ZN5aiter2ob27radix_topk_one_block_kernelIfiLi11ELi1024ELb0ELb0ELNS0_5PhaseE1EEEvPKT_PKT0_lS8_S8_S6_PS3_PS6_bPci,"axG",@progbits,_ZN5aiter2ob27radix_topk_one_block_kernelIfiLi11ELi1024ELb0ELb0ELNS0_5PhaseE1EEEvPKT_PKT0_lS8_S8_S6_PS3_PS6_bPci,comdat
.Lfunc_end16:
	.size	_ZN5aiter2ob27radix_topk_one_block_kernelIfiLi11ELi1024ELb0ELb0ELNS0_5PhaseE1EEEvPKT_PKT0_lS8_S8_S6_PS3_PS6_bPci, .Lfunc_end16-_ZN5aiter2ob27radix_topk_one_block_kernelIfiLi11ELi1024ELb0ELb0ELNS0_5PhaseE1EEEvPKT_PKT0_lS8_S8_S6_PS3_PS6_bPci
                                        ; -- End function
	.section	.AMDGPU.csdata,"",@progbits
; Kernel info:
; codeLenInByte = 11884
; NumSgprs: 39
; NumVgprs: 81
; ScratchSize: 0
; MemoryBound: 0
; FloatMode: 240
; IeeeMode: 1
; LDSByteSize: 17280 bytes/workgroup (compile time only)
; SGPRBlocks: 4
; VGPRBlocks: 10
; NumSGPRsForWavesPerEU: 39
; NumVGPRsForWavesPerEU: 81
; Occupancy: 16
; WaveLimiterHint : 1
; COMPUTE_PGM_RSRC2:SCRATCH_EN: 0
; COMPUTE_PGM_RSRC2:USER_SGPR: 15
; COMPUTE_PGM_RSRC2:TRAP_HANDLER: 0
; COMPUTE_PGM_RSRC2:TGID_X_EN: 1
; COMPUTE_PGM_RSRC2:TGID_Y_EN: 0
; COMPUTE_PGM_RSRC2:TGID_Z_EN: 0
; COMPUTE_PGM_RSRC2:TIDIG_COMP_CNT: 0
	.text
	.p2alignl 7, 3214868480
	.fill 96, 4, 3214868480
	.type	__hip_cuid_b313112c352c4647,@object ; @__hip_cuid_b313112c352c4647
	.section	.bss,"aw",@nobits
	.globl	__hip_cuid_b313112c352c4647
__hip_cuid_b313112c352c4647:
	.byte	0                               ; 0x0
	.size	__hip_cuid_b313112c352c4647, 1

	.ident	"AMD clang version 19.0.0git (https://github.com/RadeonOpenCompute/llvm-project roc-6.4.0 25133 c7fe45cf4b819c5991fe208aaa96edf142730f1d)"
	.section	".note.GNU-stack","",@progbits
	.addrsig
	.addrsig_sym __hip_cuid_b313112c352c4647
	.amdgpu_metadata
---
amdhsa.kernels:
  - .args:           []
    .group_segment_fixed_size: 0
    .kernarg_segment_align: 4
    .kernarg_segment_size: 0
    .language:       OpenCL C
    .language_version:
      - 2
      - 0
    .max_flat_workgroup_size: 1024
    .name:           _ZN7ck_tileL11flush_cacheEv
    .private_segment_fixed_size: 0
    .sgpr_count:     0
    .sgpr_spill_count: 0
    .symbol:         _ZN7ck_tileL11flush_cacheEv.kd
    .uniform_work_group_size: 1
    .uses_dynamic_stack: false
    .vgpr_count:     0
    .vgpr_spill_count: 0
    .wavefront_size: 32
    .workgroup_processor_mode: 1
  - .args:
      - .address_space:  global
        .offset:         0
        .size:           8
        .value_kind:     global_buffer
      - .address_space:  global
        .offset:         8
        .size:           8
        .value_kind:     global_buffer
      - .address_space:  global
        .offset:         16
        .size:           8
        .value_kind:     global_buffer
      - .address_space:  global
        .offset:         24
        .size:           8
        .value_kind:     global_buffer
      - .address_space:  global
        .offset:         32
        .size:           8
        .value_kind:     global_buffer
      - .address_space:  global
        .offset:         40
        .size:           8
        .value_kind:     global_buffer
      - .offset:         48
        .size:           4
        .value_kind:     by_value
      - .address_space:  global
        .offset:         56
        .size:           8
        .value_kind:     global_buffer
      - .address_space:  global
        .offset:         64
        .size:           8
        .value_kind:     global_buffer
      - .offset:         72
        .size:           4
        .value_kind:     by_value
      - .offset:         76
        .size:           4
        .value_kind:     by_value
      - .offset:         80
        .size:           1
        .value_kind:     by_value
      - .offset:         88
        .size:           4
        .value_kind:     hidden_block_count_x
      - .offset:         92
        .size:           4
        .value_kind:     hidden_block_count_y
      - .offset:         96
        .size:           4
        .value_kind:     hidden_block_count_z
      - .offset:         100
        .size:           2
        .value_kind:     hidden_group_size_x
      - .offset:         102
        .size:           2
        .value_kind:     hidden_group_size_y
      - .offset:         104
        .size:           2
        .value_kind:     hidden_group_size_z
      - .offset:         106
        .size:           2
        .value_kind:     hidden_remainder_x
      - .offset:         108
        .size:           2
        .value_kind:     hidden_remainder_y
      - .offset:         110
        .size:           2
        .value_kind:     hidden_remainder_z
      - .offset:         128
        .size:           8
        .value_kind:     hidden_global_offset_x
      - .offset:         136
        .size:           8
        .value_kind:     hidden_global_offset_y
      - .offset:         144
        .size:           8
        .value_kind:     hidden_global_offset_z
      - .offset:         152
        .size:           2
        .value_kind:     hidden_grid_dims
    .group_segment_fixed_size: 16912
    .kernarg_segment_align: 8
    .kernarg_segment_size: 344
    .language:       OpenCL C
    .language_version:
      - 2
      - 0
    .max_flat_workgroup_size: 1024
    .name:           _ZN5aiter2mb23radix_kernel_persistentIfiLi11ELi1024ELb1ELb0ELNS0_5PhaseE0EEEvPKT_PKT0_PS3_PS6_PNS0_7CounterIS3_S6_EESA_S6_S8_S8_S6_S6_b
    .private_segment_fixed_size: 0
    .sgpr_count:     57
    .sgpr_spill_count: 0
    .symbol:         _ZN5aiter2mb23radix_kernel_persistentIfiLi11ELi1024ELb1ELb0ELNS0_5PhaseE0EEEvPKT_PKT0_PS3_PS6_PNS0_7CounterIS3_S6_EESA_S6_S8_S8_S6_S6_b.kd
    .uniform_work_group_size: 1
    .uses_dynamic_stack: false
    .vgpr_count:     74
    .vgpr_spill_count: 0
    .wavefront_size: 32
    .workgroup_processor_mode: 1
  - .args:
      - .address_space:  global
        .offset:         0
        .size:           8
        .value_kind:     global_buffer
      - .address_space:  global
        .offset:         8
        .size:           8
        .value_kind:     global_buffer
      - .address_space:  global
        .offset:         16
        .size:           8
        .value_kind:     global_buffer
      - .address_space:  global
        .offset:         24
        .size:           8
        .value_kind:     global_buffer
      - .address_space:  global
        .offset:         32
        .size:           8
        .value_kind:     global_buffer
      - .address_space:  global
        .offset:         40
        .size:           8
        .value_kind:     global_buffer
      - .offset:         48
        .size:           4
        .value_kind:     by_value
      - .address_space:  global
        .offset:         56
        .size:           8
        .value_kind:     global_buffer
      - .address_space:  global
        .offset:         64
        .size:           8
        .value_kind:     global_buffer
      - .offset:         72
        .size:           4
        .value_kind:     by_value
      - .offset:         76
        .size:           4
        .value_kind:     by_value
      - .offset:         80
        .size:           1
        .value_kind:     by_value
      - .offset:         88
        .size:           4
        .value_kind:     hidden_block_count_x
      - .offset:         92
        .size:           4
        .value_kind:     hidden_block_count_y
      - .offset:         96
        .size:           4
        .value_kind:     hidden_block_count_z
      - .offset:         100
        .size:           2
        .value_kind:     hidden_group_size_x
      - .offset:         102
        .size:           2
        .value_kind:     hidden_group_size_y
      - .offset:         104
        .size:           2
        .value_kind:     hidden_group_size_z
      - .offset:         106
        .size:           2
        .value_kind:     hidden_remainder_x
      - .offset:         108
        .size:           2
        .value_kind:     hidden_remainder_y
      - .offset:         110
        .size:           2
        .value_kind:     hidden_remainder_z
      - .offset:         128
        .size:           8
        .value_kind:     hidden_global_offset_x
      - .offset:         136
        .size:           8
        .value_kind:     hidden_global_offset_y
      - .offset:         144
        .size:           8
        .value_kind:     hidden_global_offset_z
      - .offset:         152
        .size:           2
        .value_kind:     hidden_grid_dims
    .group_segment_fixed_size: 8592
    .kernarg_segment_align: 8
    .kernarg_segment_size: 344
    .language:       OpenCL C
    .language_version:
      - 2
      - 0
    .max_flat_workgroup_size: 1024
    .name:           _ZN5aiter2mb23radix_kernel_persistentIfiLi10ELi1024ELb1ELb0ELNS0_5PhaseE0EEEvPKT_PKT0_PS3_PS6_PNS0_7CounterIS3_S6_EESA_S6_S8_S8_S6_S6_b
    .private_segment_fixed_size: 0
    .sgpr_count:     56
    .sgpr_spill_count: 0
    .symbol:         _ZN5aiter2mb23radix_kernel_persistentIfiLi10ELi1024ELb1ELb0ELNS0_5PhaseE0EEEvPKT_PKT0_PS3_PS6_PNS0_7CounterIS3_S6_EESA_S6_S8_S8_S6_S6_b.kd
    .uniform_work_group_size: 1
    .uses_dynamic_stack: false
    .vgpr_count:     68
    .vgpr_spill_count: 0
    .wavefront_size: 32
    .workgroup_processor_mode: 1
  - .args:
      - .address_space:  global
        .offset:         0
        .size:           8
        .value_kind:     global_buffer
      - .address_space:  global
        .offset:         8
        .size:           8
        .value_kind:     global_buffer
      - .address_space:  global
        .offset:         16
        .size:           8
        .value_kind:     global_buffer
      - .address_space:  global
        .offset:         24
        .size:           8
        .value_kind:     global_buffer
      - .address_space:  global
        .offset:         32
        .size:           8
        .value_kind:     global_buffer
      - .address_space:  global
        .offset:         40
        .size:           8
        .value_kind:     global_buffer
      - .offset:         48
        .size:           4
        .value_kind:     by_value
      - .address_space:  global
        .offset:         56
        .size:           8
        .value_kind:     global_buffer
      - .address_space:  global
        .offset:         64
        .size:           8
        .value_kind:     global_buffer
      - .offset:         72
        .size:           4
        .value_kind:     by_value
      - .offset:         76
        .size:           4
        .value_kind:     by_value
      - .offset:         80
        .size:           1
        .value_kind:     by_value
      - .offset:         88
        .size:           4
        .value_kind:     hidden_block_count_x
      - .offset:         92
        .size:           4
        .value_kind:     hidden_block_count_y
      - .offset:         96
        .size:           4
        .value_kind:     hidden_block_count_z
      - .offset:         100
        .size:           2
        .value_kind:     hidden_group_size_x
      - .offset:         102
        .size:           2
        .value_kind:     hidden_group_size_y
      - .offset:         104
        .size:           2
        .value_kind:     hidden_group_size_z
      - .offset:         106
        .size:           2
        .value_kind:     hidden_remainder_x
      - .offset:         108
        .size:           2
        .value_kind:     hidden_remainder_y
      - .offset:         110
        .size:           2
        .value_kind:     hidden_remainder_z
      - .offset:         128
        .size:           8
        .value_kind:     hidden_global_offset_x
      - .offset:         136
        .size:           8
        .value_kind:     hidden_global_offset_y
      - .offset:         144
        .size:           8
        .value_kind:     hidden_global_offset_z
      - .offset:         152
        .size:           2
        .value_kind:     hidden_grid_dims
    .group_segment_fixed_size: 16912
    .kernarg_segment_align: 8
    .kernarg_segment_size: 344
    .language:       OpenCL C
    .language_version:
      - 2
      - 0
    .max_flat_workgroup_size: 1024
    .name:           _ZN5aiter2mb23radix_kernel_persistentIfiLi11ELi1024ELb0ELb0ELNS0_5PhaseE0EEEvPKT_PKT0_PS3_PS6_PNS0_7CounterIS3_S6_EESA_S6_S8_S8_S6_S6_b
    .private_segment_fixed_size: 0
    .sgpr_count:     55
    .sgpr_spill_count: 0
    .symbol:         _ZN5aiter2mb23radix_kernel_persistentIfiLi11ELi1024ELb0ELb0ELNS0_5PhaseE0EEEvPKT_PKT0_PS3_PS6_PNS0_7CounterIS3_S6_EESA_S6_S8_S8_S6_S6_b.kd
    .uniform_work_group_size: 1
    .uses_dynamic_stack: false
    .vgpr_count:     74
    .vgpr_spill_count: 0
    .wavefront_size: 32
    .workgroup_processor_mode: 1
  - .args:
      - .address_space:  global
        .offset:         0
        .size:           8
        .value_kind:     global_buffer
      - .address_space:  global
        .offset:         8
        .size:           8
        .value_kind:     global_buffer
      - .address_space:  global
        .offset:         16
        .size:           8
        .value_kind:     global_buffer
      - .address_space:  global
        .offset:         24
        .size:           8
        .value_kind:     global_buffer
      - .address_space:  global
        .offset:         32
        .size:           8
        .value_kind:     global_buffer
      - .address_space:  global
        .offset:         40
        .size:           8
        .value_kind:     global_buffer
      - .offset:         48
        .size:           4
        .value_kind:     by_value
      - .address_space:  global
        .offset:         56
        .size:           8
        .value_kind:     global_buffer
      - .address_space:  global
        .offset:         64
        .size:           8
        .value_kind:     global_buffer
      - .offset:         72
        .size:           4
        .value_kind:     by_value
      - .offset:         76
        .size:           4
        .value_kind:     by_value
      - .offset:         80
        .size:           1
        .value_kind:     by_value
      - .offset:         88
        .size:           4
        .value_kind:     hidden_block_count_x
      - .offset:         92
        .size:           4
        .value_kind:     hidden_block_count_y
      - .offset:         96
        .size:           4
        .value_kind:     hidden_block_count_z
      - .offset:         100
        .size:           2
        .value_kind:     hidden_group_size_x
      - .offset:         102
        .size:           2
        .value_kind:     hidden_group_size_y
      - .offset:         104
        .size:           2
        .value_kind:     hidden_group_size_z
      - .offset:         106
        .size:           2
        .value_kind:     hidden_remainder_x
      - .offset:         108
        .size:           2
        .value_kind:     hidden_remainder_y
      - .offset:         110
        .size:           2
        .value_kind:     hidden_remainder_z
      - .offset:         128
        .size:           8
        .value_kind:     hidden_global_offset_x
      - .offset:         136
        .size:           8
        .value_kind:     hidden_global_offset_y
      - .offset:         144
        .size:           8
        .value_kind:     hidden_global_offset_z
      - .offset:         152
        .size:           2
        .value_kind:     hidden_grid_dims
    .group_segment_fixed_size: 8592
    .kernarg_segment_align: 8
    .kernarg_segment_size: 344
    .language:       OpenCL C
    .language_version:
      - 2
      - 0
    .max_flat_workgroup_size: 1024
    .name:           _ZN5aiter2mb23radix_kernel_persistentIfiLi10ELi1024ELb0ELb0ELNS0_5PhaseE0EEEvPKT_PKT0_PS3_PS6_PNS0_7CounterIS3_S6_EESA_S6_S8_S8_S6_S6_b
    .private_segment_fixed_size: 0
    .sgpr_count:     54
    .sgpr_spill_count: 0
    .symbol:         _ZN5aiter2mb23radix_kernel_persistentIfiLi10ELi1024ELb0ELb0ELNS0_5PhaseE0EEEvPKT_PKT0_PS3_PS6_PNS0_7CounterIS3_S6_EESA_S6_S8_S8_S6_S6_b.kd
    .uniform_work_group_size: 1
    .uses_dynamic_stack: false
    .vgpr_count:     68
    .vgpr_spill_count: 0
    .wavefront_size: 32
    .workgroup_processor_mode: 1
  - .args:
      - .address_space:  global
        .offset:         0
        .size:           8
        .value_kind:     global_buffer
      - .address_space:  global
        .offset:         8
        .size:           8
        .value_kind:     global_buffer
      - .offset:         16
        .size:           8
        .value_kind:     by_value
      - .address_space:  global
        .offset:         24
        .size:           8
        .value_kind:     global_buffer
      - .address_space:  global
        .offset:         32
        .size:           8
        .value_kind:     global_buffer
      - .offset:         40
        .size:           4
        .value_kind:     by_value
      - .address_space:  global
        .offset:         48
        .size:           8
        .value_kind:     global_buffer
      - .address_space:  global
        .offset:         56
        .size:           8
        .value_kind:     global_buffer
      - .offset:         64
        .size:           1
        .value_kind:     by_value
      - .address_space:  global
        .offset:         72
        .size:           8
        .value_kind:     global_buffer
      - .offset:         80
        .size:           4
        .value_kind:     by_value
      - .offset:         88
        .size:           4
        .value_kind:     hidden_block_count_x
      - .offset:         92
        .size:           4
        .value_kind:     hidden_block_count_y
      - .offset:         96
        .size:           4
        .value_kind:     hidden_block_count_z
      - .offset:         100
        .size:           2
        .value_kind:     hidden_group_size_x
      - .offset:         102
        .size:           2
        .value_kind:     hidden_group_size_y
      - .offset:         104
        .size:           2
        .value_kind:     hidden_group_size_z
      - .offset:         106
        .size:           2
        .value_kind:     hidden_remainder_x
      - .offset:         108
        .size:           2
        .value_kind:     hidden_remainder_y
      - .offset:         110
        .size:           2
        .value_kind:     hidden_remainder_z
      - .offset:         128
        .size:           8
        .value_kind:     hidden_global_offset_x
      - .offset:         136
        .size:           8
        .value_kind:     hidden_global_offset_y
      - .offset:         144
        .size:           8
        .value_kind:     hidden_global_offset_z
      - .offset:         152
        .size:           2
        .value_kind:     hidden_grid_dims
    .group_segment_fixed_size: 33920
    .kernarg_segment_align: 8
    .kernarg_segment_size: 344
    .language:       OpenCL C
    .language_version:
      - 2
      - 0
    .max_flat_workgroup_size: 1024
    .name:           _ZN5aiter2ob27radix_topk_one_block_kernelIfiLi12ELi1024ELb1ELb0ELNS0_5PhaseE0EEEvPKT_PKT0_lS8_S8_S6_PS3_PS6_bPci
    .private_segment_fixed_size: 0
    .sgpr_count:     42
    .sgpr_spill_count: 0
    .symbol:         _ZN5aiter2ob27radix_topk_one_block_kernelIfiLi12ELi1024ELb1ELb0ELNS0_5PhaseE0EEEvPKT_PKT0_lS8_S8_S6_PS3_PS6_bPci.kd
    .uniform_work_group_size: 1
    .uses_dynamic_stack: false
    .vgpr_count:     72
    .vgpr_spill_count: 0
    .wavefront_size: 32
    .workgroup_processor_mode: 1
  - .args:
      - .address_space:  global
        .offset:         0
        .size:           8
        .value_kind:     global_buffer
      - .address_space:  global
        .offset:         8
        .size:           8
        .value_kind:     global_buffer
      - .offset:         16
        .size:           8
        .value_kind:     by_value
      - .address_space:  global
        .offset:         24
        .size:           8
        .value_kind:     global_buffer
      - .address_space:  global
        .offset:         32
        .size:           8
        .value_kind:     global_buffer
      - .offset:         40
        .size:           4
        .value_kind:     by_value
      - .address_space:  global
        .offset:         48
        .size:           8
        .value_kind:     global_buffer
      - .address_space:  global
        .offset:         56
        .size:           8
        .value_kind:     global_buffer
      - .offset:         64
        .size:           1
        .value_kind:     by_value
      - .address_space:  global
        .offset:         72
        .size:           8
        .value_kind:     global_buffer
      - .offset:         80
        .size:           4
        .value_kind:     by_value
      - .offset:         88
        .size:           4
        .value_kind:     hidden_block_count_x
      - .offset:         92
        .size:           4
        .value_kind:     hidden_block_count_y
      - .offset:         96
        .size:           4
        .value_kind:     hidden_block_count_z
      - .offset:         100
        .size:           2
        .value_kind:     hidden_group_size_x
      - .offset:         102
        .size:           2
        .value_kind:     hidden_group_size_y
      - .offset:         104
        .size:           2
        .value_kind:     hidden_group_size_z
      - .offset:         106
        .size:           2
        .value_kind:     hidden_remainder_x
      - .offset:         108
        .size:           2
        .value_kind:     hidden_remainder_y
      - .offset:         110
        .size:           2
        .value_kind:     hidden_remainder_z
      - .offset:         128
        .size:           8
        .value_kind:     hidden_global_offset_x
      - .offset:         136
        .size:           8
        .value_kind:     hidden_global_offset_y
      - .offset:         144
        .size:           8
        .value_kind:     hidden_global_offset_z
      - .offset:         152
        .size:           2
        .value_kind:     hidden_grid_dims
    .group_segment_fixed_size: 17280
    .kernarg_segment_align: 8
    .kernarg_segment_size: 344
    .language:       OpenCL C
    .language_version:
      - 2
      - 0
    .max_flat_workgroup_size: 1024
    .name:           _ZN5aiter2ob27radix_topk_one_block_kernelIfiLi11ELi1024ELb1ELb0ELNS0_5PhaseE0EEEvPKT_PKT0_lS8_S8_S6_PS3_PS6_bPci
    .private_segment_fixed_size: 0
    .sgpr_count:     42
    .sgpr_spill_count: 0
    .symbol:         _ZN5aiter2ob27radix_topk_one_block_kernelIfiLi11ELi1024ELb1ELb0ELNS0_5PhaseE0EEEvPKT_PKT0_lS8_S8_S6_PS3_PS6_bPci.kd
    .uniform_work_group_size: 1
    .uses_dynamic_stack: false
    .vgpr_count:     72
    .vgpr_spill_count: 0
    .wavefront_size: 32
    .workgroup_processor_mode: 1
  - .args:
      - .address_space:  global
        .offset:         0
        .size:           8
        .value_kind:     global_buffer
      - .address_space:  global
        .offset:         8
        .size:           8
        .value_kind:     global_buffer
      - .offset:         16
        .size:           8
        .value_kind:     by_value
      - .address_space:  global
        .offset:         24
        .size:           8
        .value_kind:     global_buffer
      - .address_space:  global
        .offset:         32
        .size:           8
        .value_kind:     global_buffer
      - .offset:         40
        .size:           4
        .value_kind:     by_value
      - .address_space:  global
        .offset:         48
        .size:           8
        .value_kind:     global_buffer
      - .address_space:  global
        .offset:         56
        .size:           8
        .value_kind:     global_buffer
      - .offset:         64
        .size:           1
        .value_kind:     by_value
      - .address_space:  global
        .offset:         72
        .size:           8
        .value_kind:     global_buffer
      - .offset:         80
        .size:           4
        .value_kind:     by_value
      - .offset:         88
        .size:           4
        .value_kind:     hidden_block_count_x
      - .offset:         92
        .size:           4
        .value_kind:     hidden_block_count_y
      - .offset:         96
        .size:           4
        .value_kind:     hidden_block_count_z
      - .offset:         100
        .size:           2
        .value_kind:     hidden_group_size_x
      - .offset:         102
        .size:           2
        .value_kind:     hidden_group_size_y
      - .offset:         104
        .size:           2
        .value_kind:     hidden_group_size_z
      - .offset:         106
        .size:           2
        .value_kind:     hidden_remainder_x
      - .offset:         108
        .size:           2
        .value_kind:     hidden_remainder_y
      - .offset:         110
        .size:           2
        .value_kind:     hidden_remainder_z
      - .offset:         128
        .size:           8
        .value_kind:     hidden_global_offset_x
      - .offset:         136
        .size:           8
        .value_kind:     hidden_global_offset_y
      - .offset:         144
        .size:           8
        .value_kind:     hidden_global_offset_z
      - .offset:         152
        .size:           2
        .value_kind:     hidden_grid_dims
    .group_segment_fixed_size: 33920
    .kernarg_segment_align: 8
    .kernarg_segment_size: 344
    .language:       OpenCL C
    .language_version:
      - 2
      - 0
    .max_flat_workgroup_size: 1024
    .name:           _ZN5aiter2ob27radix_topk_one_block_kernelIfiLi12ELi1024ELb0ELb0ELNS0_5PhaseE0EEEvPKT_PKT0_lS8_S8_S6_PS3_PS6_bPci
    .private_segment_fixed_size: 0
    .sgpr_count:     40
    .sgpr_spill_count: 0
    .symbol:         _ZN5aiter2ob27radix_topk_one_block_kernelIfiLi12ELi1024ELb0ELb0ELNS0_5PhaseE0EEEvPKT_PKT0_lS8_S8_S6_PS3_PS6_bPci.kd
    .uniform_work_group_size: 1
    .uses_dynamic_stack: false
    .vgpr_count:     81
    .vgpr_spill_count: 0
    .wavefront_size: 32
    .workgroup_processor_mode: 1
  - .args:
      - .address_space:  global
        .offset:         0
        .size:           8
        .value_kind:     global_buffer
      - .address_space:  global
        .offset:         8
        .size:           8
        .value_kind:     global_buffer
      - .offset:         16
        .size:           8
        .value_kind:     by_value
      - .address_space:  global
        .offset:         24
        .size:           8
        .value_kind:     global_buffer
      - .address_space:  global
        .offset:         32
        .size:           8
        .value_kind:     global_buffer
      - .offset:         40
        .size:           4
        .value_kind:     by_value
      - .address_space:  global
        .offset:         48
        .size:           8
        .value_kind:     global_buffer
      - .address_space:  global
        .offset:         56
        .size:           8
        .value_kind:     global_buffer
      - .offset:         64
        .size:           1
        .value_kind:     by_value
      - .address_space:  global
        .offset:         72
        .size:           8
        .value_kind:     global_buffer
      - .offset:         80
        .size:           4
        .value_kind:     by_value
      - .offset:         88
        .size:           4
        .value_kind:     hidden_block_count_x
      - .offset:         92
        .size:           4
        .value_kind:     hidden_block_count_y
      - .offset:         96
        .size:           4
        .value_kind:     hidden_block_count_z
      - .offset:         100
        .size:           2
        .value_kind:     hidden_group_size_x
      - .offset:         102
        .size:           2
        .value_kind:     hidden_group_size_y
      - .offset:         104
        .size:           2
        .value_kind:     hidden_group_size_z
      - .offset:         106
        .size:           2
        .value_kind:     hidden_remainder_x
      - .offset:         108
        .size:           2
        .value_kind:     hidden_remainder_y
      - .offset:         110
        .size:           2
        .value_kind:     hidden_remainder_z
      - .offset:         128
        .size:           8
        .value_kind:     hidden_global_offset_x
      - .offset:         136
        .size:           8
        .value_kind:     hidden_global_offset_y
      - .offset:         144
        .size:           8
        .value_kind:     hidden_global_offset_z
      - .offset:         152
        .size:           2
        .value_kind:     hidden_grid_dims
    .group_segment_fixed_size: 17280
    .kernarg_segment_align: 8
    .kernarg_segment_size: 344
    .language:       OpenCL C
    .language_version:
      - 2
      - 0
    .max_flat_workgroup_size: 1024
    .name:           _ZN5aiter2ob27radix_topk_one_block_kernelIfiLi11ELi1024ELb0ELb0ELNS0_5PhaseE0EEEvPKT_PKT0_lS8_S8_S6_PS3_PS6_bPci
    .private_segment_fixed_size: 0
    .sgpr_count:     40
    .sgpr_spill_count: 0
    .symbol:         _ZN5aiter2ob27radix_topk_one_block_kernelIfiLi11ELi1024ELb0ELb0ELNS0_5PhaseE0EEEvPKT_PKT0_lS8_S8_S6_PS3_PS6_bPci.kd
    .uniform_work_group_size: 1
    .uses_dynamic_stack: false
    .vgpr_count:     81
    .vgpr_spill_count: 0
    .wavefront_size: 32
    .workgroup_processor_mode: 1
  - .args:
      - .address_space:  global
        .offset:         0
        .size:           8
        .value_kind:     global_buffer
      - .address_space:  global
        .offset:         8
        .size:           8
        .value_kind:     global_buffer
      - .address_space:  global
        .offset:         16
        .size:           8
        .value_kind:     global_buffer
      - .address_space:  global
        .offset:         24
        .size:           8
        .value_kind:     global_buffer
      - .address_space:  global
        .offset:         32
        .size:           8
        .value_kind:     global_buffer
      - .address_space:  global
        .offset:         40
        .size:           8
        .value_kind:     global_buffer
      - .offset:         48
        .size:           4
        .value_kind:     by_value
      - .address_space:  global
        .offset:         56
        .size:           8
        .value_kind:     global_buffer
      - .address_space:  global
        .offset:         64
        .size:           8
        .value_kind:     global_buffer
      - .offset:         72
        .size:           4
        .value_kind:     by_value
      - .offset:         76
        .size:           4
        .value_kind:     by_value
      - .offset:         80
        .size:           1
        .value_kind:     by_value
      - .offset:         88
        .size:           4
        .value_kind:     hidden_block_count_x
      - .offset:         92
        .size:           4
        .value_kind:     hidden_block_count_y
      - .offset:         96
        .size:           4
        .value_kind:     hidden_block_count_z
      - .offset:         100
        .size:           2
        .value_kind:     hidden_group_size_x
      - .offset:         102
        .size:           2
        .value_kind:     hidden_group_size_y
      - .offset:         104
        .size:           2
        .value_kind:     hidden_group_size_z
      - .offset:         106
        .size:           2
        .value_kind:     hidden_remainder_x
      - .offset:         108
        .size:           2
        .value_kind:     hidden_remainder_y
      - .offset:         110
        .size:           2
        .value_kind:     hidden_remainder_z
      - .offset:         128
        .size:           8
        .value_kind:     hidden_global_offset_x
      - .offset:         136
        .size:           8
        .value_kind:     hidden_global_offset_y
      - .offset:         144
        .size:           8
        .value_kind:     hidden_global_offset_z
      - .offset:         152
        .size:           2
        .value_kind:     hidden_grid_dims
    .group_segment_fixed_size: 16912
    .kernarg_segment_align: 8
    .kernarg_segment_size: 344
    .language:       OpenCL C
    .language_version:
      - 2
      - 0
    .max_flat_workgroup_size: 1024
    .name:           _ZN5aiter2mb23radix_kernel_persistentIfiLi11ELi1024ELb0ELb0ELNS0_5PhaseE1EEEvPKT_PKT0_PS3_PS6_PNS0_7CounterIS3_S6_EESA_S6_S8_S8_S6_S6_b
    .private_segment_fixed_size: 0
    .sgpr_count:     55
    .sgpr_spill_count: 0
    .symbol:         _ZN5aiter2mb23radix_kernel_persistentIfiLi11ELi1024ELb0ELb0ELNS0_5PhaseE1EEEvPKT_PKT0_PS3_PS6_PNS0_7CounterIS3_S6_EESA_S6_S8_S8_S6_S6_b.kd
    .uniform_work_group_size: 1
    .uses_dynamic_stack: false
    .vgpr_count:     73
    .vgpr_spill_count: 0
    .wavefront_size: 32
    .workgroup_processor_mode: 1
  - .args:
      - .address_space:  global
        .offset:         0
        .size:           8
        .value_kind:     global_buffer
      - .address_space:  global
        .offset:         8
        .size:           8
        .value_kind:     global_buffer
      - .address_space:  global
        .offset:         16
        .size:           8
        .value_kind:     global_buffer
      - .address_space:  global
        .offset:         24
        .size:           8
        .value_kind:     global_buffer
      - .address_space:  global
        .offset:         32
        .size:           8
        .value_kind:     global_buffer
      - .address_space:  global
        .offset:         40
        .size:           8
        .value_kind:     global_buffer
      - .offset:         48
        .size:           4
        .value_kind:     by_value
      - .address_space:  global
        .offset:         56
        .size:           8
        .value_kind:     global_buffer
      - .address_space:  global
        .offset:         64
        .size:           8
        .value_kind:     global_buffer
      - .offset:         72
        .size:           4
        .value_kind:     by_value
      - .offset:         76
        .size:           4
        .value_kind:     by_value
      - .offset:         80
        .size:           1
        .value_kind:     by_value
      - .offset:         88
        .size:           4
        .value_kind:     hidden_block_count_x
      - .offset:         92
        .size:           4
        .value_kind:     hidden_block_count_y
      - .offset:         96
        .size:           4
        .value_kind:     hidden_block_count_z
      - .offset:         100
        .size:           2
        .value_kind:     hidden_group_size_x
      - .offset:         102
        .size:           2
        .value_kind:     hidden_group_size_y
      - .offset:         104
        .size:           2
        .value_kind:     hidden_group_size_z
      - .offset:         106
        .size:           2
        .value_kind:     hidden_remainder_x
      - .offset:         108
        .size:           2
        .value_kind:     hidden_remainder_y
      - .offset:         110
        .size:           2
        .value_kind:     hidden_remainder_z
      - .offset:         128
        .size:           8
        .value_kind:     hidden_global_offset_x
      - .offset:         136
        .size:           8
        .value_kind:     hidden_global_offset_y
      - .offset:         144
        .size:           8
        .value_kind:     hidden_global_offset_z
      - .offset:         152
        .size:           2
        .value_kind:     hidden_grid_dims
    .group_segment_fixed_size: 8592
    .kernarg_segment_align: 8
    .kernarg_segment_size: 344
    .language:       OpenCL C
    .language_version:
      - 2
      - 0
    .max_flat_workgroup_size: 1024
    .name:           _ZN5aiter2mb23radix_kernel_persistentIfiLi10ELi1024ELb0ELb0ELNS0_5PhaseE1EEEvPKT_PKT0_PS3_PS6_PNS0_7CounterIS3_S6_EESA_S6_S8_S8_S6_S6_b
    .private_segment_fixed_size: 0
    .sgpr_count:     54
    .sgpr_spill_count: 0
    .symbol:         _ZN5aiter2mb23radix_kernel_persistentIfiLi10ELi1024ELb0ELb0ELNS0_5PhaseE1EEEvPKT_PKT0_PS3_PS6_PNS0_7CounterIS3_S6_EESA_S6_S8_S8_S6_S6_b.kd
    .uniform_work_group_size: 1
    .uses_dynamic_stack: false
    .vgpr_count:     67
    .vgpr_spill_count: 0
    .wavefront_size: 32
    .workgroup_processor_mode: 1
  - .args:
      - .address_space:  global
        .offset:         0
        .size:           8
        .value_kind:     global_buffer
      - .address_space:  global
        .offset:         8
        .size:           8
        .value_kind:     global_buffer
      - .offset:         16
        .size:           8
        .value_kind:     by_value
      - .address_space:  global
        .offset:         24
        .size:           8
        .value_kind:     global_buffer
      - .address_space:  global
        .offset:         32
        .size:           8
        .value_kind:     global_buffer
      - .offset:         40
        .size:           4
        .value_kind:     by_value
      - .address_space:  global
        .offset:         48
        .size:           8
        .value_kind:     global_buffer
      - .address_space:  global
        .offset:         56
        .size:           8
        .value_kind:     global_buffer
      - .offset:         64
        .size:           1
        .value_kind:     by_value
      - .address_space:  global
        .offset:         72
        .size:           8
        .value_kind:     global_buffer
      - .offset:         80
        .size:           4
        .value_kind:     by_value
      - .offset:         88
        .size:           4
        .value_kind:     hidden_block_count_x
      - .offset:         92
        .size:           4
        .value_kind:     hidden_block_count_y
      - .offset:         96
        .size:           4
        .value_kind:     hidden_block_count_z
      - .offset:         100
        .size:           2
        .value_kind:     hidden_group_size_x
      - .offset:         102
        .size:           2
        .value_kind:     hidden_group_size_y
      - .offset:         104
        .size:           2
        .value_kind:     hidden_group_size_z
      - .offset:         106
        .size:           2
        .value_kind:     hidden_remainder_x
      - .offset:         108
        .size:           2
        .value_kind:     hidden_remainder_y
      - .offset:         110
        .size:           2
        .value_kind:     hidden_remainder_z
      - .offset:         128
        .size:           8
        .value_kind:     hidden_global_offset_x
      - .offset:         136
        .size:           8
        .value_kind:     hidden_global_offset_y
      - .offset:         144
        .size:           8
        .value_kind:     hidden_global_offset_z
      - .offset:         152
        .size:           2
        .value_kind:     hidden_grid_dims
    .group_segment_fixed_size: 33920
    .kernarg_segment_align: 8
    .kernarg_segment_size: 344
    .language:       OpenCL C
    .language_version:
      - 2
      - 0
    .max_flat_workgroup_size: 1024
    .name:           _ZN5aiter2ob27radix_topk_one_block_kernelIfiLi12ELi1024ELb0ELb0ELNS0_5PhaseE1EEEvPKT_PKT0_lS8_S8_S6_PS3_PS6_bPci
    .private_segment_fixed_size: 0
    .sgpr_count:     39
    .sgpr_spill_count: 0
    .symbol:         _ZN5aiter2ob27radix_topk_one_block_kernelIfiLi12ELi1024ELb0ELb0ELNS0_5PhaseE1EEEvPKT_PKT0_lS8_S8_S6_PS3_PS6_bPci.kd
    .uniform_work_group_size: 1
    .uses_dynamic_stack: false
    .vgpr_count:     81
    .vgpr_spill_count: 0
    .wavefront_size: 32
    .workgroup_processor_mode: 1
  - .args:
      - .address_space:  global
        .offset:         0
        .size:           8
        .value_kind:     global_buffer
      - .address_space:  global
        .offset:         8
        .size:           8
        .value_kind:     global_buffer
      - .offset:         16
        .size:           8
        .value_kind:     by_value
      - .address_space:  global
        .offset:         24
        .size:           8
        .value_kind:     global_buffer
      - .address_space:  global
        .offset:         32
        .size:           8
        .value_kind:     global_buffer
      - .offset:         40
        .size:           4
        .value_kind:     by_value
      - .address_space:  global
        .offset:         48
        .size:           8
        .value_kind:     global_buffer
      - .address_space:  global
        .offset:         56
        .size:           8
        .value_kind:     global_buffer
      - .offset:         64
        .size:           1
        .value_kind:     by_value
      - .address_space:  global
        .offset:         72
        .size:           8
        .value_kind:     global_buffer
      - .offset:         80
        .size:           4
        .value_kind:     by_value
      - .offset:         88
        .size:           4
        .value_kind:     hidden_block_count_x
      - .offset:         92
        .size:           4
        .value_kind:     hidden_block_count_y
      - .offset:         96
        .size:           4
        .value_kind:     hidden_block_count_z
      - .offset:         100
        .size:           2
        .value_kind:     hidden_group_size_x
      - .offset:         102
        .size:           2
        .value_kind:     hidden_group_size_y
      - .offset:         104
        .size:           2
        .value_kind:     hidden_group_size_z
      - .offset:         106
        .size:           2
        .value_kind:     hidden_remainder_x
      - .offset:         108
        .size:           2
        .value_kind:     hidden_remainder_y
      - .offset:         110
        .size:           2
        .value_kind:     hidden_remainder_z
      - .offset:         128
        .size:           8
        .value_kind:     hidden_global_offset_x
      - .offset:         136
        .size:           8
        .value_kind:     hidden_global_offset_y
      - .offset:         144
        .size:           8
        .value_kind:     hidden_global_offset_z
      - .offset:         152
        .size:           2
        .value_kind:     hidden_grid_dims
    .group_segment_fixed_size: 17280
    .kernarg_segment_align: 8
    .kernarg_segment_size: 344
    .language:       OpenCL C
    .language_version:
      - 2
      - 0
    .max_flat_workgroup_size: 1024
    .name:           _ZN5aiter2ob27radix_topk_one_block_kernelIfiLi11ELi1024ELb0ELb0ELNS0_5PhaseE1EEEvPKT_PKT0_lS8_S8_S6_PS3_PS6_bPci
    .private_segment_fixed_size: 0
    .sgpr_count:     39
    .sgpr_spill_count: 0
    .symbol:         _ZN5aiter2ob27radix_topk_one_block_kernelIfiLi11ELi1024ELb0ELb0ELNS0_5PhaseE1EEEvPKT_PKT0_lS8_S8_S6_PS3_PS6_bPci.kd
    .uniform_work_group_size: 1
    .uses_dynamic_stack: false
    .vgpr_count:     81
    .vgpr_spill_count: 0
    .wavefront_size: 32
    .workgroup_processor_mode: 1
amdhsa.target:   amdgcn-amd-amdhsa--gfx1100
amdhsa.version:
  - 1
  - 2
...

	.end_amdgpu_metadata
